;; amdgpu-corpus repo=pytorch/pytorch kind=compiled arch=gfx906 opt=O3
	.amdgcn_target "amdgcn-amd-amdhsa--gfx906"
	.amdhsa_code_object_version 6
	.section	.text._ZN2at6native12_GLOBAL__N_125multi_tensor_apply_kernelINS1_18TensorListMetadataILi4EEENS1_24PointwiseOpScalarFunctorIhLi4ELi3ELi3EEEJSt10multipliesIhEhEEEvT_T0_DpT1_,"axG",@progbits,_ZN2at6native12_GLOBAL__N_125multi_tensor_apply_kernelINS1_18TensorListMetadataILi4EEENS1_24PointwiseOpScalarFunctorIhLi4ELi3ELi3EEEJSt10multipliesIhEhEEEvT_T0_DpT1_,comdat
	.globl	_ZN2at6native12_GLOBAL__N_125multi_tensor_apply_kernelINS1_18TensorListMetadataILi4EEENS1_24PointwiseOpScalarFunctorIhLi4ELi3ELi3EEEJSt10multipliesIhEhEEEvT_T0_DpT1_ ; -- Begin function _ZN2at6native12_GLOBAL__N_125multi_tensor_apply_kernelINS1_18TensorListMetadataILi4EEENS1_24PointwiseOpScalarFunctorIhLi4ELi3ELi3EEEJSt10multipliesIhEhEEEvT_T0_DpT1_
	.p2align	8
	.type	_ZN2at6native12_GLOBAL__N_125multi_tensor_apply_kernelINS1_18TensorListMetadataILi4EEENS1_24PointwiseOpScalarFunctorIhLi4ELi3ELi3EEEJSt10multipliesIhEhEEEvT_T0_DpT1_,@function
_ZN2at6native12_GLOBAL__N_125multi_tensor_apply_kernelINS1_18TensorListMetadataILi4EEENS1_24PointwiseOpScalarFunctorIhLi4ELi3ELi3EEEJSt10multipliesIhEhEEEvT_T0_DpT1_: ; @_ZN2at6native12_GLOBAL__N_125multi_tensor_apply_kernelINS1_18TensorListMetadataILi4EEENS1_24PointwiseOpScalarFunctorIhLi4ELi3ELi3EEEJSt10multipliesIhEhEEEvT_T0_DpT1_
; %bb.0:
	v_mov_b32_e32 v1, s6
	global_load_ubyte v1, v1, s[4:5] offset:1440
	s_add_u32 s0, s4, s6
	s_mul_hi_u32 s1, s6, 3
	s_mul_i32 s6, s6, 3
	s_addc_u32 s2, s5, 0
	s_add_u32 s0, s0, s6
	s_addc_u32 s1, s2, s1
	s_load_dword s0, s[0:1], 0x6e0
	s_mov_b32 s3, 0
	s_waitcnt lgkmcnt(0)
	s_ashr_i32 s1, s0, 31
	s_lshl_b64 s[18:19], s[0:1], 16
	s_waitcnt vmcnt(0)
	v_readfirstlane_b32 s0, v1
	s_lshl_b32 s2, s0, 3
	s_load_dwordx2 s[10:11], s[4:5], s2 offset:0x0
	s_load_dword s30, s[4:5], 0xbe8
	s_load_dwordx2 s[0:1], s[4:5], s2 offset:0x480
	s_load_dwordx2 s[12:13], s[4:5], s2 offset:0x120
	;; [unrolled: 1-line block ×4, first 2 shown]
	s_waitcnt lgkmcnt(0)
	s_add_u32 s6, s10, s18
	s_addc_u32 s7, s11, s19
	s_add_u32 s2, s12, s18
	s_and_b32 s2, s2, 3
	s_cmp_eq_u64 s[2:3], 0
	s_cselect_b64 s[8:9], -1, 0
	s_add_u32 s2, s14, s18
	s_or_b32 s2, s16, s2
	s_and_b32 s2, s2, 3
	s_cmp_eq_u32 s2, 0
	s_cselect_b64 s[20:21], -1, 0
	s_and_b64 s[8:9], s[20:21], s[8:9]
	s_sub_u32 s20, s0, s18
	s_subb_u32 s21, s1, s19
	s_or_b64 s[0:1], s[0:1], s[6:7]
	s_and_b32 s2, s0, 3
	s_cmp_eq_u64 s[2:3], 0
	s_cselect_b64 s[0:1], -1, 0
	s_and_b64 s[2:3], s[8:9], s[0:1]
	s_mov_b64 s[0:1], -1
	s_and_b64 vcc, exec, s[2:3]
	s_cbranch_vccnz .LBB0_29
; %bb.1:
	v_cmp_lt_i64_e64 s[0:1], s[20:21], 1
	s_and_b64 vcc, exec, s[0:1]
	s_cbranch_vccnz .LBB0_28
; %bb.2:
	v_mov_b32_e32 v1, 0x10000
	s_load_dword s2, s[4:5], 0xbfc
	v_mov_b32_e32 v2, 0
	v_cmp_lt_i64_e32 vcc, s[20:21], v[1:2]
	v_mov_b32_e32 v4, s13
	s_and_b64 s[0:1], vcc, exec
	v_cmp_lt_u64_e32 vcc, s[20:21], v[1:2]
	s_cselect_b32 s23, s21, 0
	s_cselect_b32 s22, s20, 0x10000
	s_waitcnt lgkmcnt(0)
	s_and_b32 s2, s2, 0xffff
	s_and_b64 s[0:1], vcc, exec
	s_cselect_b32 s25, s21, 0
	s_cselect_b32 s24, s20, 0x10000
	s_lshl_b32 s3, s2, 1
	s_mul_i32 s0, s2, 3
	s_lshl_b32 s31, s2, 2
	s_add_u32 s1, s18, s0
	s_addc_u32 s6, s19, 0
	v_mov_b32_e32 v1, s6
	v_add_co_u32_e32 v7, vcc, s1, v0
	v_addc_co_u32_e32 v8, vcc, 0, v1, vcc
	v_mov_b32_e32 v2, s11
	v_add_co_u32_e32 v1, vcc, s10, v7
	v_addc_co_u32_e32 v2, vcc, v2, v8, vcc
	v_add_co_u32_e32 v3, vcc, s12, v7
	v_addc_co_u32_e32 v4, vcc, v4, v8, vcc
	v_mov_b32_e32 v6, s15
	v_add_co_u32_e32 v5, vcc, s14, v7
	v_addc_co_u32_e32 v6, vcc, v6, v8, vcc
	v_mov_b32_e32 v9, s17
	v_add_co_u32_e32 v7, vcc, s16, v7
	s_add_u32 s1, s18, s3
	v_addc_co_u32_e32 v8, vcc, v9, v8, vcc
	s_addc_u32 s6, s19, 0
	v_mov_b32_e32 v9, s6
	v_add_co_u32_e32 v15, vcc, s1, v0
	v_addc_co_u32_e32 v16, vcc, 0, v9, vcc
	v_mov_b32_e32 v10, s11
	v_add_co_u32_e32 v9, vcc, s10, v15
	v_addc_co_u32_e32 v10, vcc, v10, v16, vcc
	;; [unrolled: 3-line block ×10, first 2 shown]
	v_add_co_u32_e32 v31, vcc, s2, v25
	v_addc_co_u32_e32 v32, vcc, 0, v26, vcc
	v_mov_b32_e32 v26, s11
	v_add_co_u32_e32 v25, vcc, s10, v31
	v_addc_co_u32_e32 v26, vcc, v26, v32, vcc
	v_mov_b32_e32 v28, s13
	;; [unrolled: 3-line block ×4, first 2 shown]
	v_add_co_u32_e32 v31, vcc, s16, v31
	v_addc_co_u32_e32 v32, vcc, v33, v32, vcc
	v_add_co_u32_e32 v33, vcc, s0, v0
	v_addc_co_u32_e64 v34, s[0:1], 0, 0, vcc
	v_add_co_u32_e32 v35, vcc, s3, v0
	v_addc_co_u32_e64 v36, s[0:1], 0, 0, vcc
	v_add_co_u32_e32 v37, vcc, s2, v0
	s_mov_b64 s[26:27], 0
	s_lshr_b32 s33, s30, 16
	v_addc_co_u32_e64 v38, s[0:1], 0, 0, vcc
	s_branch .LBB0_4
.LBB0_3:                                ;   in Loop: Header=BB0_4 Depth=1
	s_or_b64 exec, exec, s[0:1]
	s_add_u32 s26, s26, s31
	s_waitcnt vmcnt(0)
	v_mov_b32_e32 v40, s23
	s_addc_u32 s27, s27, 0
	v_mov_b32_e32 v39, s22
	v_cmp_lt_i64_e32 vcc, s[26:27], v[39:40]
	s_cbranch_vccz .LBB0_28
.LBB0_4:                                ; =>This Inner Loop Header: Depth=1
	v_mov_b32_e32 v40, s27
	v_add_co_u32_e32 v39, vcc, s26, v0
	v_addc_co_u32_e32 v40, vcc, 0, v40, vcc
	v_cmp_gt_u64_e32 vcc, s[24:25], v[39:40]
	v_mov_b32_e32 v40, 0
	v_mov_b32_e32 v39, 0
	s_and_saveexec_b64 s[2:3], vcc
	s_cbranch_execz .LBB0_6
; %bb.5:                                ;   in Loop: Header=BB0_4 Depth=1
	v_mov_b32_e32 v39, s27
	v_add_co_u32_e64 v41, s[0:1], s26, v17
	v_addc_co_u32_e64 v42, s[0:1], v18, v39, s[0:1]
	v_add_co_u32_e64 v43, s[0:1], s26, v19
	v_addc_co_u32_e64 v44, s[0:1], v20, v39, s[0:1]
	global_load_ubyte v39, v[41:42], off
	global_load_ubyte v40, v[43:44], off
.LBB0_6:                                ;   in Loop: Header=BB0_4 Depth=1
	s_or_b64 exec, exec, s[2:3]
	v_mov_b32_e32 v41, 0
	v_mov_b32_e32 v42, 0
	s_and_saveexec_b64 s[2:3], vcc
	s_cbranch_execz .LBB0_8
; %bb.7:                                ;   in Loop: Header=BB0_4 Depth=1
	v_mov_b32_e32 v43, s27
	v_add_co_u32_e64 v42, s[0:1], s26, v21
	v_addc_co_u32_e64 v43, s[0:1], v22, v43, s[0:1]
	global_load_ubyte v42, v[42:43], off
.LBB0_8:                                ;   in Loop: Header=BB0_4 Depth=1
	s_or_b64 exec, exec, s[2:3]
	v_mov_b32_e32 v44, s27
	v_add_co_u32_e64 v43, s[0:1], s26, v37
	v_addc_co_u32_e64 v44, s[0:1], v38, v44, s[0:1]
	v_cmp_gt_u64_e64 s[0:1], s[24:25], v[43:44]
	v_mov_b32_e32 v43, 0
	s_and_saveexec_b64 s[6:7], s[0:1]
	s_cbranch_execz .LBB0_10
; %bb.9:                                ;   in Loop: Header=BB0_4 Depth=1
	v_mov_b32_e32 v41, s27
	v_add_co_u32_e64 v44, s[2:3], s26, v27
	v_addc_co_u32_e64 v45, s[2:3], v28, v41, s[2:3]
	v_add_co_u32_e64 v46, s[2:3], s26, v25
	v_addc_co_u32_e64 v47, s[2:3], v26, v41, s[2:3]
	global_load_ubyte v43, v[46:47], off
	global_load_ubyte v41, v[44:45], off
.LBB0_10:                               ;   in Loop: Header=BB0_4 Depth=1
	s_or_b64 exec, exec, s[6:7]
	v_mov_b32_e32 v44, 0
	v_mov_b32_e32 v45, 0
	s_and_saveexec_b64 s[6:7], s[0:1]
	s_cbranch_execz .LBB0_12
; %bb.11:                               ;   in Loop: Header=BB0_4 Depth=1
	v_mov_b32_e32 v46, s27
	v_add_co_u32_e64 v45, s[2:3], s26, v29
	v_addc_co_u32_e64 v46, s[2:3], v30, v46, s[2:3]
	global_load_ubyte v45, v[45:46], off
.LBB0_12:                               ;   in Loop: Header=BB0_4 Depth=1
	s_or_b64 exec, exec, s[6:7]
	v_mov_b32_e32 v47, s27
	v_add_co_u32_e64 v46, s[2:3], s26, v35
	v_addc_co_u32_e64 v47, s[2:3], v36, v47, s[2:3]
	v_cmp_gt_u64_e64 s[2:3], s[24:25], v[46:47]
	v_mov_b32_e32 v46, 0
	s_and_saveexec_b64 s[8:9], s[2:3]
	s_cbranch_execz .LBB0_14
; %bb.13:                               ;   in Loop: Header=BB0_4 Depth=1
	v_mov_b32_e32 v44, s27
	v_add_co_u32_e64 v47, s[6:7], s26, v11
	v_addc_co_u32_e64 v48, s[6:7], v12, v44, s[6:7]
	v_add_co_u32_e64 v49, s[6:7], s26, v9
	v_addc_co_u32_e64 v50, s[6:7], v10, v44, s[6:7]
	global_load_ubyte v46, v[49:50], off
	global_load_ubyte v44, v[47:48], off
.LBB0_14:                               ;   in Loop: Header=BB0_4 Depth=1
	s_or_b64 exec, exec, s[8:9]
	v_mov_b32_e32 v47, 0
	v_mov_b32_e32 v48, 0
	s_and_saveexec_b64 s[8:9], s[2:3]
	s_cbranch_execz .LBB0_16
; %bb.15:                               ;   in Loop: Header=BB0_4 Depth=1
	v_mov_b32_e32 v49, s27
	v_add_co_u32_e64 v48, s[6:7], s26, v13
	v_addc_co_u32_e64 v49, s[6:7], v14, v49, s[6:7]
	global_load_ubyte v48, v[48:49], off
.LBB0_16:                               ;   in Loop: Header=BB0_4 Depth=1
	s_or_b64 exec, exec, s[8:9]
	v_mov_b32_e32 v50, s27
	v_add_co_u32_e64 v49, s[6:7], s26, v33
	v_addc_co_u32_e64 v50, s[6:7], v34, v50, s[6:7]
	v_cmp_gt_u64_e64 s[6:7], s[24:25], v[49:50]
	v_mov_b32_e32 v49, 0
	s_and_saveexec_b64 s[28:29], s[6:7]
	s_cbranch_execnz .LBB0_22
; %bb.17:                               ;   in Loop: Header=BB0_4 Depth=1
	s_or_b64 exec, exec, s[28:29]
	v_mov_b32_e32 v50, 0
	s_and_saveexec_b64 s[28:29], s[6:7]
	s_cbranch_execnz .LBB0_23
.LBB0_18:                               ;   in Loop: Header=BB0_4 Depth=1
	s_or_b64 exec, exec, s[28:29]
	s_and_saveexec_b64 s[8:9], vcc
	s_cbranch_execnz .LBB0_24
.LBB0_19:                               ;   in Loop: Header=BB0_4 Depth=1
	s_or_b64 exec, exec, s[8:9]
	s_and_saveexec_b64 s[8:9], s[0:1]
	s_cbranch_execnz .LBB0_25
.LBB0_20:                               ;   in Loop: Header=BB0_4 Depth=1
	s_or_b64 exec, exec, s[8:9]
	s_and_saveexec_b64 s[0:1], s[2:3]
	s_cbranch_execnz .LBB0_26
.LBB0_21:                               ;   in Loop: Header=BB0_4 Depth=1
	s_or_b64 exec, exec, s[0:1]
	s_and_saveexec_b64 s[0:1], s[6:7]
	s_cbranch_execz .LBB0_3
	s_branch .LBB0_27
.LBB0_22:                               ;   in Loop: Header=BB0_4 Depth=1
	v_mov_b32_e32 v47, s27
	v_add_co_u32_e64 v50, s[8:9], s26, v3
	v_addc_co_u32_e64 v51, s[8:9], v4, v47, s[8:9]
	v_add_co_u32_e64 v52, s[8:9], s26, v1
	v_addc_co_u32_e64 v53, s[8:9], v2, v47, s[8:9]
	global_load_ubyte v49, v[52:53], off
	global_load_ubyte v47, v[50:51], off
	s_or_b64 exec, exec, s[28:29]
	v_mov_b32_e32 v50, 0
	s_and_saveexec_b64 s[28:29], s[6:7]
	s_cbranch_execz .LBB0_18
.LBB0_23:                               ;   in Loop: Header=BB0_4 Depth=1
	v_mov_b32_e32 v51, s27
	v_add_co_u32_e64 v50, s[8:9], s26, v5
	v_addc_co_u32_e64 v51, s[8:9], v6, v51, s[8:9]
	global_load_ubyte v50, v[50:51], off
	s_or_b64 exec, exec, s[28:29]
	s_and_saveexec_b64 s[8:9], vcc
	s_cbranch_execz .LBB0_19
.LBB0_24:                               ;   in Loop: Header=BB0_4 Depth=1
	s_waitcnt vmcnt(0)
	v_mul_lo_u16_e32 v40, s33, v40
	v_mad_legacy_u16 v42, v40, v42, v39
	v_mov_b32_e32 v40, s27
	v_add_co_u32_e32 v39, vcc, s26, v23
	v_addc_co_u32_e32 v40, vcc, v24, v40, vcc
	global_store_byte v[39:40], v42, off
	s_or_b64 exec, exec, s[8:9]
	s_and_saveexec_b64 s[8:9], s[0:1]
	s_cbranch_execz .LBB0_20
.LBB0_25:                               ;   in Loop: Header=BB0_4 Depth=1
	s_waitcnt vmcnt(0)
	v_mul_lo_u16_e32 v39, s33, v41
	v_mad_legacy_u16 v41, v39, v45, v43
	v_mov_b32_e32 v40, s27
	v_add_co_u32_e32 v39, vcc, s26, v31
	v_addc_co_u32_e32 v40, vcc, v32, v40, vcc
	global_store_byte v[39:40], v41, off
	s_or_b64 exec, exec, s[8:9]
	s_and_saveexec_b64 s[0:1], s[2:3]
	s_cbranch_execz .LBB0_21
.LBB0_26:                               ;   in Loop: Header=BB0_4 Depth=1
	s_waitcnt vmcnt(0)
	v_mul_lo_u16_e32 v39, s33, v44
	v_mad_legacy_u16 v41, v39, v48, v46
	v_mov_b32_e32 v40, s27
	v_add_co_u32_e32 v39, vcc, s26, v15
	v_addc_co_u32_e32 v40, vcc, v16, v40, vcc
	global_store_byte v[39:40], v41, off
	s_or_b64 exec, exec, s[0:1]
	s_and_saveexec_b64 s[0:1], s[6:7]
	s_cbranch_execz .LBB0_3
.LBB0_27:                               ;   in Loop: Header=BB0_4 Depth=1
	s_waitcnt vmcnt(0)
	v_mul_lo_u16_e32 v39, s33, v47
	v_mad_legacy_u16 v41, v39, v50, v49
	v_mov_b32_e32 v40, s27
	v_add_co_u32_e32 v39, vcc, s26, v7
	v_addc_co_u32_e32 v40, vcc, v8, v40, vcc
	global_store_byte v[39:40], v41, off
	s_branch .LBB0_3
.LBB0_28:
	s_mov_b64 s[0:1], 0
.LBB0_29:
	s_andn2_b64 vcc, exec, s[0:1]
	s_cbranch_vccnz .LBB0_33
; %bb.30:
	v_mov_b32_e32 v1, 0x10000
	v_mov_b32_e32 v2, 0
	v_cmp_lt_i64_e32 vcc, s[20:21], v[1:2]
	v_mov_b32_e32 v3, 0
	s_and_b64 s[0:1], vcc, exec
	s_cselect_b32 s1, s21, 0
	s_cselect_b32 s0, s20, 0x10000
	v_lshlrev_b32_e32 v2, 2, v0
	v_cmp_gt_i64_e32 vcc, s[0:1], v[2:3]
	s_and_saveexec_b64 s[2:3], vcc
	s_cbranch_execz .LBB0_33
; %bb.31:
	s_load_dword s2, s[4:5], 0xbfc
	v_mov_b32_e32 v1, v3
	v_mov_b32_e32 v3, s19
	v_add_co_u32_e32 v2, vcc, s18, v2
	s_waitcnt lgkmcnt(0)
	s_and_b32 s4, s2, 0xffff
	v_addc_co_u32_e32 v3, vcc, 0, v3, vcc
	s_lshl_b32 s5, s4, 2
	s_mov_b64 s[2:3], 0
	s_lshr_b32 s6, s30, 16
	v_mov_b32_e32 v4, s11
	v_mov_b32_e32 v5, s13
	;; [unrolled: 1-line block ×3, first 2 shown]
	s_mov_b32 s7, 0x6050400
	v_mov_b32_e32 v7, s17
.LBB0_32:                               ; =>This Inner Loop Header: Depth=1
	v_add_co_u32_e32 v8, vcc, s10, v2
	v_addc_co_u32_e32 v9, vcc, v4, v3, vcc
	v_add_co_u32_e32 v10, vcc, s12, v2
	v_addc_co_u32_e32 v11, vcc, v5, v3, vcc
	v_add_co_u32_e32 v12, vcc, s14, v2
	v_addc_co_u32_e32 v13, vcc, v6, v3, vcc
	global_load_dword v14, v[10:11], off
	global_load_dword v15, v[8:9], off
	;; [unrolled: 1-line block ×3, first 2 shown]
	v_add_co_u32_e32 v8, vcc, s16, v2
	v_addc_co_u32_e32 v9, vcc, v7, v3, vcc
	v_add_co_u32_e32 v0, vcc, s4, v0
	v_addc_co_u32_e32 v1, vcc, 0, v1, vcc
	v_add_co_u32_e32 v2, vcc, s5, v2
	v_lshlrev_b64 v[10:11], 2, v[0:1]
	v_addc_co_u32_e32 v3, vcc, 0, v3, vcc
	v_cmp_le_i64_e32 vcc, s[0:1], v[10:11]
	s_or_b64 s[2:3], vcc, s[2:3]
	s_waitcnt vmcnt(2)
	v_lshrrev_b32_e32 v12, 8, v14
	v_mul_lo_u16_e32 v10, s6, v14
	s_waitcnt vmcnt(1)
	v_lshrrev_b32_e32 v11, 8, v15
	s_waitcnt vmcnt(0)
	v_lshrrev_b32_e32 v13, 8, v16
	v_lshrrev_b32_e32 v17, 16, v15
	;; [unrolled: 1-line block ×3, first 2 shown]
	v_mul_lo_u16_sdwa v19, s6, v14 dst_sel:DWORD dst_unused:UNUSED_PAD src0_sel:DWORD src1_sel:WORD_1
	v_mul_lo_u16_e32 v12, s6, v12
	v_lshrrev_b32_e32 v20, 24, v15
	v_lshrrev_b32_e32 v21, 24, v16
	v_mul_lo_u16_sdwa v14, s6, v14 dst_sel:DWORD dst_unused:UNUSED_PAD src0_sel:DWORD src1_sel:BYTE_3
	v_mad_legacy_u16 v10, v10, v16, v15
	v_mad_legacy_u16 v15, v19, v18, v17
	;; [unrolled: 1-line block ×4, first 2 shown]
	v_and_b32_e32 v12, 0xff, v15
	v_and_b32_e32 v11, 0xff, v11
	v_lshlrev_b32_e32 v13, 24, v14
	v_lshlrev_b32_e32 v12, 16, v12
	v_perm_b32 v10, v11, v10, s7
	v_or3_b32 v10, v10, v12, v13
	global_store_dword v[8:9], v10, off
	s_andn2_b64 exec, exec, s[2:3]
	s_cbranch_execnz .LBB0_32
.LBB0_33:
	s_endpgm
	.section	.rodata,"a",@progbits
	.p2align	6, 0x0
	.amdhsa_kernel _ZN2at6native12_GLOBAL__N_125multi_tensor_apply_kernelINS1_18TensorListMetadataILi4EEENS1_24PointwiseOpScalarFunctorIhLi4ELi3ELi3EEEJSt10multipliesIhEhEEEvT_T0_DpT1_
		.amdhsa_group_segment_fixed_size 0
		.amdhsa_private_segment_fixed_size 0
		.amdhsa_kernarg_size 3312
		.amdhsa_user_sgpr_count 6
		.amdhsa_user_sgpr_private_segment_buffer 1
		.amdhsa_user_sgpr_dispatch_ptr 0
		.amdhsa_user_sgpr_queue_ptr 0
		.amdhsa_user_sgpr_kernarg_segment_ptr 1
		.amdhsa_user_sgpr_dispatch_id 0
		.amdhsa_user_sgpr_flat_scratch_init 0
		.amdhsa_user_sgpr_private_segment_size 0
		.amdhsa_uses_dynamic_stack 0
		.amdhsa_system_sgpr_private_segment_wavefront_offset 0
		.amdhsa_system_sgpr_workgroup_id_x 1
		.amdhsa_system_sgpr_workgroup_id_y 0
		.amdhsa_system_sgpr_workgroup_id_z 0
		.amdhsa_system_sgpr_workgroup_info 0
		.amdhsa_system_vgpr_workitem_id 0
		.amdhsa_next_free_vgpr 54
		.amdhsa_next_free_sgpr 34
		.amdhsa_reserve_vcc 1
		.amdhsa_reserve_flat_scratch 0
		.amdhsa_float_round_mode_32 0
		.amdhsa_float_round_mode_16_64 0
		.amdhsa_float_denorm_mode_32 3
		.amdhsa_float_denorm_mode_16_64 3
		.amdhsa_dx10_clamp 1
		.amdhsa_ieee_mode 1
		.amdhsa_fp16_overflow 0
		.amdhsa_exception_fp_ieee_invalid_op 0
		.amdhsa_exception_fp_denorm_src 0
		.amdhsa_exception_fp_ieee_div_zero 0
		.amdhsa_exception_fp_ieee_overflow 0
		.amdhsa_exception_fp_ieee_underflow 0
		.amdhsa_exception_fp_ieee_inexact 0
		.amdhsa_exception_int_div_zero 0
	.end_amdhsa_kernel
	.section	.text._ZN2at6native12_GLOBAL__N_125multi_tensor_apply_kernelINS1_18TensorListMetadataILi4EEENS1_24PointwiseOpScalarFunctorIhLi4ELi3ELi3EEEJSt10multipliesIhEhEEEvT_T0_DpT1_,"axG",@progbits,_ZN2at6native12_GLOBAL__N_125multi_tensor_apply_kernelINS1_18TensorListMetadataILi4EEENS1_24PointwiseOpScalarFunctorIhLi4ELi3ELi3EEEJSt10multipliesIhEhEEEvT_T0_DpT1_,comdat
.Lfunc_end0:
	.size	_ZN2at6native12_GLOBAL__N_125multi_tensor_apply_kernelINS1_18TensorListMetadataILi4EEENS1_24PointwiseOpScalarFunctorIhLi4ELi3ELi3EEEJSt10multipliesIhEhEEEvT_T0_DpT1_, .Lfunc_end0-_ZN2at6native12_GLOBAL__N_125multi_tensor_apply_kernelINS1_18TensorListMetadataILi4EEENS1_24PointwiseOpScalarFunctorIhLi4ELi3ELi3EEEJSt10multipliesIhEhEEEvT_T0_DpT1_
                                        ; -- End function
	.set _ZN2at6native12_GLOBAL__N_125multi_tensor_apply_kernelINS1_18TensorListMetadataILi4EEENS1_24PointwiseOpScalarFunctorIhLi4ELi3ELi3EEEJSt10multipliesIhEhEEEvT_T0_DpT1_.num_vgpr, 54
	.set _ZN2at6native12_GLOBAL__N_125multi_tensor_apply_kernelINS1_18TensorListMetadataILi4EEENS1_24PointwiseOpScalarFunctorIhLi4ELi3ELi3EEEJSt10multipliesIhEhEEEvT_T0_DpT1_.num_agpr, 0
	.set _ZN2at6native12_GLOBAL__N_125multi_tensor_apply_kernelINS1_18TensorListMetadataILi4EEENS1_24PointwiseOpScalarFunctorIhLi4ELi3ELi3EEEJSt10multipliesIhEhEEEvT_T0_DpT1_.numbered_sgpr, 34
	.set _ZN2at6native12_GLOBAL__N_125multi_tensor_apply_kernelINS1_18TensorListMetadataILi4EEENS1_24PointwiseOpScalarFunctorIhLi4ELi3ELi3EEEJSt10multipliesIhEhEEEvT_T0_DpT1_.num_named_barrier, 0
	.set _ZN2at6native12_GLOBAL__N_125multi_tensor_apply_kernelINS1_18TensorListMetadataILi4EEENS1_24PointwiseOpScalarFunctorIhLi4ELi3ELi3EEEJSt10multipliesIhEhEEEvT_T0_DpT1_.private_seg_size, 0
	.set _ZN2at6native12_GLOBAL__N_125multi_tensor_apply_kernelINS1_18TensorListMetadataILi4EEENS1_24PointwiseOpScalarFunctorIhLi4ELi3ELi3EEEJSt10multipliesIhEhEEEvT_T0_DpT1_.uses_vcc, 1
	.set _ZN2at6native12_GLOBAL__N_125multi_tensor_apply_kernelINS1_18TensorListMetadataILi4EEENS1_24PointwiseOpScalarFunctorIhLi4ELi3ELi3EEEJSt10multipliesIhEhEEEvT_T0_DpT1_.uses_flat_scratch, 0
	.set _ZN2at6native12_GLOBAL__N_125multi_tensor_apply_kernelINS1_18TensorListMetadataILi4EEENS1_24PointwiseOpScalarFunctorIhLi4ELi3ELi3EEEJSt10multipliesIhEhEEEvT_T0_DpT1_.has_dyn_sized_stack, 0
	.set _ZN2at6native12_GLOBAL__N_125multi_tensor_apply_kernelINS1_18TensorListMetadataILi4EEENS1_24PointwiseOpScalarFunctorIhLi4ELi3ELi3EEEJSt10multipliesIhEhEEEvT_T0_DpT1_.has_recursion, 0
	.set _ZN2at6native12_GLOBAL__N_125multi_tensor_apply_kernelINS1_18TensorListMetadataILi4EEENS1_24PointwiseOpScalarFunctorIhLi4ELi3ELi3EEEJSt10multipliesIhEhEEEvT_T0_DpT1_.has_indirect_call, 0
	.section	.AMDGPU.csdata,"",@progbits
; Kernel info:
; codeLenInByte = 1848
; TotalNumSgprs: 38
; NumVgprs: 54
; ScratchSize: 0
; MemoryBound: 0
; FloatMode: 240
; IeeeMode: 1
; LDSByteSize: 0 bytes/workgroup (compile time only)
; SGPRBlocks: 4
; VGPRBlocks: 13
; NumSGPRsForWavesPerEU: 38
; NumVGPRsForWavesPerEU: 54
; Occupancy: 4
; WaveLimiterHint : 0
; COMPUTE_PGM_RSRC2:SCRATCH_EN: 0
; COMPUTE_PGM_RSRC2:USER_SGPR: 6
; COMPUTE_PGM_RSRC2:TRAP_HANDLER: 0
; COMPUTE_PGM_RSRC2:TGID_X_EN: 1
; COMPUTE_PGM_RSRC2:TGID_Y_EN: 0
; COMPUTE_PGM_RSRC2:TGID_Z_EN: 0
; COMPUTE_PGM_RSRC2:TIDIG_COMP_CNT: 0
	.section	.text._ZN2at6native12_GLOBAL__N_125multi_tensor_apply_kernelINS1_18TensorListMetadataILi4EEENS1_24PointwiseOpScalarFunctorIaLi4ELi3ELi3EEEJSt10multipliesIaEaEEEvT_T0_DpT1_,"axG",@progbits,_ZN2at6native12_GLOBAL__N_125multi_tensor_apply_kernelINS1_18TensorListMetadataILi4EEENS1_24PointwiseOpScalarFunctorIaLi4ELi3ELi3EEEJSt10multipliesIaEaEEEvT_T0_DpT1_,comdat
	.globl	_ZN2at6native12_GLOBAL__N_125multi_tensor_apply_kernelINS1_18TensorListMetadataILi4EEENS1_24PointwiseOpScalarFunctorIaLi4ELi3ELi3EEEJSt10multipliesIaEaEEEvT_T0_DpT1_ ; -- Begin function _ZN2at6native12_GLOBAL__N_125multi_tensor_apply_kernelINS1_18TensorListMetadataILi4EEENS1_24PointwiseOpScalarFunctorIaLi4ELi3ELi3EEEJSt10multipliesIaEaEEEvT_T0_DpT1_
	.p2align	8
	.type	_ZN2at6native12_GLOBAL__N_125multi_tensor_apply_kernelINS1_18TensorListMetadataILi4EEENS1_24PointwiseOpScalarFunctorIaLi4ELi3ELi3EEEJSt10multipliesIaEaEEEvT_T0_DpT1_,@function
_ZN2at6native12_GLOBAL__N_125multi_tensor_apply_kernelINS1_18TensorListMetadataILi4EEENS1_24PointwiseOpScalarFunctorIaLi4ELi3ELi3EEEJSt10multipliesIaEaEEEvT_T0_DpT1_: ; @_ZN2at6native12_GLOBAL__N_125multi_tensor_apply_kernelINS1_18TensorListMetadataILi4EEENS1_24PointwiseOpScalarFunctorIaLi4ELi3ELi3EEEJSt10multipliesIaEaEEEvT_T0_DpT1_
; %bb.0:
	v_mov_b32_e32 v1, s6
	global_load_ubyte v1, v1, s[4:5] offset:1440
	s_add_u32 s0, s4, s6
	s_mul_hi_u32 s1, s6, 3
	s_mul_i32 s6, s6, 3
	s_addc_u32 s2, s5, 0
	s_add_u32 s0, s0, s6
	s_addc_u32 s1, s2, s1
	s_load_dword s0, s[0:1], 0x6e0
	s_mov_b32 s3, 0
	s_waitcnt lgkmcnt(0)
	s_ashr_i32 s1, s0, 31
	s_lshl_b64 s[18:19], s[0:1], 16
	s_waitcnt vmcnt(0)
	v_readfirstlane_b32 s0, v1
	s_lshl_b32 s2, s0, 3
	s_load_dwordx2 s[10:11], s[4:5], s2 offset:0x0
	s_load_dword s30, s[4:5], 0xbe8
	s_load_dwordx2 s[0:1], s[4:5], s2 offset:0x480
	s_load_dwordx2 s[12:13], s[4:5], s2 offset:0x120
	;; [unrolled: 1-line block ×4, first 2 shown]
	s_waitcnt lgkmcnt(0)
	s_add_u32 s6, s10, s18
	s_addc_u32 s7, s11, s19
	s_add_u32 s2, s12, s18
	s_and_b32 s2, s2, 3
	s_cmp_eq_u64 s[2:3], 0
	s_cselect_b64 s[8:9], -1, 0
	s_add_u32 s2, s14, s18
	s_or_b32 s2, s16, s2
	s_and_b32 s2, s2, 3
	s_cmp_eq_u32 s2, 0
	s_cselect_b64 s[20:21], -1, 0
	s_and_b64 s[8:9], s[20:21], s[8:9]
	s_sub_u32 s20, s0, s18
	s_subb_u32 s21, s1, s19
	s_or_b64 s[0:1], s[0:1], s[6:7]
	s_and_b32 s2, s0, 3
	s_cmp_eq_u64 s[2:3], 0
	s_cselect_b64 s[0:1], -1, 0
	s_and_b64 s[2:3], s[8:9], s[0:1]
	s_mov_b64 s[0:1], -1
	s_and_b64 vcc, exec, s[2:3]
	s_cbranch_vccnz .LBB1_29
; %bb.1:
	v_cmp_lt_i64_e64 s[0:1], s[20:21], 1
	s_and_b64 vcc, exec, s[0:1]
	s_cbranch_vccnz .LBB1_28
; %bb.2:
	v_mov_b32_e32 v1, 0x10000
	s_load_dword s2, s[4:5], 0xbfc
	v_mov_b32_e32 v2, 0
	v_cmp_lt_i64_e32 vcc, s[20:21], v[1:2]
	v_mov_b32_e32 v4, s13
	s_and_b64 s[0:1], vcc, exec
	v_cmp_lt_u64_e32 vcc, s[20:21], v[1:2]
	s_cselect_b32 s23, s21, 0
	s_cselect_b32 s22, s20, 0x10000
	s_waitcnt lgkmcnt(0)
	s_and_b32 s2, s2, 0xffff
	s_and_b64 s[0:1], vcc, exec
	s_cselect_b32 s25, s21, 0
	s_cselect_b32 s24, s20, 0x10000
	s_lshl_b32 s3, s2, 1
	s_mul_i32 s0, s2, 3
	s_lshl_b32 s31, s2, 2
	s_add_u32 s1, s18, s0
	s_addc_u32 s6, s19, 0
	v_mov_b32_e32 v1, s6
	v_add_co_u32_e32 v7, vcc, s1, v0
	v_addc_co_u32_e32 v8, vcc, 0, v1, vcc
	v_mov_b32_e32 v2, s11
	v_add_co_u32_e32 v1, vcc, s10, v7
	v_addc_co_u32_e32 v2, vcc, v2, v8, vcc
	v_add_co_u32_e32 v3, vcc, s12, v7
	v_addc_co_u32_e32 v4, vcc, v4, v8, vcc
	v_mov_b32_e32 v6, s15
	v_add_co_u32_e32 v5, vcc, s14, v7
	v_addc_co_u32_e32 v6, vcc, v6, v8, vcc
	v_mov_b32_e32 v9, s17
	v_add_co_u32_e32 v7, vcc, s16, v7
	s_add_u32 s1, s18, s3
	v_addc_co_u32_e32 v8, vcc, v9, v8, vcc
	s_addc_u32 s6, s19, 0
	v_mov_b32_e32 v9, s6
	v_add_co_u32_e32 v15, vcc, s1, v0
	v_addc_co_u32_e32 v16, vcc, 0, v9, vcc
	v_mov_b32_e32 v10, s11
	v_add_co_u32_e32 v9, vcc, s10, v15
	v_addc_co_u32_e32 v10, vcc, v10, v16, vcc
	;; [unrolled: 3-line block ×10, first 2 shown]
	v_add_co_u32_e32 v31, vcc, s2, v25
	v_addc_co_u32_e32 v32, vcc, 0, v26, vcc
	v_mov_b32_e32 v26, s11
	v_add_co_u32_e32 v25, vcc, s10, v31
	v_addc_co_u32_e32 v26, vcc, v26, v32, vcc
	v_mov_b32_e32 v28, s13
	;; [unrolled: 3-line block ×4, first 2 shown]
	v_add_co_u32_e32 v31, vcc, s16, v31
	v_addc_co_u32_e32 v32, vcc, v33, v32, vcc
	v_add_co_u32_e32 v33, vcc, s0, v0
	v_addc_co_u32_e64 v34, s[0:1], 0, 0, vcc
	v_add_co_u32_e32 v35, vcc, s3, v0
	v_addc_co_u32_e64 v36, s[0:1], 0, 0, vcc
	v_add_co_u32_e32 v37, vcc, s2, v0
	s_mov_b64 s[26:27], 0
	s_lshr_b32 s33, s30, 16
	v_addc_co_u32_e64 v38, s[0:1], 0, 0, vcc
	s_branch .LBB1_4
.LBB1_3:                                ;   in Loop: Header=BB1_4 Depth=1
	s_or_b64 exec, exec, s[0:1]
	s_add_u32 s26, s26, s31
	s_waitcnt vmcnt(0)
	v_mov_b32_e32 v40, s23
	s_addc_u32 s27, s27, 0
	v_mov_b32_e32 v39, s22
	v_cmp_lt_i64_e32 vcc, s[26:27], v[39:40]
	s_cbranch_vccz .LBB1_28
.LBB1_4:                                ; =>This Inner Loop Header: Depth=1
	v_mov_b32_e32 v40, s27
	v_add_co_u32_e32 v39, vcc, s26, v0
	v_addc_co_u32_e32 v40, vcc, 0, v40, vcc
	v_cmp_gt_u64_e32 vcc, s[24:25], v[39:40]
	v_mov_b32_e32 v40, 0
	v_mov_b32_e32 v39, 0
	s_and_saveexec_b64 s[2:3], vcc
	s_cbranch_execz .LBB1_6
; %bb.5:                                ;   in Loop: Header=BB1_4 Depth=1
	v_mov_b32_e32 v39, s27
	v_add_co_u32_e64 v41, s[0:1], s26, v17
	v_addc_co_u32_e64 v42, s[0:1], v18, v39, s[0:1]
	v_add_co_u32_e64 v43, s[0:1], s26, v19
	v_addc_co_u32_e64 v44, s[0:1], v20, v39, s[0:1]
	global_load_ubyte v39, v[41:42], off
	global_load_ubyte v40, v[43:44], off
.LBB1_6:                                ;   in Loop: Header=BB1_4 Depth=1
	s_or_b64 exec, exec, s[2:3]
	v_mov_b32_e32 v41, 0
	v_mov_b32_e32 v42, 0
	s_and_saveexec_b64 s[2:3], vcc
	s_cbranch_execz .LBB1_8
; %bb.7:                                ;   in Loop: Header=BB1_4 Depth=1
	v_mov_b32_e32 v43, s27
	v_add_co_u32_e64 v42, s[0:1], s26, v21
	v_addc_co_u32_e64 v43, s[0:1], v22, v43, s[0:1]
	global_load_ubyte v42, v[42:43], off
.LBB1_8:                                ;   in Loop: Header=BB1_4 Depth=1
	s_or_b64 exec, exec, s[2:3]
	v_mov_b32_e32 v44, s27
	v_add_co_u32_e64 v43, s[0:1], s26, v37
	v_addc_co_u32_e64 v44, s[0:1], v38, v44, s[0:1]
	v_cmp_gt_u64_e64 s[0:1], s[24:25], v[43:44]
	v_mov_b32_e32 v43, 0
	s_and_saveexec_b64 s[6:7], s[0:1]
	s_cbranch_execz .LBB1_10
; %bb.9:                                ;   in Loop: Header=BB1_4 Depth=1
	v_mov_b32_e32 v41, s27
	v_add_co_u32_e64 v44, s[2:3], s26, v27
	v_addc_co_u32_e64 v45, s[2:3], v28, v41, s[2:3]
	v_add_co_u32_e64 v46, s[2:3], s26, v25
	v_addc_co_u32_e64 v47, s[2:3], v26, v41, s[2:3]
	global_load_ubyte v43, v[46:47], off
	global_load_ubyte v41, v[44:45], off
.LBB1_10:                               ;   in Loop: Header=BB1_4 Depth=1
	s_or_b64 exec, exec, s[6:7]
	v_mov_b32_e32 v44, 0
	v_mov_b32_e32 v45, 0
	s_and_saveexec_b64 s[6:7], s[0:1]
	s_cbranch_execz .LBB1_12
; %bb.11:                               ;   in Loop: Header=BB1_4 Depth=1
	v_mov_b32_e32 v46, s27
	v_add_co_u32_e64 v45, s[2:3], s26, v29
	v_addc_co_u32_e64 v46, s[2:3], v30, v46, s[2:3]
	global_load_ubyte v45, v[45:46], off
.LBB1_12:                               ;   in Loop: Header=BB1_4 Depth=1
	s_or_b64 exec, exec, s[6:7]
	v_mov_b32_e32 v47, s27
	v_add_co_u32_e64 v46, s[2:3], s26, v35
	v_addc_co_u32_e64 v47, s[2:3], v36, v47, s[2:3]
	v_cmp_gt_u64_e64 s[2:3], s[24:25], v[46:47]
	v_mov_b32_e32 v46, 0
	s_and_saveexec_b64 s[8:9], s[2:3]
	s_cbranch_execz .LBB1_14
; %bb.13:                               ;   in Loop: Header=BB1_4 Depth=1
	v_mov_b32_e32 v44, s27
	v_add_co_u32_e64 v47, s[6:7], s26, v11
	v_addc_co_u32_e64 v48, s[6:7], v12, v44, s[6:7]
	v_add_co_u32_e64 v49, s[6:7], s26, v9
	v_addc_co_u32_e64 v50, s[6:7], v10, v44, s[6:7]
	global_load_ubyte v46, v[49:50], off
	global_load_ubyte v44, v[47:48], off
.LBB1_14:                               ;   in Loop: Header=BB1_4 Depth=1
	s_or_b64 exec, exec, s[8:9]
	v_mov_b32_e32 v47, 0
	v_mov_b32_e32 v48, 0
	s_and_saveexec_b64 s[8:9], s[2:3]
	s_cbranch_execz .LBB1_16
; %bb.15:                               ;   in Loop: Header=BB1_4 Depth=1
	v_mov_b32_e32 v49, s27
	v_add_co_u32_e64 v48, s[6:7], s26, v13
	v_addc_co_u32_e64 v49, s[6:7], v14, v49, s[6:7]
	global_load_ubyte v48, v[48:49], off
.LBB1_16:                               ;   in Loop: Header=BB1_4 Depth=1
	s_or_b64 exec, exec, s[8:9]
	v_mov_b32_e32 v50, s27
	v_add_co_u32_e64 v49, s[6:7], s26, v33
	v_addc_co_u32_e64 v50, s[6:7], v34, v50, s[6:7]
	v_cmp_gt_u64_e64 s[6:7], s[24:25], v[49:50]
	v_mov_b32_e32 v49, 0
	s_and_saveexec_b64 s[28:29], s[6:7]
	s_cbranch_execnz .LBB1_22
; %bb.17:                               ;   in Loop: Header=BB1_4 Depth=1
	s_or_b64 exec, exec, s[28:29]
	v_mov_b32_e32 v50, 0
	s_and_saveexec_b64 s[28:29], s[6:7]
	s_cbranch_execnz .LBB1_23
.LBB1_18:                               ;   in Loop: Header=BB1_4 Depth=1
	s_or_b64 exec, exec, s[28:29]
	s_and_saveexec_b64 s[8:9], vcc
	s_cbranch_execnz .LBB1_24
.LBB1_19:                               ;   in Loop: Header=BB1_4 Depth=1
	s_or_b64 exec, exec, s[8:9]
	s_and_saveexec_b64 s[8:9], s[0:1]
	s_cbranch_execnz .LBB1_25
.LBB1_20:                               ;   in Loop: Header=BB1_4 Depth=1
	s_or_b64 exec, exec, s[8:9]
	s_and_saveexec_b64 s[0:1], s[2:3]
	s_cbranch_execnz .LBB1_26
.LBB1_21:                               ;   in Loop: Header=BB1_4 Depth=1
	s_or_b64 exec, exec, s[0:1]
	s_and_saveexec_b64 s[0:1], s[6:7]
	s_cbranch_execz .LBB1_3
	s_branch .LBB1_27
.LBB1_22:                               ;   in Loop: Header=BB1_4 Depth=1
	v_mov_b32_e32 v47, s27
	v_add_co_u32_e64 v50, s[8:9], s26, v3
	v_addc_co_u32_e64 v51, s[8:9], v4, v47, s[8:9]
	v_add_co_u32_e64 v52, s[8:9], s26, v1
	v_addc_co_u32_e64 v53, s[8:9], v2, v47, s[8:9]
	global_load_ubyte v49, v[52:53], off
	global_load_ubyte v47, v[50:51], off
	s_or_b64 exec, exec, s[28:29]
	v_mov_b32_e32 v50, 0
	s_and_saveexec_b64 s[28:29], s[6:7]
	s_cbranch_execz .LBB1_18
.LBB1_23:                               ;   in Loop: Header=BB1_4 Depth=1
	v_mov_b32_e32 v51, s27
	v_add_co_u32_e64 v50, s[8:9], s26, v5
	v_addc_co_u32_e64 v51, s[8:9], v6, v51, s[8:9]
	global_load_ubyte v50, v[50:51], off
	s_or_b64 exec, exec, s[28:29]
	s_and_saveexec_b64 s[8:9], vcc
	s_cbranch_execz .LBB1_19
.LBB1_24:                               ;   in Loop: Header=BB1_4 Depth=1
	s_waitcnt vmcnt(0)
	v_mul_lo_u16_e32 v40, s33, v40
	v_mad_legacy_u16 v42, v40, v42, v39
	v_mov_b32_e32 v40, s27
	v_add_co_u32_e32 v39, vcc, s26, v23
	v_addc_co_u32_e32 v40, vcc, v24, v40, vcc
	global_store_byte v[39:40], v42, off
	s_or_b64 exec, exec, s[8:9]
	s_and_saveexec_b64 s[8:9], s[0:1]
	s_cbranch_execz .LBB1_20
.LBB1_25:                               ;   in Loop: Header=BB1_4 Depth=1
	s_waitcnt vmcnt(0)
	v_mul_lo_u16_e32 v39, s33, v41
	v_mad_legacy_u16 v41, v39, v45, v43
	v_mov_b32_e32 v40, s27
	v_add_co_u32_e32 v39, vcc, s26, v31
	v_addc_co_u32_e32 v40, vcc, v32, v40, vcc
	global_store_byte v[39:40], v41, off
	s_or_b64 exec, exec, s[8:9]
	s_and_saveexec_b64 s[0:1], s[2:3]
	s_cbranch_execz .LBB1_21
.LBB1_26:                               ;   in Loop: Header=BB1_4 Depth=1
	s_waitcnt vmcnt(0)
	v_mul_lo_u16_e32 v39, s33, v44
	v_mad_legacy_u16 v41, v39, v48, v46
	v_mov_b32_e32 v40, s27
	v_add_co_u32_e32 v39, vcc, s26, v15
	v_addc_co_u32_e32 v40, vcc, v16, v40, vcc
	global_store_byte v[39:40], v41, off
	s_or_b64 exec, exec, s[0:1]
	s_and_saveexec_b64 s[0:1], s[6:7]
	s_cbranch_execz .LBB1_3
.LBB1_27:                               ;   in Loop: Header=BB1_4 Depth=1
	s_waitcnt vmcnt(0)
	v_mul_lo_u16_e32 v39, s33, v47
	v_mad_legacy_u16 v41, v39, v50, v49
	v_mov_b32_e32 v40, s27
	v_add_co_u32_e32 v39, vcc, s26, v7
	v_addc_co_u32_e32 v40, vcc, v8, v40, vcc
	global_store_byte v[39:40], v41, off
	s_branch .LBB1_3
.LBB1_28:
	s_mov_b64 s[0:1], 0
.LBB1_29:
	s_andn2_b64 vcc, exec, s[0:1]
	s_cbranch_vccnz .LBB1_33
; %bb.30:
	v_mov_b32_e32 v1, 0x10000
	v_mov_b32_e32 v2, 0
	v_cmp_lt_i64_e32 vcc, s[20:21], v[1:2]
	v_mov_b32_e32 v3, 0
	s_and_b64 s[0:1], vcc, exec
	s_cselect_b32 s1, s21, 0
	s_cselect_b32 s0, s20, 0x10000
	v_lshlrev_b32_e32 v2, 2, v0
	v_cmp_gt_i64_e32 vcc, s[0:1], v[2:3]
	s_and_saveexec_b64 s[2:3], vcc
	s_cbranch_execz .LBB1_33
; %bb.31:
	s_load_dword s2, s[4:5], 0xbfc
	v_mov_b32_e32 v1, v3
	v_mov_b32_e32 v3, s19
	v_add_co_u32_e32 v2, vcc, s18, v2
	s_waitcnt lgkmcnt(0)
	s_and_b32 s4, s2, 0xffff
	v_addc_co_u32_e32 v3, vcc, 0, v3, vcc
	s_lshl_b32 s5, s4, 2
	s_mov_b64 s[2:3], 0
	s_lshr_b32 s6, s30, 16
	v_mov_b32_e32 v4, s11
	v_mov_b32_e32 v5, s13
	;; [unrolled: 1-line block ×3, first 2 shown]
	s_mov_b32 s7, 0x6050400
	v_mov_b32_e32 v7, s17
.LBB1_32:                               ; =>This Inner Loop Header: Depth=1
	v_add_co_u32_e32 v8, vcc, s10, v2
	v_addc_co_u32_e32 v9, vcc, v4, v3, vcc
	v_add_co_u32_e32 v10, vcc, s12, v2
	v_addc_co_u32_e32 v11, vcc, v5, v3, vcc
	;; [unrolled: 2-line block ×3, first 2 shown]
	global_load_dword v14, v[10:11], off
	global_load_dword v15, v[8:9], off
	global_load_dword v16, v[12:13], off
	v_add_co_u32_e32 v8, vcc, s16, v2
	v_addc_co_u32_e32 v9, vcc, v7, v3, vcc
	v_add_co_u32_e32 v0, vcc, s4, v0
	v_addc_co_u32_e32 v1, vcc, 0, v1, vcc
	v_add_co_u32_e32 v2, vcc, s5, v2
	v_lshlrev_b64 v[10:11], 2, v[0:1]
	v_addc_co_u32_e32 v3, vcc, 0, v3, vcc
	v_cmp_le_i64_e32 vcc, s[0:1], v[10:11]
	s_or_b64 s[2:3], vcc, s[2:3]
	s_waitcnt vmcnt(2)
	v_lshrrev_b32_e32 v12, 8, v14
	v_mul_lo_u16_e32 v10, s6, v14
	s_waitcnt vmcnt(1)
	v_lshrrev_b32_e32 v11, 8, v15
	s_waitcnt vmcnt(0)
	v_lshrrev_b32_e32 v13, 8, v16
	v_lshrrev_b32_e32 v17, 16, v15
	;; [unrolled: 1-line block ×3, first 2 shown]
	v_mul_lo_u16_sdwa v19, s6, v14 dst_sel:DWORD dst_unused:UNUSED_PAD src0_sel:DWORD src1_sel:WORD_1
	v_mul_lo_u16_e32 v12, s6, v12
	v_lshrrev_b32_e32 v20, 24, v15
	v_lshrrev_b32_e32 v21, 24, v16
	v_mul_lo_u16_sdwa v14, s6, v14 dst_sel:DWORD dst_unused:UNUSED_PAD src0_sel:DWORD src1_sel:BYTE_3
	v_mad_legacy_u16 v10, v10, v16, v15
	v_mad_legacy_u16 v15, v19, v18, v17
	;; [unrolled: 1-line block ×4, first 2 shown]
	v_and_b32_e32 v12, 0xff, v15
	v_and_b32_e32 v11, 0xff, v11
	v_lshlrev_b32_e32 v13, 24, v14
	v_lshlrev_b32_e32 v12, 16, v12
	v_perm_b32 v10, v11, v10, s7
	v_or3_b32 v10, v10, v12, v13
	global_store_dword v[8:9], v10, off
	s_andn2_b64 exec, exec, s[2:3]
	s_cbranch_execnz .LBB1_32
.LBB1_33:
	s_endpgm
	.section	.rodata,"a",@progbits
	.p2align	6, 0x0
	.amdhsa_kernel _ZN2at6native12_GLOBAL__N_125multi_tensor_apply_kernelINS1_18TensorListMetadataILi4EEENS1_24PointwiseOpScalarFunctorIaLi4ELi3ELi3EEEJSt10multipliesIaEaEEEvT_T0_DpT1_
		.amdhsa_group_segment_fixed_size 0
		.amdhsa_private_segment_fixed_size 0
		.amdhsa_kernarg_size 3312
		.amdhsa_user_sgpr_count 6
		.amdhsa_user_sgpr_private_segment_buffer 1
		.amdhsa_user_sgpr_dispatch_ptr 0
		.amdhsa_user_sgpr_queue_ptr 0
		.amdhsa_user_sgpr_kernarg_segment_ptr 1
		.amdhsa_user_sgpr_dispatch_id 0
		.amdhsa_user_sgpr_flat_scratch_init 0
		.amdhsa_user_sgpr_private_segment_size 0
		.amdhsa_uses_dynamic_stack 0
		.amdhsa_system_sgpr_private_segment_wavefront_offset 0
		.amdhsa_system_sgpr_workgroup_id_x 1
		.amdhsa_system_sgpr_workgroup_id_y 0
		.amdhsa_system_sgpr_workgroup_id_z 0
		.amdhsa_system_sgpr_workgroup_info 0
		.amdhsa_system_vgpr_workitem_id 0
		.amdhsa_next_free_vgpr 54
		.amdhsa_next_free_sgpr 34
		.amdhsa_reserve_vcc 1
		.amdhsa_reserve_flat_scratch 0
		.amdhsa_float_round_mode_32 0
		.amdhsa_float_round_mode_16_64 0
		.amdhsa_float_denorm_mode_32 3
		.amdhsa_float_denorm_mode_16_64 3
		.amdhsa_dx10_clamp 1
		.amdhsa_ieee_mode 1
		.amdhsa_fp16_overflow 0
		.amdhsa_exception_fp_ieee_invalid_op 0
		.amdhsa_exception_fp_denorm_src 0
		.amdhsa_exception_fp_ieee_div_zero 0
		.amdhsa_exception_fp_ieee_overflow 0
		.amdhsa_exception_fp_ieee_underflow 0
		.amdhsa_exception_fp_ieee_inexact 0
		.amdhsa_exception_int_div_zero 0
	.end_amdhsa_kernel
	.section	.text._ZN2at6native12_GLOBAL__N_125multi_tensor_apply_kernelINS1_18TensorListMetadataILi4EEENS1_24PointwiseOpScalarFunctorIaLi4ELi3ELi3EEEJSt10multipliesIaEaEEEvT_T0_DpT1_,"axG",@progbits,_ZN2at6native12_GLOBAL__N_125multi_tensor_apply_kernelINS1_18TensorListMetadataILi4EEENS1_24PointwiseOpScalarFunctorIaLi4ELi3ELi3EEEJSt10multipliesIaEaEEEvT_T0_DpT1_,comdat
.Lfunc_end1:
	.size	_ZN2at6native12_GLOBAL__N_125multi_tensor_apply_kernelINS1_18TensorListMetadataILi4EEENS1_24PointwiseOpScalarFunctorIaLi4ELi3ELi3EEEJSt10multipliesIaEaEEEvT_T0_DpT1_, .Lfunc_end1-_ZN2at6native12_GLOBAL__N_125multi_tensor_apply_kernelINS1_18TensorListMetadataILi4EEENS1_24PointwiseOpScalarFunctorIaLi4ELi3ELi3EEEJSt10multipliesIaEaEEEvT_T0_DpT1_
                                        ; -- End function
	.set _ZN2at6native12_GLOBAL__N_125multi_tensor_apply_kernelINS1_18TensorListMetadataILi4EEENS1_24PointwiseOpScalarFunctorIaLi4ELi3ELi3EEEJSt10multipliesIaEaEEEvT_T0_DpT1_.num_vgpr, 54
	.set _ZN2at6native12_GLOBAL__N_125multi_tensor_apply_kernelINS1_18TensorListMetadataILi4EEENS1_24PointwiseOpScalarFunctorIaLi4ELi3ELi3EEEJSt10multipliesIaEaEEEvT_T0_DpT1_.num_agpr, 0
	.set _ZN2at6native12_GLOBAL__N_125multi_tensor_apply_kernelINS1_18TensorListMetadataILi4EEENS1_24PointwiseOpScalarFunctorIaLi4ELi3ELi3EEEJSt10multipliesIaEaEEEvT_T0_DpT1_.numbered_sgpr, 34
	.set _ZN2at6native12_GLOBAL__N_125multi_tensor_apply_kernelINS1_18TensorListMetadataILi4EEENS1_24PointwiseOpScalarFunctorIaLi4ELi3ELi3EEEJSt10multipliesIaEaEEEvT_T0_DpT1_.num_named_barrier, 0
	.set _ZN2at6native12_GLOBAL__N_125multi_tensor_apply_kernelINS1_18TensorListMetadataILi4EEENS1_24PointwiseOpScalarFunctorIaLi4ELi3ELi3EEEJSt10multipliesIaEaEEEvT_T0_DpT1_.private_seg_size, 0
	.set _ZN2at6native12_GLOBAL__N_125multi_tensor_apply_kernelINS1_18TensorListMetadataILi4EEENS1_24PointwiseOpScalarFunctorIaLi4ELi3ELi3EEEJSt10multipliesIaEaEEEvT_T0_DpT1_.uses_vcc, 1
	.set _ZN2at6native12_GLOBAL__N_125multi_tensor_apply_kernelINS1_18TensorListMetadataILi4EEENS1_24PointwiseOpScalarFunctorIaLi4ELi3ELi3EEEJSt10multipliesIaEaEEEvT_T0_DpT1_.uses_flat_scratch, 0
	.set _ZN2at6native12_GLOBAL__N_125multi_tensor_apply_kernelINS1_18TensorListMetadataILi4EEENS1_24PointwiseOpScalarFunctorIaLi4ELi3ELi3EEEJSt10multipliesIaEaEEEvT_T0_DpT1_.has_dyn_sized_stack, 0
	.set _ZN2at6native12_GLOBAL__N_125multi_tensor_apply_kernelINS1_18TensorListMetadataILi4EEENS1_24PointwiseOpScalarFunctorIaLi4ELi3ELi3EEEJSt10multipliesIaEaEEEvT_T0_DpT1_.has_recursion, 0
	.set _ZN2at6native12_GLOBAL__N_125multi_tensor_apply_kernelINS1_18TensorListMetadataILi4EEENS1_24PointwiseOpScalarFunctorIaLi4ELi3ELi3EEEJSt10multipliesIaEaEEEvT_T0_DpT1_.has_indirect_call, 0
	.section	.AMDGPU.csdata,"",@progbits
; Kernel info:
; codeLenInByte = 1848
; TotalNumSgprs: 38
; NumVgprs: 54
; ScratchSize: 0
; MemoryBound: 0
; FloatMode: 240
; IeeeMode: 1
; LDSByteSize: 0 bytes/workgroup (compile time only)
; SGPRBlocks: 4
; VGPRBlocks: 13
; NumSGPRsForWavesPerEU: 38
; NumVGPRsForWavesPerEU: 54
; Occupancy: 4
; WaveLimiterHint : 0
; COMPUTE_PGM_RSRC2:SCRATCH_EN: 0
; COMPUTE_PGM_RSRC2:USER_SGPR: 6
; COMPUTE_PGM_RSRC2:TRAP_HANDLER: 0
; COMPUTE_PGM_RSRC2:TGID_X_EN: 1
; COMPUTE_PGM_RSRC2:TGID_Y_EN: 0
; COMPUTE_PGM_RSRC2:TGID_Z_EN: 0
; COMPUTE_PGM_RSRC2:TIDIG_COMP_CNT: 0
	.section	.text._ZN2at6native12_GLOBAL__N_125multi_tensor_apply_kernelINS1_18TensorListMetadataILi4EEENS1_24PointwiseOpScalarFunctorIiLi4ELi3ELi3EEEJSt10multipliesIiEiEEEvT_T0_DpT1_,"axG",@progbits,_ZN2at6native12_GLOBAL__N_125multi_tensor_apply_kernelINS1_18TensorListMetadataILi4EEENS1_24PointwiseOpScalarFunctorIiLi4ELi3ELi3EEEJSt10multipliesIiEiEEEvT_T0_DpT1_,comdat
	.globl	_ZN2at6native12_GLOBAL__N_125multi_tensor_apply_kernelINS1_18TensorListMetadataILi4EEENS1_24PointwiseOpScalarFunctorIiLi4ELi3ELi3EEEJSt10multipliesIiEiEEEvT_T0_DpT1_ ; -- Begin function _ZN2at6native12_GLOBAL__N_125multi_tensor_apply_kernelINS1_18TensorListMetadataILi4EEENS1_24PointwiseOpScalarFunctorIiLi4ELi3ELi3EEEJSt10multipliesIiEiEEEvT_T0_DpT1_
	.p2align	8
	.type	_ZN2at6native12_GLOBAL__N_125multi_tensor_apply_kernelINS1_18TensorListMetadataILi4EEENS1_24PointwiseOpScalarFunctorIiLi4ELi3ELi3EEEJSt10multipliesIiEiEEEvT_T0_DpT1_,@function
_ZN2at6native12_GLOBAL__N_125multi_tensor_apply_kernelINS1_18TensorListMetadataILi4EEENS1_24PointwiseOpScalarFunctorIiLi4ELi3ELi3EEEJSt10multipliesIiEiEEEvT_T0_DpT1_: ; @_ZN2at6native12_GLOBAL__N_125multi_tensor_apply_kernelINS1_18TensorListMetadataILi4EEENS1_24PointwiseOpScalarFunctorIiLi4ELi3ELi3EEEJSt10multipliesIiEiEEEvT_T0_DpT1_
; %bb.0:
	v_mov_b32_e32 v1, s6
	global_load_ubyte v1, v1, s[4:5] offset:1440
	s_add_u32 s0, s4, s6
	s_mul_hi_u32 s1, s6, 3
	s_mul_i32 s6, s6, 3
	s_addc_u32 s2, s5, 0
	s_add_u32 s0, s0, s6
	s_addc_u32 s1, s2, s1
	s_load_dword s12, s[0:1], 0x6e0
	s_mov_b32 s15, 0
	s_mov_b32 s17, s15
	;; [unrolled: 1-line block ×3, first 2 shown]
	s_waitcnt lgkmcnt(0)
	s_ashr_i32 s13, s12, 31
	s_lshl_b64 s[10:11], s[12:13], 18
	s_waitcnt vmcnt(0)
	v_readfirstlane_b32 s0, v1
	s_lshl_b32 s14, s0, 3
	s_load_dwordx2 s[8:9], s[4:5], s14 offset:0x0
	s_load_dword s22, s[4:5], 0xbec
	s_load_dwordx2 s[20:21], s[4:5], s14 offset:0x480
	s_load_dwordx2 s[6:7], s[4:5], s14 offset:0x120
	;; [unrolled: 1-line block ×4, first 2 shown]
	s_waitcnt lgkmcnt(0)
	s_add_u32 s23, s8, s10
	s_addc_u32 s24, s9, s11
	s_and_b32 s14, s23, 15
	s_add_u32 s25, s6, s10
	s_addc_u32 s26, s7, s11
	s_and_b32 s16, s25, 15
	s_cmp_eq_u64 s[16:17], 0
	s_cselect_b64 s[16:17], -1, 0
	s_add_u32 s27, s2, s10
	s_addc_u32 s28, s3, s11
	s_add_u32 s29, s0, s10
	s_addc_u32 s30, s1, s11
	s_or_b32 s18, s29, s27
	s_and_b32 s18, s18, 15
	s_cmp_eq_u32 s18, 0
	s_cselect_b64 s[34:35], -1, 0
	s_lshl_b64 s[12:13], s[12:13], 16
	s_and_b64 s[16:17], s[34:35], s[16:17]
	s_sub_u32 s12, s20, s12
	s_subb_u32 s13, s21, s13
	s_and_b32 s18, s20, 3
	s_or_b64 s[14:15], s[14:15], s[18:19]
	s_cmp_eq_u64 s[14:15], 0
	s_cselect_b64 s[14:15], -1, 0
	s_and_b64 s[16:17], s[16:17], s[14:15]
	s_mov_b64 s[14:15], -1
	s_and_b64 vcc, exec, s[16:17]
	s_cbranch_vccnz .LBB2_29
; %bb.1:
	v_cmp_lt_i64_e64 s[14:15], s[12:13], 1
	s_and_b64 vcc, exec, s[14:15]
	s_cbranch_vccnz .LBB2_28
; %bb.2:
	v_mov_b32_e32 v1, 0x10000
	s_load_dword s16, s[4:5], 0xbfc
	v_mov_b32_e32 v2, 0
	v_cmp_lt_i64_e32 vcc, s[12:13], v[1:2]
	v_mov_b32_e32 v3, 0
	s_and_b64 s[14:15], vcc, exec
	s_cselect_b32 s15, s13, 0
	s_cselect_b32 s14, s12, 0x10000
	v_cmp_lt_u64_e32 vcc, s[12:13], v[1:2]
	s_waitcnt lgkmcnt(0)
	s_and_b32 s20, s16, 0xffff
	v_lshlrev_b32_e32 v2, 2, v0
	v_mad_u64_u32 v[3:4], s[18:19], s20, 12, v[2:3]
	s_and_b64 s[16:17], vcc, exec
	v_mov_b32_e32 v6, s9
	v_add_co_u32_e32 v5, vcc, s8, v3
	v_addc_co_u32_e32 v6, vcc, v6, v4, vcc
	v_mov_b32_e32 v8, s7
	v_add_co_u32_e32 v7, vcc, s6, v3
	v_addc_co_u32_e32 v8, vcc, v8, v4, vcc
	;; [unrolled: 3-line block ×3, first 2 shown]
	v_mov_b32_e32 v12, s1
	v_add_co_u32_e32 v11, vcc, s0, v3
	s_cselect_b32 s17, s13, 0
	s_cselect_b32 s16, s12, 0x10000
	v_addc_co_u32_e32 v12, vcc, v12, v4, vcc
	s_lshl_b32 s18, s20, 3
	v_add_co_u32_e32 v4, vcc, s18, v2
	v_addc_co_u32_e64 v20, s[18:19], 0, 0, vcc
	v_mov_b32_e32 v14, s9
	v_add_co_u32_e32 v13, vcc, s8, v4
	v_addc_co_u32_e32 v14, vcc, v14, v20, vcc
	v_mov_b32_e32 v16, s7
	v_add_co_u32_e32 v15, vcc, s6, v4
	v_addc_co_u32_e32 v16, vcc, v16, v20, vcc
	;; [unrolled: 3-line block ×8, first 2 shown]
	v_add_co_u32_e32 v29, vcc, s20, v0
	v_lshlrev_b32_e32 v1, 2, v29
	v_addc_co_u32_e64 v30, s[18:19], 0, 0, vcc
	v_mov_b32_e32 v2, s9
	v_add_co_u32_e32 v31, vcc, s8, v1
	v_addc_co_u32_e32 v32, vcc, 0, v2, vcc
	v_mov_b32_e32 v2, s7
	v_add_co_u32_e32 v33, vcc, s6, v1
	v_addc_co_u32_e32 v34, vcc, 0, v2, vcc
	;; [unrolled: 3-line block ×3, first 2 shown]
	v_mov_b32_e32 v2, s1
	v_add_co_u32_e32 v37, vcc, s0, v1
	s_mul_i32 s34, s20, 3
	v_addc_co_u32_e32 v38, vcc, 0, v2, vcc
	s_lshl_b32 s21, s20, 1
	v_add_co_u32_e32 v39, vcc, s34, v0
	v_addc_co_u32_e64 v40, s[0:1], 0, 0, vcc
	v_add_co_u32_e32 v41, vcc, s21, v0
	s_lshl_b32 s31, s20, 2
	s_lshl_b32 s33, s20, 4
	s_mov_b64 s[18:19], 0
	v_addc_co_u32_e64 v42, s[0:1], 0, 0, vcc
	s_branch .LBB2_4
.LBB2_3:                                ;   in Loop: Header=BB2_4 Depth=1
	s_or_b64 exec, exec, s[0:1]
	v_add_co_u32_e32 v21, vcc, s33, v21
	v_addc_co_u32_e32 v22, vcc, 0, v22, vcc
	v_add_co_u32_e32 v23, vcc, s33, v23
	v_addc_co_u32_e32 v24, vcc, 0, v24, vcc
	;; [unrolled: 2-line block ×14, first 2 shown]
	s_add_u32 s18, s18, s31
	v_add_co_u32_e32 v35, vcc, s33, v35
	s_waitcnt vmcnt(1)
	v_mov_b32_e32 v1, s14
	s_addc_u32 s19, s19, 0
	v_addc_co_u32_e32 v36, vcc, 0, v36, vcc
	v_mov_b32_e32 v2, s15
	v_cmp_lt_i64_e32 vcc, s[18:19], v[1:2]
	v_add_co_u32_e64 v37, s[0:1], s33, v37
	v_addc_co_u32_e64 v38, s[0:1], 0, v38, s[0:1]
	s_cbranch_vccz .LBB2_28
.LBB2_4:                                ; =>This Inner Loop Header: Depth=1
	v_mov_b32_e32 v2, s19
	v_add_co_u32_e32 v1, vcc, s18, v0
	v_addc_co_u32_e32 v2, vcc, 0, v2, vcc
	v_cmp_gt_u64_e32 vcc, s[16:17], v[1:2]
	s_waitcnt vmcnt(0)
	v_mov_b32_e32 v43, 0
	v_mov_b32_e32 v1, 0
	s_and_saveexec_b64 s[2:3], vcc
	s_cbranch_execz .LBB2_6
; %bb.5:                                ;   in Loop: Header=BB2_4 Depth=1
	v_mov_b32_e32 v1, s11
	v_add_co_u32_e64 v2, s[0:1], s10, v21
	v_addc_co_u32_e64 v3, s[0:1], v22, v1, s[0:1]
	v_add_co_u32_e64 v44, s[0:1], s10, v23
	v_addc_co_u32_e64 v45, s[0:1], v24, v1, s[0:1]
	global_load_dword v1, v[2:3], off
	global_load_dword v43, v[44:45], off
.LBB2_6:                                ;   in Loop: Header=BB2_4 Depth=1
	s_or_b64 exec, exec, s[2:3]
	v_mov_b32_e32 v44, 0
	v_mov_b32_e32 v45, 0
	s_and_saveexec_b64 s[2:3], vcc
	s_cbranch_execz .LBB2_8
; %bb.7:                                ;   in Loop: Header=BB2_4 Depth=1
	v_mov_b32_e32 v3, s11
	v_add_co_u32_e64 v2, s[0:1], s10, v25
	v_addc_co_u32_e64 v3, s[0:1], v26, v3, s[0:1]
	global_load_dword v45, v[2:3], off
.LBB2_8:                                ;   in Loop: Header=BB2_4 Depth=1
	s_or_b64 exec, exec, s[2:3]
	v_mov_b32_e32 v3, s19
	v_add_co_u32_e64 v2, s[0:1], s18, v29
	v_addc_co_u32_e64 v3, s[0:1], v30, v3, s[0:1]
	v_cmp_gt_u64_e64 s[0:1], s[16:17], v[2:3]
	v_mov_b32_e32 v2, 0
	s_and_saveexec_b64 s[6:7], s[0:1]
	s_cbranch_execz .LBB2_10
; %bb.9:                                ;   in Loop: Header=BB2_4 Depth=1
	v_mov_b32_e32 v2, s11
	v_add_co_u32_e64 v3, s[2:3], s10, v31
	v_addc_co_u32_e64 v4, s[2:3], v32, v2, s[2:3]
	v_add_co_u32_e64 v46, s[2:3], s10, v33
	v_addc_co_u32_e64 v47, s[2:3], v34, v2, s[2:3]
	global_load_dword v2, v[3:4], off
	global_load_dword v44, v[46:47], off
.LBB2_10:                               ;   in Loop: Header=BB2_4 Depth=1
	s_or_b64 exec, exec, s[6:7]
	v_mov_b32_e32 v46, 0
	v_mov_b32_e32 v47, 0
	s_and_saveexec_b64 s[6:7], s[0:1]
	s_cbranch_execz .LBB2_12
; %bb.11:                               ;   in Loop: Header=BB2_4 Depth=1
	v_mov_b32_e32 v4, s11
	v_add_co_u32_e64 v3, s[2:3], s10, v35
	v_addc_co_u32_e64 v4, s[2:3], v36, v4, s[2:3]
	global_load_dword v47, v[3:4], off
.LBB2_12:                               ;   in Loop: Header=BB2_4 Depth=1
	s_or_b64 exec, exec, s[6:7]
	v_mov_b32_e32 v4, s19
	v_add_co_u32_e64 v3, s[2:3], s18, v41
	v_addc_co_u32_e64 v4, s[2:3], v42, v4, s[2:3]
	v_cmp_gt_u64_e64 s[2:3], s[16:17], v[3:4]
	v_mov_b32_e32 v3, 0
	s_and_saveexec_b64 s[8:9], s[2:3]
	s_cbranch_execz .LBB2_14
; %bb.13:                               ;   in Loop: Header=BB2_4 Depth=1
	v_mov_b32_e32 v3, s11
	v_add_co_u32_e64 v48, s[6:7], s10, v13
	v_addc_co_u32_e64 v49, s[6:7], v14, v3, s[6:7]
	v_add_co_u32_e64 v50, s[6:7], s10, v15
	v_addc_co_u32_e64 v51, s[6:7], v16, v3, s[6:7]
	global_load_dword v3, v[48:49], off
	global_load_dword v46, v[50:51], off
.LBB2_14:                               ;   in Loop: Header=BB2_4 Depth=1
	s_or_b64 exec, exec, s[8:9]
	v_mov_b32_e32 v48, 0
	v_mov_b32_e32 v49, 0
	s_and_saveexec_b64 s[8:9], s[2:3]
	s_cbranch_execz .LBB2_16
; %bb.15:                               ;   in Loop: Header=BB2_4 Depth=1
	v_mov_b32_e32 v4, s11
	v_add_co_u32_e64 v49, s[6:7], s10, v17
	v_addc_co_u32_e64 v50, s[6:7], v18, v4, s[6:7]
	global_load_dword v49, v[49:50], off
.LBB2_16:                               ;   in Loop: Header=BB2_4 Depth=1
	s_or_b64 exec, exec, s[8:9]
	v_mov_b32_e32 v4, s19
	v_add_co_u32_e64 v50, s[6:7], s18, v39
	v_addc_co_u32_e64 v51, s[6:7], v40, v4, s[6:7]
	v_cmp_gt_u64_e64 s[6:7], s[16:17], v[50:51]
	v_mov_b32_e32 v4, 0
	s_and_saveexec_b64 s[20:21], s[6:7]
	s_cbranch_execnz .LBB2_22
; %bb.17:                               ;   in Loop: Header=BB2_4 Depth=1
	s_or_b64 exec, exec, s[20:21]
	v_mov_b32_e32 v50, 0
	s_and_saveexec_b64 s[20:21], s[6:7]
	s_cbranch_execnz .LBB2_23
.LBB2_18:                               ;   in Loop: Header=BB2_4 Depth=1
	s_or_b64 exec, exec, s[20:21]
	s_and_saveexec_b64 s[8:9], vcc
	s_cbranch_execnz .LBB2_24
.LBB2_19:                               ;   in Loop: Header=BB2_4 Depth=1
	s_or_b64 exec, exec, s[8:9]
	s_and_saveexec_b64 s[8:9], s[0:1]
	s_cbranch_execnz .LBB2_25
.LBB2_20:                               ;   in Loop: Header=BB2_4 Depth=1
	s_or_b64 exec, exec, s[8:9]
	s_and_saveexec_b64 s[0:1], s[2:3]
	s_cbranch_execnz .LBB2_26
.LBB2_21:                               ;   in Loop: Header=BB2_4 Depth=1
	s_or_b64 exec, exec, s[0:1]
	s_and_saveexec_b64 s[0:1], s[6:7]
	s_cbranch_execz .LBB2_3
	s_branch .LBB2_27
.LBB2_22:                               ;   in Loop: Header=BB2_4 Depth=1
	v_mov_b32_e32 v4, s11
	v_add_co_u32_e64 v50, s[8:9], s10, v5
	v_addc_co_u32_e64 v51, s[8:9], v6, v4, s[8:9]
	v_add_co_u32_e64 v52, s[8:9], s10, v7
	v_addc_co_u32_e64 v53, s[8:9], v8, v4, s[8:9]
	global_load_dword v4, v[50:51], off
	global_load_dword v48, v[52:53], off
	s_or_b64 exec, exec, s[20:21]
	v_mov_b32_e32 v50, 0
	s_and_saveexec_b64 s[20:21], s[6:7]
	s_cbranch_execz .LBB2_18
.LBB2_23:                               ;   in Loop: Header=BB2_4 Depth=1
	v_mov_b32_e32 v51, s11
	v_add_co_u32_e64 v50, s[8:9], s10, v9
	v_addc_co_u32_e64 v51, s[8:9], v10, v51, s[8:9]
	global_load_dword v50, v[50:51], off
	s_or_b64 exec, exec, s[20:21]
	s_and_saveexec_b64 s[8:9], vcc
	s_cbranch_execz .LBB2_19
.LBB2_24:                               ;   in Loop: Header=BB2_4 Depth=1
	s_waitcnt vmcnt(0)
	v_mul_lo_u32 v43, v43, s22
	v_mov_b32_e32 v53, s11
	v_mad_u64_u32 v[51:52], s[20:21], v43, v45, v[1:2]
	v_add_co_u32_e32 v52, vcc, s10, v27
	v_addc_co_u32_e32 v53, vcc, v28, v53, vcc
	global_store_dword v[52:53], v51, off
	s_or_b64 exec, exec, s[8:9]
	s_and_saveexec_b64 s[8:9], s[0:1]
	s_cbranch_execz .LBB2_20
.LBB2_25:                               ;   in Loop: Header=BB2_4 Depth=1
	s_waitcnt vmcnt(0)
	v_mul_lo_u32 v1, v44, s22
	v_mov_b32_e32 v44, s11
	v_add_co_u32_e32 v43, vcc, s10, v37
	v_mad_u64_u32 v[1:2], s[0:1], v1, v47, v[2:3]
	v_addc_co_u32_e32 v44, vcc, v38, v44, vcc
	global_store_dword v[43:44], v1, off
	s_or_b64 exec, exec, s[8:9]
	s_and_saveexec_b64 s[0:1], s[2:3]
	s_cbranch_execz .LBB2_21
.LBB2_26:                               ;   in Loop: Header=BB2_4 Depth=1
	s_waitcnt vmcnt(0)
	v_mul_lo_u32 v1, v46, s22
	v_mov_b32_e32 v43, s11
	v_mad_u64_u32 v[1:2], s[2:3], v1, v49, v[3:4]
	v_add_co_u32_e32 v2, vcc, s10, v19
	v_addc_co_u32_e32 v3, vcc, v20, v43, vcc
	global_store_dword v[2:3], v1, off
	s_or_b64 exec, exec, s[0:1]
	s_and_saveexec_b64 s[0:1], s[6:7]
	s_cbranch_execz .LBB2_3
.LBB2_27:                               ;   in Loop: Header=BB2_4 Depth=1
	s_waitcnt vmcnt(0)
	v_mul_lo_u32 v1, v48, s22
	v_mov_b32_e32 v3, s11
	v_mad_u64_u32 v[1:2], s[2:3], v1, v50, v[4:5]
	v_add_co_u32_e32 v2, vcc, s10, v11
	v_addc_co_u32_e32 v3, vcc, v12, v3, vcc
	global_store_dword v[2:3], v1, off
	s_branch .LBB2_3
.LBB2_28:
	s_mov_b64 s[14:15], 0
.LBB2_29:
	s_andn2_b64 vcc, exec, s[14:15]
	s_cbranch_vccnz .LBB2_33
; %bb.30:
	v_mov_b32_e32 v1, 0x10000
	v_mov_b32_e32 v2, 0
	v_cmp_lt_i64_e32 vcc, s[12:13], v[1:2]
	v_mov_b32_e32 v2, 0
	s_and_b64 s[0:1], vcc, exec
	s_cselect_b32 s7, s13, 0
	s_cselect_b32 s6, s12, 0x10000
	v_lshlrev_b32_e32 v1, 2, v0
	v_cmp_gt_i64_e32 vcc, s[6:7], v[1:2]
	s_and_saveexec_b64 s[0:1], vcc
	s_cbranch_execz .LBB2_33
; %bb.31:
	s_load_dword s0, s[4:5], 0xbfc
	v_mov_b32_e32 v1, v2
	v_lshlrev_b32_e32 v2, 4, v0
	s_mov_b64 s[4:5], 0
	s_waitcnt lgkmcnt(0)
	s_and_b32 s8, s0, 0xffff
	s_lshl_b32 s9, s8, 4
.LBB2_32:                               ; =>This Inner Loop Header: Depth=1
	v_mov_b32_e32 v4, s26
	v_add_co_u32_e32 v15, vcc, s25, v2
	v_mov_b32_e32 v3, s24
	v_mov_b32_e32 v5, s28
	v_add_co_u32_e64 v17, s[0:1], s27, v2
	v_add_co_u32_e64 v19, s[2:3], s23, v2
	v_addc_co_u32_e32 v16, vcc, 0, v4, vcc
	v_addc_co_u32_e64 v20, s[2:3], 0, v3, s[2:3]
	v_addc_co_u32_e64 v18, vcc, 0, v5, s[0:1]
	global_load_dwordx4 v[3:6], v[15:16], off
	global_load_dwordx4 v[7:10], v[19:20], off
	;; [unrolled: 1-line block ×3, first 2 shown]
	v_add_co_u32_e32 v15, vcc, s29, v2
	v_add_co_u32_e64 v0, s[0:1], s8, v0
	s_add_u32 s29, s29, s9
	v_mov_b32_e32 v16, s30
	v_addc_co_u32_e64 v1, s[0:1], 0, v1, s[0:1]
	s_addc_u32 s30, s30, 0
	v_lshlrev_b64 v[17:18], 2, v[0:1]
	s_add_u32 s23, s23, s9
	v_addc_co_u32_e32 v16, vcc, 0, v16, vcc
	s_addc_u32 s24, s24, 0
	v_cmp_le_i64_e32 vcc, s[6:7], v[17:18]
	s_add_u32 s27, s27, s9
	s_addc_u32 s28, s28, 0
	s_add_u32 s25, s25, s9
	s_addc_u32 s26, s26, 0
	s_or_b64 s[4:5], vcc, s[4:5]
	s_waitcnt vmcnt(2)
	v_mul_lo_u32 v3, v3, s22
	v_mul_lo_u32 v19, v4, s22
	;; [unrolled: 1-line block ×4, first 2 shown]
	s_waitcnt vmcnt(1)
	v_mov_b32_e32 v5, v10
	s_waitcnt vmcnt(0)
	v_mad_u64_u32 v[3:4], s[0:1], v3, v11, v[7:8]
	v_mad_u64_u32 v[17:18], s[0:1], v6, v14, v[5:6]
	;; [unrolled: 1-line block ×4, first 2 shown]
	v_mov_b32_e32 v6, v17
	global_store_dwordx4 v[15:16], v[3:6], off
	s_andn2_b64 exec, exec, s[4:5]
	s_cbranch_execnz .LBB2_32
.LBB2_33:
	s_endpgm
	.section	.rodata,"a",@progbits
	.p2align	6, 0x0
	.amdhsa_kernel _ZN2at6native12_GLOBAL__N_125multi_tensor_apply_kernelINS1_18TensorListMetadataILi4EEENS1_24PointwiseOpScalarFunctorIiLi4ELi3ELi3EEEJSt10multipliesIiEiEEEvT_T0_DpT1_
		.amdhsa_group_segment_fixed_size 0
		.amdhsa_private_segment_fixed_size 0
		.amdhsa_kernarg_size 3312
		.amdhsa_user_sgpr_count 6
		.amdhsa_user_sgpr_private_segment_buffer 1
		.amdhsa_user_sgpr_dispatch_ptr 0
		.amdhsa_user_sgpr_queue_ptr 0
		.amdhsa_user_sgpr_kernarg_segment_ptr 1
		.amdhsa_user_sgpr_dispatch_id 0
		.amdhsa_user_sgpr_flat_scratch_init 0
		.amdhsa_user_sgpr_private_segment_size 0
		.amdhsa_uses_dynamic_stack 0
		.amdhsa_system_sgpr_private_segment_wavefront_offset 0
		.amdhsa_system_sgpr_workgroup_id_x 1
		.amdhsa_system_sgpr_workgroup_id_y 0
		.amdhsa_system_sgpr_workgroup_id_z 0
		.amdhsa_system_sgpr_workgroup_info 0
		.amdhsa_system_vgpr_workitem_id 0
		.amdhsa_next_free_vgpr 54
		.amdhsa_next_free_sgpr 36
		.amdhsa_reserve_vcc 1
		.amdhsa_reserve_flat_scratch 0
		.amdhsa_float_round_mode_32 0
		.amdhsa_float_round_mode_16_64 0
		.amdhsa_float_denorm_mode_32 3
		.amdhsa_float_denorm_mode_16_64 3
		.amdhsa_dx10_clamp 1
		.amdhsa_ieee_mode 1
		.amdhsa_fp16_overflow 0
		.amdhsa_exception_fp_ieee_invalid_op 0
		.amdhsa_exception_fp_denorm_src 0
		.amdhsa_exception_fp_ieee_div_zero 0
		.amdhsa_exception_fp_ieee_overflow 0
		.amdhsa_exception_fp_ieee_underflow 0
		.amdhsa_exception_fp_ieee_inexact 0
		.amdhsa_exception_int_div_zero 0
	.end_amdhsa_kernel
	.section	.text._ZN2at6native12_GLOBAL__N_125multi_tensor_apply_kernelINS1_18TensorListMetadataILi4EEENS1_24PointwiseOpScalarFunctorIiLi4ELi3ELi3EEEJSt10multipliesIiEiEEEvT_T0_DpT1_,"axG",@progbits,_ZN2at6native12_GLOBAL__N_125multi_tensor_apply_kernelINS1_18TensorListMetadataILi4EEENS1_24PointwiseOpScalarFunctorIiLi4ELi3ELi3EEEJSt10multipliesIiEiEEEvT_T0_DpT1_,comdat
.Lfunc_end2:
	.size	_ZN2at6native12_GLOBAL__N_125multi_tensor_apply_kernelINS1_18TensorListMetadataILi4EEENS1_24PointwiseOpScalarFunctorIiLi4ELi3ELi3EEEJSt10multipliesIiEiEEEvT_T0_DpT1_, .Lfunc_end2-_ZN2at6native12_GLOBAL__N_125multi_tensor_apply_kernelINS1_18TensorListMetadataILi4EEENS1_24PointwiseOpScalarFunctorIiLi4ELi3ELi3EEEJSt10multipliesIiEiEEEvT_T0_DpT1_
                                        ; -- End function
	.set _ZN2at6native12_GLOBAL__N_125multi_tensor_apply_kernelINS1_18TensorListMetadataILi4EEENS1_24PointwiseOpScalarFunctorIiLi4ELi3ELi3EEEJSt10multipliesIiEiEEEvT_T0_DpT1_.num_vgpr, 54
	.set _ZN2at6native12_GLOBAL__N_125multi_tensor_apply_kernelINS1_18TensorListMetadataILi4EEENS1_24PointwiseOpScalarFunctorIiLi4ELi3ELi3EEEJSt10multipliesIiEiEEEvT_T0_DpT1_.num_agpr, 0
	.set _ZN2at6native12_GLOBAL__N_125multi_tensor_apply_kernelINS1_18TensorListMetadataILi4EEENS1_24PointwiseOpScalarFunctorIiLi4ELi3ELi3EEEJSt10multipliesIiEiEEEvT_T0_DpT1_.numbered_sgpr, 36
	.set _ZN2at6native12_GLOBAL__N_125multi_tensor_apply_kernelINS1_18TensorListMetadataILi4EEENS1_24PointwiseOpScalarFunctorIiLi4ELi3ELi3EEEJSt10multipliesIiEiEEEvT_T0_DpT1_.num_named_barrier, 0
	.set _ZN2at6native12_GLOBAL__N_125multi_tensor_apply_kernelINS1_18TensorListMetadataILi4EEENS1_24PointwiseOpScalarFunctorIiLi4ELi3ELi3EEEJSt10multipliesIiEiEEEvT_T0_DpT1_.private_seg_size, 0
	.set _ZN2at6native12_GLOBAL__N_125multi_tensor_apply_kernelINS1_18TensorListMetadataILi4EEENS1_24PointwiseOpScalarFunctorIiLi4ELi3ELi3EEEJSt10multipliesIiEiEEEvT_T0_DpT1_.uses_vcc, 1
	.set _ZN2at6native12_GLOBAL__N_125multi_tensor_apply_kernelINS1_18TensorListMetadataILi4EEENS1_24PointwiseOpScalarFunctorIiLi4ELi3ELi3EEEJSt10multipliesIiEiEEEvT_T0_DpT1_.uses_flat_scratch, 0
	.set _ZN2at6native12_GLOBAL__N_125multi_tensor_apply_kernelINS1_18TensorListMetadataILi4EEENS1_24PointwiseOpScalarFunctorIiLi4ELi3ELi3EEEJSt10multipliesIiEiEEEvT_T0_DpT1_.has_dyn_sized_stack, 0
	.set _ZN2at6native12_GLOBAL__N_125multi_tensor_apply_kernelINS1_18TensorListMetadataILi4EEENS1_24PointwiseOpScalarFunctorIiLi4ELi3ELi3EEEJSt10multipliesIiEiEEEvT_T0_DpT1_.has_recursion, 0
	.set _ZN2at6native12_GLOBAL__N_125multi_tensor_apply_kernelINS1_18TensorListMetadataILi4EEENS1_24PointwiseOpScalarFunctorIiLi4ELi3ELi3EEEJSt10multipliesIiEiEEEvT_T0_DpT1_.has_indirect_call, 0
	.section	.AMDGPU.csdata,"",@progbits
; Kernel info:
; codeLenInByte = 1988
; TotalNumSgprs: 40
; NumVgprs: 54
; ScratchSize: 0
; MemoryBound: 0
; FloatMode: 240
; IeeeMode: 1
; LDSByteSize: 0 bytes/workgroup (compile time only)
; SGPRBlocks: 4
; VGPRBlocks: 13
; NumSGPRsForWavesPerEU: 40
; NumVGPRsForWavesPerEU: 54
; Occupancy: 4
; WaveLimiterHint : 0
; COMPUTE_PGM_RSRC2:SCRATCH_EN: 0
; COMPUTE_PGM_RSRC2:USER_SGPR: 6
; COMPUTE_PGM_RSRC2:TRAP_HANDLER: 0
; COMPUTE_PGM_RSRC2:TGID_X_EN: 1
; COMPUTE_PGM_RSRC2:TGID_Y_EN: 0
; COMPUTE_PGM_RSRC2:TGID_Z_EN: 0
; COMPUTE_PGM_RSRC2:TIDIG_COMP_CNT: 0
	.section	.text._ZN2at6native12_GLOBAL__N_125multi_tensor_apply_kernelINS1_18TensorListMetadataILi4EEENS1_24PointwiseOpScalarFunctorIlLi4ELi3ELi3EEEJSt10multipliesIlElEEEvT_T0_DpT1_,"axG",@progbits,_ZN2at6native12_GLOBAL__N_125multi_tensor_apply_kernelINS1_18TensorListMetadataILi4EEENS1_24PointwiseOpScalarFunctorIlLi4ELi3ELi3EEEJSt10multipliesIlElEEEvT_T0_DpT1_,comdat
	.globl	_ZN2at6native12_GLOBAL__N_125multi_tensor_apply_kernelINS1_18TensorListMetadataILi4EEENS1_24PointwiseOpScalarFunctorIlLi4ELi3ELi3EEEJSt10multipliesIlElEEEvT_T0_DpT1_ ; -- Begin function _ZN2at6native12_GLOBAL__N_125multi_tensor_apply_kernelINS1_18TensorListMetadataILi4EEENS1_24PointwiseOpScalarFunctorIlLi4ELi3ELi3EEEJSt10multipliesIlElEEEvT_T0_DpT1_
	.p2align	8
	.type	_ZN2at6native12_GLOBAL__N_125multi_tensor_apply_kernelINS1_18TensorListMetadataILi4EEENS1_24PointwiseOpScalarFunctorIlLi4ELi3ELi3EEEJSt10multipliesIlElEEEvT_T0_DpT1_,@function
_ZN2at6native12_GLOBAL__N_125multi_tensor_apply_kernelINS1_18TensorListMetadataILi4EEENS1_24PointwiseOpScalarFunctorIlLi4ELi3ELi3EEEJSt10multipliesIlElEEEvT_T0_DpT1_: ; @_ZN2at6native12_GLOBAL__N_125multi_tensor_apply_kernelINS1_18TensorListMetadataILi4EEENS1_24PointwiseOpScalarFunctorIlLi4ELi3ELi3EEEJSt10multipliesIlElEEEvT_T0_DpT1_
; %bb.0:
	v_mov_b32_e32 v1, s6
	global_load_ubyte v1, v1, s[4:5] offset:1440
	s_add_u32 s0, s4, s6
	s_mul_hi_u32 s1, s6, 3
	s_mul_i32 s6, s6, 3
	s_addc_u32 s2, s5, 0
	s_add_u32 s0, s0, s6
	s_addc_u32 s1, s2, s1
	s_load_dword s14, s[0:1], 0x6e0
	s_mov_b32 s17, 0
	s_mov_b32 s19, s17
	;; [unrolled: 1-line block ×3, first 2 shown]
	s_waitcnt lgkmcnt(0)
	s_ashr_i32 s15, s14, 31
	s_lshl_b64 s[12:13], s[14:15], 19
	s_waitcnt vmcnt(0)
	v_readfirstlane_b32 s0, v1
	s_lshl_b32 s16, s0, 3
	s_load_dwordx2 s[8:9], s[4:5], s16 offset:0x0
	s_load_dwordx2 s[10:11], s[4:5], 0xbf0
	s_load_dwordx2 s[22:23], s[4:5], s16 offset:0x480
	s_load_dwordx2 s[6:7], s[4:5], s16 offset:0x120
	;; [unrolled: 1-line block ×4, first 2 shown]
	s_waitcnt lgkmcnt(0)
	s_add_u32 s24, s8, s12
	s_addc_u32 s25, s9, s13
	s_and_b32 s16, s24, 31
	s_add_u32 s26, s6, s12
	s_addc_u32 s27, s7, s13
	s_and_b32 s18, s26, 31
	s_cmp_eq_u64 s[18:19], 0
	s_cselect_b64 s[18:19], -1, 0
	s_add_u32 s28, s2, s12
	s_addc_u32 s29, s3, s13
	s_add_u32 s30, s0, s12
	s_addc_u32 s31, s1, s13
	s_or_b32 s20, s30, s28
	s_and_b32 s20, s20, 31
	s_cmp_eq_u32 s20, 0
	s_cselect_b64 s[34:35], -1, 0
	s_lshl_b64 s[14:15], s[14:15], 16
	s_and_b64 s[18:19], s[34:35], s[18:19]
	s_sub_u32 s14, s22, s14
	s_subb_u32 s15, s23, s15
	s_and_b32 s20, s22, 3
	s_or_b64 s[16:17], s[16:17], s[20:21]
	s_cmp_eq_u64 s[16:17], 0
	s_cselect_b64 s[16:17], -1, 0
	s_and_b64 s[18:19], s[18:19], s[16:17]
	s_mov_b64 s[16:17], -1
	s_and_b64 vcc, exec, s[18:19]
	s_cbranch_vccnz .LBB3_29
; %bb.1:
	v_cmp_lt_i64_e64 s[16:17], s[14:15], 1
	s_and_b64 vcc, exec, s[16:17]
	s_cbranch_vccnz .LBB3_28
; %bb.2:
	v_mov_b32_e32 v1, 0x10000
	s_load_dword s18, s[4:5], 0xc04
	v_mov_b32_e32 v2, 0
	v_cmp_lt_i64_e32 vcc, s[14:15], v[1:2]
	v_mov_b32_e32 v3, 0
	s_and_b64 s[16:17], vcc, exec
	s_cselect_b32 s17, s15, 0
	s_cselect_b32 s16, s14, 0x10000
	v_cmp_lt_u64_e32 vcc, s[14:15], v[1:2]
	s_waitcnt lgkmcnt(0)
	s_and_b32 s22, s18, 0xffff
	v_lshlrev_b32_e32 v2, 3, v0
	v_mad_u64_u32 v[3:4], s[20:21], s22, 24, v[2:3]
	s_and_b64 s[18:19], vcc, exec
	v_mov_b32_e32 v7, s9
	v_add_co_u32_e32 v25, vcc, s8, v3
	v_addc_co_u32_e32 v26, vcc, v7, v4, vcc
	v_mov_b32_e32 v7, s7
	v_add_co_u32_e32 v27, vcc, s6, v3
	v_addc_co_u32_e32 v28, vcc, v7, v4, vcc
	;; [unrolled: 3-line block ×3, first 2 shown]
	v_mov_b32_e32 v7, s1
	v_add_co_u32_e32 v31, vcc, s0, v3
	s_cselect_b32 s19, s15, 0
	s_cselect_b32 s18, s14, 0x10000
	v_addc_co_u32_e32 v32, vcc, v7, v4, vcc
	s_lshl_b32 s20, s22, 4
	v_add_co_u32_e32 v4, vcc, s20, v2
	v_addc_co_u32_e64 v7, s[20:21], 0, 0, vcc
	v_mov_b32_e32 v8, s9
	v_add_co_u32_e32 v33, vcc, s8, v4
	v_addc_co_u32_e32 v34, vcc, v8, v7, vcc
	v_mov_b32_e32 v8, s7
	v_add_co_u32_e32 v35, vcc, s6, v4
	v_addc_co_u32_e32 v36, vcc, v8, v7, vcc
	;; [unrolled: 3-line block ×8, first 2 shown]
	v_add_co_u32_e32 v49, vcc, s22, v0
	v_lshlrev_b32_e32 v1, 3, v49
	v_addc_co_u32_e64 v50, s[20:21], 0, 0, vcc
	v_mov_b32_e32 v2, s9
	v_add_co_u32_e32 v51, vcc, s8, v1
	v_addc_co_u32_e32 v52, vcc, 0, v2, vcc
	v_mov_b32_e32 v2, s7
	v_add_co_u32_e32 v53, vcc, s6, v1
	v_addc_co_u32_e32 v54, vcc, 0, v2, vcc
	v_mov_b32_e32 v2, s3
	v_add_co_u32_e32 v55, vcc, s2, v1
	v_addc_co_u32_e32 v56, vcc, 0, v2, vcc
	v_mov_b32_e32 v2, s1
	v_add_co_u32_e32 v57, vcc, s0, v1
	s_mul_i32 s35, s22, 3
	v_addc_co_u32_e32 v58, vcc, 0, v2, vcc
	s_lshl_b32 s23, s22, 1
	v_add_co_u32_e32 v59, vcc, s35, v0
	v_addc_co_u32_e64 v60, s[0:1], 0, 0, vcc
	v_add_co_u32_e32 v61, vcc, s23, v0
	s_lshl_b32 s33, s22, 2
	s_lshl_b32 s34, s22, 5
	s_mov_b64 s[20:21], 0
	v_addc_co_u32_e64 v62, s[0:1], 0, 0, vcc
	s_branch .LBB3_4
.LBB3_3:                                ;   in Loop: Header=BB3_4 Depth=1
	s_or_b64 exec, exec, s[0:1]
	v_add_co_u32_e32 v41, vcc, s34, v41
	v_addc_co_u32_e32 v42, vcc, 0, v42, vcc
	v_add_co_u32_e32 v43, vcc, s34, v43
	v_addc_co_u32_e32 v44, vcc, 0, v44, vcc
	;; [unrolled: 2-line block ×14, first 2 shown]
	s_add_u32 s20, s20, s33
	v_add_co_u32_e32 v55, vcc, s34, v55
	s_waitcnt vmcnt(0)
	v_mov_b32_e32 v1, s16
	s_addc_u32 s21, s21, 0
	v_addc_co_u32_e32 v56, vcc, 0, v56, vcc
	v_mov_b32_e32 v2, s17
	v_cmp_lt_i64_e32 vcc, s[20:21], v[1:2]
	v_add_co_u32_e64 v57, s[0:1], s34, v57
	v_addc_co_u32_e64 v58, s[0:1], 0, v58, s[0:1]
	s_cbranch_vccz .LBB3_28
.LBB3_4:                                ; =>This Inner Loop Header: Depth=1
	v_mov_b32_e32 v2, s21
	v_add_co_u32_e32 v1, vcc, s20, v0
	v_addc_co_u32_e32 v2, vcc, 0, v2, vcc
	v_cmp_gt_u64_e32 vcc, s[18:19], v[1:2]
	v_mov_b32_e32 v1, 0
	v_mov_b32_e32 v5, 0
	;; [unrolled: 1-line block ×6, first 2 shown]
	s_and_saveexec_b64 s[2:3], vcc
	s_cbranch_execz .LBB3_6
; %bb.5:                                ;   in Loop: Header=BB3_4 Depth=1
	v_mov_b32_e32 v3, s13
	v_add_co_u32_e64 v7, s[0:1], s12, v41
	v_addc_co_u32_e64 v8, s[0:1], v42, v3, s[0:1]
	v_add_co_u32_e64 v9, s[0:1], s12, v43
	v_addc_co_u32_e64 v10, s[0:1], v44, v3, s[0:1]
	global_load_dwordx2 v[3:4], v[7:8], off
	global_load_dwordx2 v[5:6], v[9:10], off
.LBB3_6:                                ;   in Loop: Header=BB3_4 Depth=1
	s_or_b64 exec, exec, s[2:3]
	s_and_saveexec_b64 s[2:3], vcc
	s_cbranch_execz .LBB3_8
; %bb.7:                                ;   in Loop: Header=BB3_4 Depth=1
	v_mov_b32_e32 v2, s13
	v_add_co_u32_e64 v1, s[0:1], s12, v45
	v_addc_co_u32_e64 v2, s[0:1], v46, v2, s[0:1]
	global_load_dwordx2 v[1:2], v[1:2], off
.LBB3_8:                                ;   in Loop: Header=BB3_4 Depth=1
	s_or_b64 exec, exec, s[2:3]
	v_mov_b32_e32 v8, s21
	v_add_co_u32_e64 v7, s[0:1], s20, v49
	v_addc_co_u32_e64 v8, s[0:1], v50, v8, s[0:1]
	v_cmp_gt_u64_e64 s[0:1], s[18:19], v[7:8]
	v_mov_b32_e32 v7, 0
	v_mov_b32_e32 v11, 0
	;; [unrolled: 1-line block ×6, first 2 shown]
	s_and_saveexec_b64 s[6:7], s[0:1]
	s_cbranch_execz .LBB3_10
; %bb.9:                                ;   in Loop: Header=BB3_4 Depth=1
	v_mov_b32_e32 v9, s13
	v_add_co_u32_e64 v13, s[2:3], s12, v51
	v_addc_co_u32_e64 v14, s[2:3], v52, v9, s[2:3]
	v_add_co_u32_e64 v15, s[2:3], s12, v53
	v_addc_co_u32_e64 v16, s[2:3], v54, v9, s[2:3]
	global_load_dwordx2 v[9:10], v[13:14], off
	global_load_dwordx2 v[11:12], v[15:16], off
.LBB3_10:                               ;   in Loop: Header=BB3_4 Depth=1
	s_or_b64 exec, exec, s[6:7]
	s_and_saveexec_b64 s[6:7], s[0:1]
	s_cbranch_execz .LBB3_12
; %bb.11:                               ;   in Loop: Header=BB3_4 Depth=1
	v_mov_b32_e32 v8, s13
	v_add_co_u32_e64 v7, s[2:3], s12, v55
	v_addc_co_u32_e64 v8, s[2:3], v56, v8, s[2:3]
	global_load_dwordx2 v[7:8], v[7:8], off
.LBB3_12:                               ;   in Loop: Header=BB3_4 Depth=1
	s_or_b64 exec, exec, s[6:7]
	v_mov_b32_e32 v14, s21
	v_add_co_u32_e64 v13, s[2:3], s20, v61
	v_addc_co_u32_e64 v14, s[2:3], v62, v14, s[2:3]
	v_cmp_gt_u64_e64 s[2:3], s[18:19], v[13:14]
	v_mov_b32_e32 v13, 0
	v_mov_b32_e32 v17, 0
	;; [unrolled: 1-line block ×6, first 2 shown]
	s_and_saveexec_b64 s[8:9], s[2:3]
	s_cbranch_execz .LBB3_14
; %bb.13:                               ;   in Loop: Header=BB3_4 Depth=1
	v_mov_b32_e32 v15, s13
	v_add_co_u32_e64 v19, s[6:7], s12, v33
	v_addc_co_u32_e64 v20, s[6:7], v34, v15, s[6:7]
	v_add_co_u32_e64 v21, s[6:7], s12, v35
	v_addc_co_u32_e64 v22, s[6:7], v36, v15, s[6:7]
	global_load_dwordx2 v[15:16], v[19:20], off
	global_load_dwordx2 v[17:18], v[21:22], off
.LBB3_14:                               ;   in Loop: Header=BB3_4 Depth=1
	s_or_b64 exec, exec, s[8:9]
	s_and_saveexec_b64 s[8:9], s[2:3]
	s_cbranch_execz .LBB3_16
; %bb.15:                               ;   in Loop: Header=BB3_4 Depth=1
	v_mov_b32_e32 v14, s13
	v_add_co_u32_e64 v13, s[6:7], s12, v37
	v_addc_co_u32_e64 v14, s[6:7], v38, v14, s[6:7]
	global_load_dwordx2 v[13:14], v[13:14], off
.LBB3_16:                               ;   in Loop: Header=BB3_4 Depth=1
	s_or_b64 exec, exec, s[8:9]
	v_mov_b32_e32 v20, s21
	v_add_co_u32_e64 v19, s[6:7], s20, v59
	v_addc_co_u32_e64 v20, s[6:7], v60, v20, s[6:7]
	v_cmp_gt_u64_e64 s[6:7], s[18:19], v[19:20]
	v_mov_b32_e32 v19, 0
	v_mov_b32_e32 v23, 0
	;; [unrolled: 1-line block ×6, first 2 shown]
	s_and_saveexec_b64 s[22:23], s[6:7]
	s_cbranch_execnz .LBB3_22
; %bb.17:                               ;   in Loop: Header=BB3_4 Depth=1
	s_or_b64 exec, exec, s[22:23]
	s_and_saveexec_b64 s[22:23], s[6:7]
	s_cbranch_execnz .LBB3_23
.LBB3_18:                               ;   in Loop: Header=BB3_4 Depth=1
	s_or_b64 exec, exec, s[22:23]
	s_and_saveexec_b64 s[8:9], vcc
	s_cbranch_execnz .LBB3_24
.LBB3_19:                               ;   in Loop: Header=BB3_4 Depth=1
	s_or_b64 exec, exec, s[8:9]
	s_and_saveexec_b64 s[8:9], s[0:1]
	s_cbranch_execnz .LBB3_25
.LBB3_20:                               ;   in Loop: Header=BB3_4 Depth=1
	s_or_b64 exec, exec, s[8:9]
	s_and_saveexec_b64 s[0:1], s[2:3]
	s_cbranch_execnz .LBB3_26
.LBB3_21:                               ;   in Loop: Header=BB3_4 Depth=1
	s_or_b64 exec, exec, s[0:1]
	s_and_saveexec_b64 s[0:1], s[6:7]
	s_cbranch_execz .LBB3_3
	s_branch .LBB3_27
.LBB3_22:                               ;   in Loop: Header=BB3_4 Depth=1
	v_mov_b32_e32 v24, s13
	v_add_co_u32_e64 v21, s[8:9], s12, v25
	v_addc_co_u32_e64 v22, s[8:9], v26, v24, s[8:9]
	v_add_co_u32_e64 v23, s[8:9], s12, v27
	v_addc_co_u32_e64 v24, s[8:9], v28, v24, s[8:9]
	global_load_dwordx2 v[21:22], v[21:22], off
	s_nop 0
	global_load_dwordx2 v[23:24], v[23:24], off
	s_or_b64 exec, exec, s[22:23]
	s_and_saveexec_b64 s[22:23], s[6:7]
	s_cbranch_execz .LBB3_18
.LBB3_23:                               ;   in Loop: Header=BB3_4 Depth=1
	v_mov_b32_e32 v20, s13
	v_add_co_u32_e64 v19, s[8:9], s12, v29
	v_addc_co_u32_e64 v20, s[8:9], v30, v20, s[8:9]
	global_load_dwordx2 v[19:20], v[19:20], off
	s_or_b64 exec, exec, s[22:23]
	s_and_saveexec_b64 s[8:9], vcc
	s_cbranch_execz .LBB3_19
.LBB3_24:                               ;   in Loop: Header=BB3_4 Depth=1
	s_waitcnt vmcnt(0)
	v_mul_lo_u32 v63, v6, s10
	v_mul_lo_u32 v64, v5, s11
	v_mad_u64_u32 v[5:6], s[22:23], v5, s10, 0
	v_mov_b32_e32 v65, s13
	v_add3_u32 v6, v6, v64, v63
	v_mul_lo_u32 v6, v6, v1
	v_mul_lo_u32 v63, v5, v2
	v_mad_u64_u32 v[1:2], s[22:23], v5, v1, v[3:4]
	v_add_co_u32_e32 v3, vcc, s12, v47
	v_addc_co_u32_e32 v4, vcc, v48, v65, vcc
	v_add3_u32 v2, v6, v2, v63
	global_store_dwordx2 v[3:4], v[1:2], off
	s_or_b64 exec, exec, s[8:9]
	s_and_saveexec_b64 s[8:9], s[0:1]
	s_cbranch_execz .LBB3_20
.LBB3_25:                               ;   in Loop: Header=BB3_4 Depth=1
	s_waitcnt vmcnt(0)
	v_mul_lo_u32 v3, v12, s10
	v_mul_lo_u32 v4, v11, s11
	v_mad_u64_u32 v[1:2], s[0:1], v11, s10, 0
	v_add3_u32 v3, v2, v4, v3
	v_mul_lo_u32 v4, v1, v8
	v_mad_u64_u32 v[1:2], s[0:1], v1, v7, v[9:10]
	v_mul_lo_u32 v3, v3, v7
	v_add3_u32 v2, v3, v2, v4
	v_mov_b32_e32 v4, s13
	v_add_co_u32_e32 v3, vcc, s12, v57
	v_addc_co_u32_e32 v4, vcc, v58, v4, vcc
	global_store_dwordx2 v[3:4], v[1:2], off
	s_or_b64 exec, exec, s[8:9]
	s_and_saveexec_b64 s[0:1], s[2:3]
	s_cbranch_execz .LBB3_21
.LBB3_26:                               ;   in Loop: Header=BB3_4 Depth=1
	s_waitcnt vmcnt(0)
	v_mul_lo_u32 v3, v18, s10
	v_mul_lo_u32 v4, v17, s11
	v_mad_u64_u32 v[1:2], s[2:3], v17, s10, 0
	v_add3_u32 v3, v2, v4, v3
	v_mul_lo_u32 v4, v1, v14
	v_mad_u64_u32 v[1:2], s[2:3], v1, v13, v[15:16]
	v_mul_lo_u32 v3, v3, v13
	v_add3_u32 v2, v3, v2, v4
	v_mov_b32_e32 v4, s13
	v_add_co_u32_e32 v3, vcc, s12, v39
	v_addc_co_u32_e32 v4, vcc, v40, v4, vcc
	global_store_dwordx2 v[3:4], v[1:2], off
	s_or_b64 exec, exec, s[0:1]
	s_and_saveexec_b64 s[0:1], s[6:7]
	s_cbranch_execz .LBB3_3
.LBB3_27:                               ;   in Loop: Header=BB3_4 Depth=1
	s_waitcnt vmcnt(0)
	v_mul_lo_u32 v3, v24, s10
	v_mul_lo_u32 v4, v23, s11
	v_mad_u64_u32 v[1:2], s[2:3], v23, s10, 0
	v_add3_u32 v3, v2, v4, v3
	v_mul_lo_u32 v4, v1, v20
	v_mad_u64_u32 v[1:2], s[2:3], v1, v19, v[21:22]
	v_mul_lo_u32 v3, v3, v19
	v_add3_u32 v2, v3, v2, v4
	v_mov_b32_e32 v4, s13
	v_add_co_u32_e32 v3, vcc, s12, v31
	v_addc_co_u32_e32 v4, vcc, v32, v4, vcc
	global_store_dwordx2 v[3:4], v[1:2], off
	s_branch .LBB3_3
.LBB3_28:
	s_mov_b64 s[16:17], 0
.LBB3_29:
	s_andn2_b64 vcc, exec, s[16:17]
	s_cbranch_vccnz .LBB3_33
; %bb.30:
	v_mov_b32_e32 v1, 0x10000
	v_mov_b32_e32 v2, 0
	v_cmp_lt_i64_e32 vcc, s[14:15], v[1:2]
	v_mov_b32_e32 v2, 0
	s_and_b64 s[0:1], vcc, exec
	s_cselect_b32 s7, s15, 0
	s_cselect_b32 s6, s14, 0x10000
	v_lshlrev_b32_e32 v1, 2, v0
	v_cmp_gt_i64_e32 vcc, s[6:7], v[1:2]
	s_and_saveexec_b64 s[0:1], vcc
	s_cbranch_execz .LBB3_33
; %bb.31:
	s_load_dword s0, s[4:5], 0xc04
	v_mov_b32_e32 v1, v2
	v_lshlrev_b32_e32 v2, 5, v0
	s_mov_b64 s[4:5], 0
	s_waitcnt lgkmcnt(0)
	s_and_b32 s8, s0, 0xffff
	s_lshl_b32 s9, s8, 5
.LBB3_32:                               ; =>This Inner Loop Header: Depth=1
	v_mov_b32_e32 v4, s27
	v_add_co_u32_e32 v27, vcc, s26, v2
	v_mov_b32_e32 v3, s25
	v_mov_b32_e32 v5, s29
	v_add_co_u32_e64 v29, s[0:1], s28, v2
	v_add_co_u32_e64 v31, s[2:3], s24, v2
	v_addc_co_u32_e32 v28, vcc, 0, v4, vcc
	v_addc_co_u32_e64 v32, s[2:3], 0, v3, s[2:3]
	v_addc_co_u32_e64 v30, vcc, 0, v5, s[0:1]
	global_load_dwordx4 v[3:6], v[27:28], off
	global_load_dwordx4 v[7:10], v[27:28], off offset:16
	global_load_dwordx4 v[11:14], v[31:32], off
	global_load_dwordx4 v[15:18], v[29:30], off
	global_load_dwordx4 v[19:22], v[29:30], off offset:16
	global_load_dwordx4 v[23:26], v[31:32], off offset:16
	v_add_co_u32_e64 v0, s[0:1], s8, v0
	v_addc_co_u32_e64 v1, s[0:1], 0, v1, s[0:1]
	v_mov_b32_e32 v28, s31
	v_add_co_u32_e32 v27, vcc, s30, v2
	v_lshlrev_b64 v[29:30], 2, v[0:1]
	v_addc_co_u32_e32 v28, vcc, 0, v28, vcc
	v_cmp_le_i64_e32 vcc, s[6:7], v[29:30]
	s_add_u32 s30, s30, s9
	s_addc_u32 s31, s31, 0
	s_add_u32 s24, s24, s9
	s_addc_u32 s25, s25, 0
	;; [unrolled: 2-line block ×4, first 2 shown]
	s_or_b64 s[4:5], vcc, s[4:5]
	s_waitcnt vmcnt(5)
	v_mul_lo_u32 v33, v4, s10
	v_mul_lo_u32 v34, v3, s11
	v_mad_u64_u32 v[29:30], s[0:1], v3, s10, 0
	v_mul_lo_u32 v35, v6, s10
	v_mul_lo_u32 v36, v5, s11
	v_mad_u64_u32 v[31:32], s[0:1], v5, s10, 0
	s_waitcnt vmcnt(4)
	v_mul_lo_u32 v37, v8, s10
	v_mul_lo_u32 v38, v7, s11
	v_mad_u64_u32 v[7:8], s[0:1], v7, s10, 0
	v_mul_lo_u32 v39, v10, s10
	v_mul_lo_u32 v40, v9, s11
	v_mad_u64_u32 v[9:10], s[0:1], v9, s10, 0
	s_waitcnt vmcnt(2)
	v_mad_u64_u32 v[3:4], s[0:1], v29, v15, v[11:12]
	v_mad_u64_u32 v[5:6], s[0:1], v31, v17, v[13:14]
	v_add3_u32 v11, v30, v34, v33
	v_add3_u32 v13, v32, v36, v35
	v_mul_lo_u32 v12, v29, v16
	v_mul_lo_u32 v14, v31, v18
	v_add3_u32 v16, v8, v38, v37
	s_waitcnt vmcnt(1)
	v_mul_lo_u32 v18, v7, v20
	v_add3_u32 v20, v10, v40, v39
	v_mul_lo_u32 v11, v11, v15
	v_mul_lo_u32 v13, v13, v17
	s_waitcnt vmcnt(0)
	v_mad_u64_u32 v[7:8], s[0:1], v7, v19, v[23:24]
	v_mul_lo_u32 v22, v9, v22
	v_mad_u64_u32 v[9:10], s[0:1], v9, v21, v[25:26]
	v_mul_lo_u32 v15, v16, v19
	v_mul_lo_u32 v16, v20, v21
	v_add3_u32 v4, v11, v4, v12
	v_add3_u32 v6, v13, v6, v14
	;; [unrolled: 1-line block ×4, first 2 shown]
	global_store_dwordx4 v[27:28], v[3:6], off
	global_store_dwordx4 v[27:28], v[7:10], off offset:16
	s_andn2_b64 exec, exec, s[4:5]
	s_cbranch_execnz .LBB3_32
.LBB3_33:
	s_endpgm
	.section	.rodata,"a",@progbits
	.p2align	6, 0x0
	.amdhsa_kernel _ZN2at6native12_GLOBAL__N_125multi_tensor_apply_kernelINS1_18TensorListMetadataILi4EEENS1_24PointwiseOpScalarFunctorIlLi4ELi3ELi3EEEJSt10multipliesIlElEEEvT_T0_DpT1_
		.amdhsa_group_segment_fixed_size 0
		.amdhsa_private_segment_fixed_size 0
		.amdhsa_kernarg_size 3320
		.amdhsa_user_sgpr_count 6
		.amdhsa_user_sgpr_private_segment_buffer 1
		.amdhsa_user_sgpr_dispatch_ptr 0
		.amdhsa_user_sgpr_queue_ptr 0
		.amdhsa_user_sgpr_kernarg_segment_ptr 1
		.amdhsa_user_sgpr_dispatch_id 0
		.amdhsa_user_sgpr_flat_scratch_init 0
		.amdhsa_user_sgpr_private_segment_size 0
		.amdhsa_uses_dynamic_stack 0
		.amdhsa_system_sgpr_private_segment_wavefront_offset 0
		.amdhsa_system_sgpr_workgroup_id_x 1
		.amdhsa_system_sgpr_workgroup_id_y 0
		.amdhsa_system_sgpr_workgroup_id_z 0
		.amdhsa_system_sgpr_workgroup_info 0
		.amdhsa_system_vgpr_workitem_id 0
		.amdhsa_next_free_vgpr 66
		.amdhsa_next_free_sgpr 36
		.amdhsa_reserve_vcc 1
		.amdhsa_reserve_flat_scratch 0
		.amdhsa_float_round_mode_32 0
		.amdhsa_float_round_mode_16_64 0
		.amdhsa_float_denorm_mode_32 3
		.amdhsa_float_denorm_mode_16_64 3
		.amdhsa_dx10_clamp 1
		.amdhsa_ieee_mode 1
		.amdhsa_fp16_overflow 0
		.amdhsa_exception_fp_ieee_invalid_op 0
		.amdhsa_exception_fp_denorm_src 0
		.amdhsa_exception_fp_ieee_div_zero 0
		.amdhsa_exception_fp_ieee_overflow 0
		.amdhsa_exception_fp_ieee_underflow 0
		.amdhsa_exception_fp_ieee_inexact 0
		.amdhsa_exception_int_div_zero 0
	.end_amdhsa_kernel
	.section	.text._ZN2at6native12_GLOBAL__N_125multi_tensor_apply_kernelINS1_18TensorListMetadataILi4EEENS1_24PointwiseOpScalarFunctorIlLi4ELi3ELi3EEEJSt10multipliesIlElEEEvT_T0_DpT1_,"axG",@progbits,_ZN2at6native12_GLOBAL__N_125multi_tensor_apply_kernelINS1_18TensorListMetadataILi4EEENS1_24PointwiseOpScalarFunctorIlLi4ELi3ELi3EEEJSt10multipliesIlElEEEvT_T0_DpT1_,comdat
.Lfunc_end3:
	.size	_ZN2at6native12_GLOBAL__N_125multi_tensor_apply_kernelINS1_18TensorListMetadataILi4EEENS1_24PointwiseOpScalarFunctorIlLi4ELi3ELi3EEEJSt10multipliesIlElEEEvT_T0_DpT1_, .Lfunc_end3-_ZN2at6native12_GLOBAL__N_125multi_tensor_apply_kernelINS1_18TensorListMetadataILi4EEENS1_24PointwiseOpScalarFunctorIlLi4ELi3ELi3EEEJSt10multipliesIlElEEEvT_T0_DpT1_
                                        ; -- End function
	.set _ZN2at6native12_GLOBAL__N_125multi_tensor_apply_kernelINS1_18TensorListMetadataILi4EEENS1_24PointwiseOpScalarFunctorIlLi4ELi3ELi3EEEJSt10multipliesIlElEEEvT_T0_DpT1_.num_vgpr, 66
	.set _ZN2at6native12_GLOBAL__N_125multi_tensor_apply_kernelINS1_18TensorListMetadataILi4EEENS1_24PointwiseOpScalarFunctorIlLi4ELi3ELi3EEEJSt10multipliesIlElEEEvT_T0_DpT1_.num_agpr, 0
	.set _ZN2at6native12_GLOBAL__N_125multi_tensor_apply_kernelINS1_18TensorListMetadataILi4EEENS1_24PointwiseOpScalarFunctorIlLi4ELi3ELi3EEEJSt10multipliesIlElEEEvT_T0_DpT1_.numbered_sgpr, 36
	.set _ZN2at6native12_GLOBAL__N_125multi_tensor_apply_kernelINS1_18TensorListMetadataILi4EEENS1_24PointwiseOpScalarFunctorIlLi4ELi3ELi3EEEJSt10multipliesIlElEEEvT_T0_DpT1_.num_named_barrier, 0
	.set _ZN2at6native12_GLOBAL__N_125multi_tensor_apply_kernelINS1_18TensorListMetadataILi4EEENS1_24PointwiseOpScalarFunctorIlLi4ELi3ELi3EEEJSt10multipliesIlElEEEvT_T0_DpT1_.private_seg_size, 0
	.set _ZN2at6native12_GLOBAL__N_125multi_tensor_apply_kernelINS1_18TensorListMetadataILi4EEENS1_24PointwiseOpScalarFunctorIlLi4ELi3ELi3EEEJSt10multipliesIlElEEEvT_T0_DpT1_.uses_vcc, 1
	.set _ZN2at6native12_GLOBAL__N_125multi_tensor_apply_kernelINS1_18TensorListMetadataILi4EEENS1_24PointwiseOpScalarFunctorIlLi4ELi3ELi3EEEJSt10multipliesIlElEEEvT_T0_DpT1_.uses_flat_scratch, 0
	.set _ZN2at6native12_GLOBAL__N_125multi_tensor_apply_kernelINS1_18TensorListMetadataILi4EEENS1_24PointwiseOpScalarFunctorIlLi4ELi3ELi3EEEJSt10multipliesIlElEEEvT_T0_DpT1_.has_dyn_sized_stack, 0
	.set _ZN2at6native12_GLOBAL__N_125multi_tensor_apply_kernelINS1_18TensorListMetadataILi4EEENS1_24PointwiseOpScalarFunctorIlLi4ELi3ELi3EEEJSt10multipliesIlElEEEvT_T0_DpT1_.has_recursion, 0
	.set _ZN2at6native12_GLOBAL__N_125multi_tensor_apply_kernelINS1_18TensorListMetadataILi4EEENS1_24PointwiseOpScalarFunctorIlLi4ELi3ELi3EEEJSt10multipliesIlElEEEvT_T0_DpT1_.has_indirect_call, 0
	.section	.AMDGPU.csdata,"",@progbits
; Kernel info:
; codeLenInByte = 2448
; TotalNumSgprs: 40
; NumVgprs: 66
; ScratchSize: 0
; MemoryBound: 0
; FloatMode: 240
; IeeeMode: 1
; LDSByteSize: 0 bytes/workgroup (compile time only)
; SGPRBlocks: 4
; VGPRBlocks: 16
; NumSGPRsForWavesPerEU: 40
; NumVGPRsForWavesPerEU: 66
; Occupancy: 3
; WaveLimiterHint : 0
; COMPUTE_PGM_RSRC2:SCRATCH_EN: 0
; COMPUTE_PGM_RSRC2:USER_SGPR: 6
; COMPUTE_PGM_RSRC2:TRAP_HANDLER: 0
; COMPUTE_PGM_RSRC2:TGID_X_EN: 1
; COMPUTE_PGM_RSRC2:TGID_Y_EN: 0
; COMPUTE_PGM_RSRC2:TGID_Z_EN: 0
; COMPUTE_PGM_RSRC2:TIDIG_COMP_CNT: 0
	.section	.text._ZN2at6native12_GLOBAL__N_125multi_tensor_apply_kernelINS1_18TensorListMetadataILi4EEENS1_24PointwiseOpScalarFunctorIsLi4ELi3ELi3EEEJSt10multipliesIsEsEEEvT_T0_DpT1_,"axG",@progbits,_ZN2at6native12_GLOBAL__N_125multi_tensor_apply_kernelINS1_18TensorListMetadataILi4EEENS1_24PointwiseOpScalarFunctorIsLi4ELi3ELi3EEEJSt10multipliesIsEsEEEvT_T0_DpT1_,comdat
	.globl	_ZN2at6native12_GLOBAL__N_125multi_tensor_apply_kernelINS1_18TensorListMetadataILi4EEENS1_24PointwiseOpScalarFunctorIsLi4ELi3ELi3EEEJSt10multipliesIsEsEEEvT_T0_DpT1_ ; -- Begin function _ZN2at6native12_GLOBAL__N_125multi_tensor_apply_kernelINS1_18TensorListMetadataILi4EEENS1_24PointwiseOpScalarFunctorIsLi4ELi3ELi3EEEJSt10multipliesIsEsEEEvT_T0_DpT1_
	.p2align	8
	.type	_ZN2at6native12_GLOBAL__N_125multi_tensor_apply_kernelINS1_18TensorListMetadataILi4EEENS1_24PointwiseOpScalarFunctorIsLi4ELi3ELi3EEEJSt10multipliesIsEsEEEvT_T0_DpT1_,@function
_ZN2at6native12_GLOBAL__N_125multi_tensor_apply_kernelINS1_18TensorListMetadataILi4EEENS1_24PointwiseOpScalarFunctorIsLi4ELi3ELi3EEEJSt10multipliesIsEsEEEvT_T0_DpT1_: ; @_ZN2at6native12_GLOBAL__N_125multi_tensor_apply_kernelINS1_18TensorListMetadataILi4EEENS1_24PointwiseOpScalarFunctorIsLi4ELi3ELi3EEEJSt10multipliesIsEsEEEvT_T0_DpT1_
; %bb.0:
	v_mov_b32_e32 v1, s6
	global_load_ubyte v1, v1, s[4:5] offset:1440
	s_load_dword s0, s[4:5], 0xbe8
	s_mul_i32 s7, s6, 3
	s_mul_hi_u32 s2, s6, 3
	s_mov_b32 s1, 0
	s_mov_b32 s3, s1
	s_waitcnt lgkmcnt(0)
	s_lshr_b32 s30, s0, 16
	s_add_u32 s0, s4, s6
	s_addc_u32 s8, s5, 0
	s_add_u32 s6, s0, s7
	s_addc_u32 s7, s8, s2
	s_load_dword s6, s[6:7], 0x6e0
	s_mov_b32 s9, s1
	s_waitcnt vmcnt(0)
	v_readfirstlane_b32 s0, v1
	s_lshl_b32 s0, s0, 3
	s_load_dwordx2 s[22:23], s[4:5], s0 offset:0x480
	s_load_dwordx2 s[10:11], s[4:5], s0 offset:0x0
	;; [unrolled: 1-line block ×5, first 2 shown]
	s_waitcnt lgkmcnt(0)
	s_ashr_i32 s7, s6, 31
	s_lshl_b64 s[18:19], s[6:7], 17
	s_add_u32 s2, s12, s18
	s_and_b32 s0, s10, 7
	s_and_b32 s2, s2, 7
	s_cmp_eq_u64 s[2:3], 0
	s_cselect_b64 s[2:3], -1, 0
	s_add_u32 s8, s14, s18
	s_or_b32 s8, s16, s8
	s_and_b32 s8, s8, 7
	s_cmp_eq_u32 s8, 0
	s_cselect_b64 s[20:21], -1, 0
	s_lshl_b64 s[6:7], s[6:7], 16
	s_and_b64 s[2:3], s[20:21], s[2:3]
	s_sub_u32 s20, s22, s6
	s_subb_u32 s21, s23, s7
	s_and_b32 s8, s22, 3
	s_or_b64 s[0:1], s[0:1], s[8:9]
	s_cmp_eq_u64 s[0:1], 0
	s_cselect_b64 s[0:1], -1, 0
	s_and_b64 s[2:3], s[2:3], s[0:1]
	s_mov_b64 s[0:1], -1
	s_and_b64 vcc, exec, s[2:3]
	s_cbranch_vccnz .LBB4_29
; %bb.1:
	v_cmp_lt_i64_e64 s[0:1], s[20:21], 1
	s_and_b64 vcc, exec, s[0:1]
	s_cbranch_vccnz .LBB4_28
; %bb.2:
	v_mov_b32_e32 v1, 0x10000
	s_load_dword s2, s[4:5], 0xbfc
	v_mov_b32_e32 v2, 0
	v_cmp_lt_i64_e32 vcc, s[20:21], v[1:2]
	v_mov_b32_e32 v24, 0
	s_and_b64 s[0:1], vcc, exec
	s_cselect_b32 s23, s21, 0
	s_cselect_b32 s22, s20, 0x10000
	s_waitcnt lgkmcnt(0)
	s_and_b32 s2, s2, 0xffff
	v_lshlrev_b32_e32 v23, 1, v0
	v_mad_u64_u32 v[7:8], s[0:1], s2, 6, v[23:24]
	v_cmp_lt_u64_e32 vcc, s[20:21], v[1:2]
	v_mov_b32_e32 v2, s11
	s_and_b64 s[0:1], vcc, exec
	v_add_co_u32_e32 v1, vcc, s10, v7
	v_addc_co_u32_e32 v2, vcc, v2, v8, vcc
	v_mov_b32_e32 v4, s13
	v_add_co_u32_e32 v3, vcc, s12, v7
	v_addc_co_u32_e32 v4, vcc, v4, v8, vcc
	v_mov_b32_e32 v6, s15
	;; [unrolled: 3-line block ×3, first 2 shown]
	v_add_co_u32_e32 v7, vcc, s16, v7
	s_cselect_b32 s25, s21, 0
	s_cselect_b32 s24, s20, 0x10000
	s_lshl_b32 s31, s2, 2
	v_addc_co_u32_e32 v8, vcc, v9, v8, vcc
	v_add_co_u32_e32 v15, vcc, s31, v23
	v_addc_co_u32_e64 v16, s[0:1], 0, 0, vcc
	v_mov_b32_e32 v10, s11
	v_add_co_u32_e32 v9, vcc, s10, v15
	v_addc_co_u32_e32 v10, vcc, v10, v16, vcc
	v_mov_b32_e32 v12, s13
	v_add_co_u32_e32 v11, vcc, s12, v15
	v_addc_co_u32_e32 v12, vcc, v12, v16, vcc
	;; [unrolled: 3-line block ×8, first 2 shown]
	v_add_co_u32_e32 v25, vcc, s2, v0
	v_lshlrev_b32_e32 v33, 1, v25
	v_addc_co_u32_e64 v26, s[0:1], 0, 0, vcc
	v_mov_b32_e32 v28, s11
	v_add_co_u32_e32 v27, vcc, s10, v33
	v_addc_co_u32_e32 v28, vcc, 0, v28, vcc
	v_mov_b32_e32 v30, s13
	v_add_co_u32_e32 v29, vcc, s12, v33
	v_addc_co_u32_e32 v30, vcc, 0, v30, vcc
	;; [unrolled: 3-line block ×3, first 2 shown]
	v_mov_b32_e32 v34, s17
	v_add_co_u32_e32 v33, vcc, s16, v33
	s_mul_i32 s6, s2, 3
	v_addc_co_u32_e32 v34, vcc, 0, v34, vcc
	s_lshl_b32 s3, s2, 1
	v_add_co_u32_e32 v35, vcc, s6, v0
	v_addc_co_u32_e64 v36, s[0:1], 0, 0, vcc
	v_add_co_u32_e32 v37, vcc, s3, v0
	s_lshl_b32 s33, s2, 3
	s_mov_b64 s[26:27], 0
	v_addc_co_u32_e64 v38, s[0:1], 0, 0, vcc
	s_branch .LBB4_4
.LBB4_3:                                ;   in Loop: Header=BB4_4 Depth=1
	s_or_b64 exec, exec, s[0:1]
	v_add_co_u32_e32 v17, vcc, s33, v17
	v_addc_co_u32_e32 v18, vcc, 0, v18, vcc
	v_add_co_u32_e32 v19, vcc, s33, v19
	v_addc_co_u32_e32 v20, vcc, 0, v20, vcc
	;; [unrolled: 2-line block ×14, first 2 shown]
	s_add_u32 s26, s26, s31
	v_add_co_u32_e32 v31, vcc, s33, v31
	s_waitcnt vmcnt(0)
	v_mov_b32_e32 v40, s23
	s_addc_u32 s27, s27, 0
	v_addc_co_u32_e32 v32, vcc, 0, v32, vcc
	v_mov_b32_e32 v39, s22
	v_cmp_lt_i64_e32 vcc, s[26:27], v[39:40]
	v_add_co_u32_e64 v33, s[0:1], s33, v33
	v_addc_co_u32_e64 v34, s[0:1], 0, v34, s[0:1]
	s_cbranch_vccz .LBB4_28
.LBB4_4:                                ; =>This Inner Loop Header: Depth=1
	v_mov_b32_e32 v40, s27
	v_add_co_u32_e32 v39, vcc, s26, v0
	v_addc_co_u32_e32 v40, vcc, 0, v40, vcc
	v_cmp_gt_u64_e32 vcc, s[24:25], v[39:40]
	v_mov_b32_e32 v40, 0
	v_mov_b32_e32 v39, 0
	s_and_saveexec_b64 s[2:3], vcc
	s_cbranch_execz .LBB4_6
; %bb.5:                                ;   in Loop: Header=BB4_4 Depth=1
	v_mov_b32_e32 v39, s19
	v_add_co_u32_e64 v41, s[0:1], s18, v17
	v_addc_co_u32_e64 v42, s[0:1], v18, v39, s[0:1]
	v_add_co_u32_e64 v43, s[0:1], s18, v19
	v_addc_co_u32_e64 v44, s[0:1], v20, v39, s[0:1]
	global_load_ushort v39, v[41:42], off
	global_load_ushort v40, v[43:44], off
.LBB4_6:                                ;   in Loop: Header=BB4_4 Depth=1
	s_or_b64 exec, exec, s[2:3]
	v_mov_b32_e32 v41, 0
	v_mov_b32_e32 v42, 0
	s_and_saveexec_b64 s[2:3], vcc
	s_cbranch_execz .LBB4_8
; %bb.7:                                ;   in Loop: Header=BB4_4 Depth=1
	v_mov_b32_e32 v43, s19
	v_add_co_u32_e64 v42, s[0:1], s18, v21
	v_addc_co_u32_e64 v43, s[0:1], v22, v43, s[0:1]
	global_load_ushort v42, v[42:43], off
.LBB4_8:                                ;   in Loop: Header=BB4_4 Depth=1
	s_or_b64 exec, exec, s[2:3]
	v_mov_b32_e32 v44, s27
	v_add_co_u32_e64 v43, s[0:1], s26, v25
	v_addc_co_u32_e64 v44, s[0:1], v26, v44, s[0:1]
	v_cmp_gt_u64_e64 s[0:1], s[24:25], v[43:44]
	v_mov_b32_e32 v43, 0
	s_and_saveexec_b64 s[6:7], s[0:1]
	s_cbranch_execz .LBB4_10
; %bb.9:                                ;   in Loop: Header=BB4_4 Depth=1
	v_mov_b32_e32 v41, s19
	v_add_co_u32_e64 v44, s[2:3], s18, v29
	v_addc_co_u32_e64 v45, s[2:3], v30, v41, s[2:3]
	v_add_co_u32_e64 v46, s[2:3], s18, v27
	v_addc_co_u32_e64 v47, s[2:3], v28, v41, s[2:3]
	global_load_ushort v43, v[46:47], off
	global_load_ushort v41, v[44:45], off
.LBB4_10:                               ;   in Loop: Header=BB4_4 Depth=1
	s_or_b64 exec, exec, s[6:7]
	v_mov_b32_e32 v44, 0
	v_mov_b32_e32 v45, 0
	s_and_saveexec_b64 s[6:7], s[0:1]
	s_cbranch_execz .LBB4_12
; %bb.11:                               ;   in Loop: Header=BB4_4 Depth=1
	v_mov_b32_e32 v46, s19
	v_add_co_u32_e64 v45, s[2:3], s18, v31
	v_addc_co_u32_e64 v46, s[2:3], v32, v46, s[2:3]
	global_load_ushort v45, v[45:46], off
.LBB4_12:                               ;   in Loop: Header=BB4_4 Depth=1
	s_or_b64 exec, exec, s[6:7]
	v_mov_b32_e32 v47, s27
	v_add_co_u32_e64 v46, s[2:3], s26, v37
	v_addc_co_u32_e64 v47, s[2:3], v38, v47, s[2:3]
	v_cmp_gt_u64_e64 s[2:3], s[24:25], v[46:47]
	v_mov_b32_e32 v46, 0
	s_and_saveexec_b64 s[8:9], s[2:3]
	s_cbranch_execz .LBB4_14
; %bb.13:                               ;   in Loop: Header=BB4_4 Depth=1
	v_mov_b32_e32 v44, s19
	v_add_co_u32_e64 v47, s[6:7], s18, v11
	v_addc_co_u32_e64 v48, s[6:7], v12, v44, s[6:7]
	v_add_co_u32_e64 v49, s[6:7], s18, v9
	v_addc_co_u32_e64 v50, s[6:7], v10, v44, s[6:7]
	global_load_ushort v46, v[49:50], off
	global_load_ushort v44, v[47:48], off
.LBB4_14:                               ;   in Loop: Header=BB4_4 Depth=1
	s_or_b64 exec, exec, s[8:9]
	v_mov_b32_e32 v47, 0
	v_mov_b32_e32 v48, 0
	s_and_saveexec_b64 s[8:9], s[2:3]
	s_cbranch_execz .LBB4_16
; %bb.15:                               ;   in Loop: Header=BB4_4 Depth=1
	v_mov_b32_e32 v49, s19
	v_add_co_u32_e64 v48, s[6:7], s18, v13
	v_addc_co_u32_e64 v49, s[6:7], v14, v49, s[6:7]
	global_load_ushort v48, v[48:49], off
.LBB4_16:                               ;   in Loop: Header=BB4_4 Depth=1
	s_or_b64 exec, exec, s[8:9]
	v_mov_b32_e32 v50, s27
	v_add_co_u32_e64 v49, s[6:7], s26, v35
	v_addc_co_u32_e64 v50, s[6:7], v36, v50, s[6:7]
	v_cmp_gt_u64_e64 s[6:7], s[24:25], v[49:50]
	v_mov_b32_e32 v49, 0
	s_and_saveexec_b64 s[28:29], s[6:7]
	s_cbranch_execnz .LBB4_22
; %bb.17:                               ;   in Loop: Header=BB4_4 Depth=1
	s_or_b64 exec, exec, s[28:29]
	v_mov_b32_e32 v50, 0
	s_and_saveexec_b64 s[28:29], s[6:7]
	s_cbranch_execnz .LBB4_23
.LBB4_18:                               ;   in Loop: Header=BB4_4 Depth=1
	s_or_b64 exec, exec, s[28:29]
	s_and_saveexec_b64 s[8:9], vcc
	s_cbranch_execnz .LBB4_24
.LBB4_19:                               ;   in Loop: Header=BB4_4 Depth=1
	s_or_b64 exec, exec, s[8:9]
	s_and_saveexec_b64 s[8:9], s[0:1]
	s_cbranch_execnz .LBB4_25
.LBB4_20:                               ;   in Loop: Header=BB4_4 Depth=1
	s_or_b64 exec, exec, s[8:9]
	s_and_saveexec_b64 s[0:1], s[2:3]
	s_cbranch_execnz .LBB4_26
.LBB4_21:                               ;   in Loop: Header=BB4_4 Depth=1
	s_or_b64 exec, exec, s[0:1]
	s_and_saveexec_b64 s[0:1], s[6:7]
	s_cbranch_execz .LBB4_3
	s_branch .LBB4_27
.LBB4_22:                               ;   in Loop: Header=BB4_4 Depth=1
	v_mov_b32_e32 v47, s19
	v_add_co_u32_e64 v50, s[8:9], s18, v3
	v_addc_co_u32_e64 v51, s[8:9], v4, v47, s[8:9]
	v_add_co_u32_e64 v52, s[8:9], s18, v1
	v_addc_co_u32_e64 v53, s[8:9], v2, v47, s[8:9]
	global_load_ushort v49, v[52:53], off
	global_load_ushort v47, v[50:51], off
	s_or_b64 exec, exec, s[28:29]
	v_mov_b32_e32 v50, 0
	s_and_saveexec_b64 s[28:29], s[6:7]
	s_cbranch_execz .LBB4_18
.LBB4_23:                               ;   in Loop: Header=BB4_4 Depth=1
	v_mov_b32_e32 v51, s19
	v_add_co_u32_e64 v50, s[8:9], s18, v5
	v_addc_co_u32_e64 v51, s[8:9], v6, v51, s[8:9]
	global_load_ushort v50, v[50:51], off
	s_or_b64 exec, exec, s[28:29]
	s_and_saveexec_b64 s[8:9], vcc
	s_cbranch_execz .LBB4_19
.LBB4_24:                               ;   in Loop: Header=BB4_4 Depth=1
	s_waitcnt vmcnt(0)
	v_mul_lo_u16_e32 v40, s30, v40
	v_mad_legacy_u16 v42, v40, v42, v39
	v_mov_b32_e32 v40, s19
	v_add_co_u32_e32 v39, vcc, s18, v23
	v_addc_co_u32_e32 v40, vcc, v24, v40, vcc
	global_store_short v[39:40], v42, off
	s_or_b64 exec, exec, s[8:9]
	s_and_saveexec_b64 s[8:9], s[0:1]
	s_cbranch_execz .LBB4_20
.LBB4_25:                               ;   in Loop: Header=BB4_4 Depth=1
	s_waitcnt vmcnt(0)
	v_mul_lo_u16_e32 v39, s30, v41
	v_mad_legacy_u16 v41, v39, v45, v43
	v_mov_b32_e32 v40, s19
	v_add_co_u32_e32 v39, vcc, s18, v33
	v_addc_co_u32_e32 v40, vcc, v34, v40, vcc
	global_store_short v[39:40], v41, off
	s_or_b64 exec, exec, s[8:9]
	s_and_saveexec_b64 s[0:1], s[2:3]
	s_cbranch_execz .LBB4_21
.LBB4_26:                               ;   in Loop: Header=BB4_4 Depth=1
	s_waitcnt vmcnt(0)
	v_mul_lo_u16_e32 v39, s30, v44
	v_mad_legacy_u16 v41, v39, v48, v46
	v_mov_b32_e32 v40, s19
	v_add_co_u32_e32 v39, vcc, s18, v15
	v_addc_co_u32_e32 v40, vcc, v16, v40, vcc
	global_store_short v[39:40], v41, off
	s_or_b64 exec, exec, s[0:1]
	s_and_saveexec_b64 s[0:1], s[6:7]
	s_cbranch_execz .LBB4_3
.LBB4_27:                               ;   in Loop: Header=BB4_4 Depth=1
	s_waitcnt vmcnt(0)
	v_mul_lo_u16_e32 v39, s30, v47
	v_mad_legacy_u16 v41, v39, v50, v49
	v_mov_b32_e32 v40, s19
	v_add_co_u32_e32 v39, vcc, s18, v7
	v_addc_co_u32_e32 v40, vcc, v8, v40, vcc
	global_store_short v[39:40], v41, off
	s_branch .LBB4_3
.LBB4_28:
	s_mov_b64 s[0:1], 0
.LBB4_29:
	s_andn2_b64 vcc, exec, s[0:1]
	s_cbranch_vccnz .LBB4_33
; %bb.30:
	v_mov_b32_e32 v1, 0x10000
	v_mov_b32_e32 v2, 0
	v_cmp_lt_i64_e32 vcc, s[20:21], v[1:2]
	v_mov_b32_e32 v2, 0
	s_and_b64 s[0:1], vcc, exec
	s_cselect_b32 s1, s21, 0
	s_cselect_b32 s0, s20, 0x10000
	v_lshlrev_b32_e32 v1, 2, v0
	v_cmp_gt_i64_e32 vcc, s[0:1], v[1:2]
	s_and_saveexec_b64 s[2:3], vcc
	s_cbranch_execz .LBB4_33
; %bb.31:
	s_load_dword s2, s[4:5], 0xbfc
	v_mov_b32_e32 v1, v2
	v_lshlrev_b32_e32 v2, 3, v0
	v_mov_b32_e32 v3, s19
	v_add_co_u32_e32 v2, vcc, s18, v2
	s_waitcnt lgkmcnt(0)
	s_and_b32 s4, s2, 0xffff
	v_addc_co_u32_e32 v3, vcc, 0, v3, vcc
	s_lshl_b32 s5, s4, 3
	s_mov_b64 s[2:3], 0
	v_mov_b32_e32 v4, s11
	v_mov_b32_e32 v5, s13
	;; [unrolled: 1-line block ×4, first 2 shown]
.LBB4_32:                               ; =>This Inner Loop Header: Depth=1
	v_add_co_u32_e32 v8, vcc, s10, v2
	v_addc_co_u32_e32 v9, vcc, v4, v3, vcc
	v_add_co_u32_e32 v10, vcc, s12, v2
	v_addc_co_u32_e32 v11, vcc, v5, v3, vcc
	v_add_co_u32_e32 v12, vcc, s14, v2
	v_addc_co_u32_e32 v13, vcc, v6, v3, vcc
	global_load_dwordx2 v[14:15], v[10:11], off
	global_load_dwordx2 v[16:17], v[8:9], off
	;; [unrolled: 1-line block ×3, first 2 shown]
	v_add_co_u32_e32 v8, vcc, s16, v2
	v_addc_co_u32_e32 v9, vcc, v7, v3, vcc
	v_add_co_u32_e32 v0, vcc, s4, v0
	v_addc_co_u32_e32 v1, vcc, 0, v1, vcc
	v_add_co_u32_e32 v2, vcc, s5, v2
	v_lshlrev_b64 v[10:11], 2, v[0:1]
	v_addc_co_u32_e32 v3, vcc, 0, v3, vcc
	v_cmp_le_i64_e32 vcc, s[0:1], v[10:11]
	s_or_b64 s[2:3], vcc, s[2:3]
	s_waitcnt vmcnt(2)
	v_mul_lo_u16_e32 v10, s30, v14
	s_waitcnt vmcnt(1)
	v_lshrrev_b32_e32 v11, 16, v16
	s_waitcnt vmcnt(0)
	v_lshrrev_b32_e32 v12, 16, v18
	v_mul_lo_u16_sdwa v13, s30, v14 dst_sel:DWORD dst_unused:UNUSED_PAD src0_sel:DWORD src1_sel:WORD_1
	v_mul_lo_u16_e32 v14, s30, v15
	v_lshrrev_b32_e32 v20, 16, v17
	v_lshrrev_b32_e32 v21, 16, v19
	v_mul_lo_u16_sdwa v15, s30, v15 dst_sel:DWORD dst_unused:UNUSED_PAD src0_sel:DWORD src1_sel:WORD_1
	v_mul_lo_u16_e32 v10, v10, v18
	v_mad_legacy_u16 v11, v13, v12, v11
	v_mad_legacy_u16 v13, v15, v21, v20
	v_add_u16_e32 v10, v10, v16
	v_lshlrev_b32_e32 v11, 16, v11
	v_mad_legacy_u16 v12, v14, v19, v17
	v_lshlrev_b32_e32 v13, 16, v13
	v_or_b32_e32 v10, v11, v10
	v_or3_b32 v11, 0, v12, v13
	v_or3_b32 v10, v10, 0, 0
	global_store_dwordx2 v[8:9], v[10:11], off
	s_andn2_b64 exec, exec, s[2:3]
	s_cbranch_execnz .LBB4_32
.LBB4_33:
	s_endpgm
	.section	.rodata,"a",@progbits
	.p2align	6, 0x0
	.amdhsa_kernel _ZN2at6native12_GLOBAL__N_125multi_tensor_apply_kernelINS1_18TensorListMetadataILi4EEENS1_24PointwiseOpScalarFunctorIsLi4ELi3ELi3EEEJSt10multipliesIsEsEEEvT_T0_DpT1_
		.amdhsa_group_segment_fixed_size 0
		.amdhsa_private_segment_fixed_size 0
		.amdhsa_kernarg_size 3312
		.amdhsa_user_sgpr_count 6
		.amdhsa_user_sgpr_private_segment_buffer 1
		.amdhsa_user_sgpr_dispatch_ptr 0
		.amdhsa_user_sgpr_queue_ptr 0
		.amdhsa_user_sgpr_kernarg_segment_ptr 1
		.amdhsa_user_sgpr_dispatch_id 0
		.amdhsa_user_sgpr_flat_scratch_init 0
		.amdhsa_user_sgpr_private_segment_size 0
		.amdhsa_uses_dynamic_stack 0
		.amdhsa_system_sgpr_private_segment_wavefront_offset 0
		.amdhsa_system_sgpr_workgroup_id_x 1
		.amdhsa_system_sgpr_workgroup_id_y 0
		.amdhsa_system_sgpr_workgroup_id_z 0
		.amdhsa_system_sgpr_workgroup_info 0
		.amdhsa_system_vgpr_workitem_id 0
		.amdhsa_next_free_vgpr 54
		.amdhsa_next_free_sgpr 34
		.amdhsa_reserve_vcc 1
		.amdhsa_reserve_flat_scratch 0
		.amdhsa_float_round_mode_32 0
		.amdhsa_float_round_mode_16_64 0
		.amdhsa_float_denorm_mode_32 3
		.amdhsa_float_denorm_mode_16_64 3
		.amdhsa_dx10_clamp 1
		.amdhsa_ieee_mode 1
		.amdhsa_fp16_overflow 0
		.amdhsa_exception_fp_ieee_invalid_op 0
		.amdhsa_exception_fp_denorm_src 0
		.amdhsa_exception_fp_ieee_div_zero 0
		.amdhsa_exception_fp_ieee_overflow 0
		.amdhsa_exception_fp_ieee_underflow 0
		.amdhsa_exception_fp_ieee_inexact 0
		.amdhsa_exception_int_div_zero 0
	.end_amdhsa_kernel
	.section	.text._ZN2at6native12_GLOBAL__N_125multi_tensor_apply_kernelINS1_18TensorListMetadataILi4EEENS1_24PointwiseOpScalarFunctorIsLi4ELi3ELi3EEEJSt10multipliesIsEsEEEvT_T0_DpT1_,"axG",@progbits,_ZN2at6native12_GLOBAL__N_125multi_tensor_apply_kernelINS1_18TensorListMetadataILi4EEENS1_24PointwiseOpScalarFunctorIsLi4ELi3ELi3EEEJSt10multipliesIsEsEEEvT_T0_DpT1_,comdat
.Lfunc_end4:
	.size	_ZN2at6native12_GLOBAL__N_125multi_tensor_apply_kernelINS1_18TensorListMetadataILi4EEENS1_24PointwiseOpScalarFunctorIsLi4ELi3ELi3EEEJSt10multipliesIsEsEEEvT_T0_DpT1_, .Lfunc_end4-_ZN2at6native12_GLOBAL__N_125multi_tensor_apply_kernelINS1_18TensorListMetadataILi4EEENS1_24PointwiseOpScalarFunctorIsLi4ELi3ELi3EEEJSt10multipliesIsEsEEEvT_T0_DpT1_
                                        ; -- End function
	.set _ZN2at6native12_GLOBAL__N_125multi_tensor_apply_kernelINS1_18TensorListMetadataILi4EEENS1_24PointwiseOpScalarFunctorIsLi4ELi3ELi3EEEJSt10multipliesIsEsEEEvT_T0_DpT1_.num_vgpr, 54
	.set _ZN2at6native12_GLOBAL__N_125multi_tensor_apply_kernelINS1_18TensorListMetadataILi4EEENS1_24PointwiseOpScalarFunctorIsLi4ELi3ELi3EEEJSt10multipliesIsEsEEEvT_T0_DpT1_.num_agpr, 0
	.set _ZN2at6native12_GLOBAL__N_125multi_tensor_apply_kernelINS1_18TensorListMetadataILi4EEENS1_24PointwiseOpScalarFunctorIsLi4ELi3ELi3EEEJSt10multipliesIsEsEEEvT_T0_DpT1_.numbered_sgpr, 34
	.set _ZN2at6native12_GLOBAL__N_125multi_tensor_apply_kernelINS1_18TensorListMetadataILi4EEENS1_24PointwiseOpScalarFunctorIsLi4ELi3ELi3EEEJSt10multipliesIsEsEEEvT_T0_DpT1_.num_named_barrier, 0
	.set _ZN2at6native12_GLOBAL__N_125multi_tensor_apply_kernelINS1_18TensorListMetadataILi4EEENS1_24PointwiseOpScalarFunctorIsLi4ELi3ELi3EEEJSt10multipliesIsEsEEEvT_T0_DpT1_.private_seg_size, 0
	.set _ZN2at6native12_GLOBAL__N_125multi_tensor_apply_kernelINS1_18TensorListMetadataILi4EEENS1_24PointwiseOpScalarFunctorIsLi4ELi3ELi3EEEJSt10multipliesIsEsEEEvT_T0_DpT1_.uses_vcc, 1
	.set _ZN2at6native12_GLOBAL__N_125multi_tensor_apply_kernelINS1_18TensorListMetadataILi4EEENS1_24PointwiseOpScalarFunctorIsLi4ELi3ELi3EEEJSt10multipliesIsEsEEEvT_T0_DpT1_.uses_flat_scratch, 0
	.set _ZN2at6native12_GLOBAL__N_125multi_tensor_apply_kernelINS1_18TensorListMetadataILi4EEENS1_24PointwiseOpScalarFunctorIsLi4ELi3ELi3EEEJSt10multipliesIsEsEEEvT_T0_DpT1_.has_dyn_sized_stack, 0
	.set _ZN2at6native12_GLOBAL__N_125multi_tensor_apply_kernelINS1_18TensorListMetadataILi4EEENS1_24PointwiseOpScalarFunctorIsLi4ELi3ELi3EEEJSt10multipliesIsEsEEEvT_T0_DpT1_.has_recursion, 0
	.set _ZN2at6native12_GLOBAL__N_125multi_tensor_apply_kernelINS1_18TensorListMetadataILi4EEENS1_24PointwiseOpScalarFunctorIsLi4ELi3ELi3EEEJSt10multipliesIsEsEEEvT_T0_DpT1_.has_indirect_call, 0
	.section	.AMDGPU.csdata,"",@progbits
; Kernel info:
; codeLenInByte = 1936
; TotalNumSgprs: 38
; NumVgprs: 54
; ScratchSize: 0
; MemoryBound: 0
; FloatMode: 240
; IeeeMode: 1
; LDSByteSize: 0 bytes/workgroup (compile time only)
; SGPRBlocks: 4
; VGPRBlocks: 13
; NumSGPRsForWavesPerEU: 38
; NumVGPRsForWavesPerEU: 54
; Occupancy: 4
; WaveLimiterHint : 0
; COMPUTE_PGM_RSRC2:SCRATCH_EN: 0
; COMPUTE_PGM_RSRC2:USER_SGPR: 6
; COMPUTE_PGM_RSRC2:TRAP_HANDLER: 0
; COMPUTE_PGM_RSRC2:TGID_X_EN: 1
; COMPUTE_PGM_RSRC2:TGID_Y_EN: 0
; COMPUTE_PGM_RSRC2:TGID_Z_EN: 0
; COMPUTE_PGM_RSRC2:TIDIG_COMP_CNT: 0
	.section	.text._ZN2at6native12_GLOBAL__N_125multi_tensor_apply_kernelINS1_18TensorListMetadataILi4EEENS1_24PointwiseOpScalarFunctorIdLi4ELi3ELi3EEEJSt10multipliesIdEdEEEvT_T0_DpT1_,"axG",@progbits,_ZN2at6native12_GLOBAL__N_125multi_tensor_apply_kernelINS1_18TensorListMetadataILi4EEENS1_24PointwiseOpScalarFunctorIdLi4ELi3ELi3EEEJSt10multipliesIdEdEEEvT_T0_DpT1_,comdat
	.globl	_ZN2at6native12_GLOBAL__N_125multi_tensor_apply_kernelINS1_18TensorListMetadataILi4EEENS1_24PointwiseOpScalarFunctorIdLi4ELi3ELi3EEEJSt10multipliesIdEdEEEvT_T0_DpT1_ ; -- Begin function _ZN2at6native12_GLOBAL__N_125multi_tensor_apply_kernelINS1_18TensorListMetadataILi4EEENS1_24PointwiseOpScalarFunctorIdLi4ELi3ELi3EEEJSt10multipliesIdEdEEEvT_T0_DpT1_
	.p2align	8
	.type	_ZN2at6native12_GLOBAL__N_125multi_tensor_apply_kernelINS1_18TensorListMetadataILi4EEENS1_24PointwiseOpScalarFunctorIdLi4ELi3ELi3EEEJSt10multipliesIdEdEEEvT_T0_DpT1_,@function
_ZN2at6native12_GLOBAL__N_125multi_tensor_apply_kernelINS1_18TensorListMetadataILi4EEENS1_24PointwiseOpScalarFunctorIdLi4ELi3ELi3EEEJSt10multipliesIdEdEEEvT_T0_DpT1_: ; @_ZN2at6native12_GLOBAL__N_125multi_tensor_apply_kernelINS1_18TensorListMetadataILi4EEENS1_24PointwiseOpScalarFunctorIdLi4ELi3ELi3EEEJSt10multipliesIdEdEEEvT_T0_DpT1_
; %bb.0:
	v_mov_b32_e32 v1, s6
	global_load_ubyte v1, v1, s[4:5] offset:1440
	s_add_u32 s0, s4, s6
	s_mul_hi_u32 s1, s6, 3
	s_mul_i32 s6, s6, 3
	s_addc_u32 s2, s5, 0
	s_add_u32 s0, s0, s6
	s_addc_u32 s1, s2, s1
	s_load_dword s10, s[0:1], 0x6e0
	s_mov_b32 s19, 0
	s_mov_b32 s17, s19
	;; [unrolled: 1-line block ×3, first 2 shown]
	s_waitcnt lgkmcnt(0)
	s_ashr_i32 s11, s10, 31
	s_lshl_b64 s[14:15], s[10:11], 19
	s_waitcnt vmcnt(0)
	v_readfirstlane_b32 s0, v1
	s_lshl_b32 s16, s0, 3
	s_load_dwordx2 s[8:9], s[4:5], s16 offset:0x0
	s_load_dwordx2 s[12:13], s[4:5], 0xbf0
	s_load_dwordx2 s[22:23], s[4:5], s16 offset:0x480
	s_load_dwordx2 s[6:7], s[4:5], s16 offset:0x120
	;; [unrolled: 1-line block ×4, first 2 shown]
	s_waitcnt lgkmcnt(0)
	s_add_u32 s28, s8, s14
	s_addc_u32 s29, s9, s15
	s_and_b32 s18, s28, 31
	s_add_u32 s30, s6, s14
	s_addc_u32 s31, s7, s15
	s_and_b32 s16, s30, 31
	s_cmp_eq_u64 s[16:17], 0
	s_cselect_b64 s[16:17], -1, 0
	s_add_u32 s33, s2, s14
	s_addc_u32 s34, s3, s15
	s_add_u32 s35, s0, s14
	s_addc_u32 s36, s1, s15
	s_or_b32 s20, s35, s33
	s_and_b32 s20, s20, 31
	s_cmp_eq_u32 s20, 0
	s_cselect_b64 s[24:25], -1, 0
	s_lshl_b64 s[10:11], s[10:11], 16
	s_and_b64 s[24:25], s[24:25], s[16:17]
	s_sub_u32 s16, s22, s10
	s_subb_u32 s17, s23, s11
	s_and_b32 s20, s22, 3
	s_or_b64 s[10:11], s[18:19], s[20:21]
	s_cmp_eq_u64 s[10:11], 0
	s_cselect_b64 s[10:11], -1, 0
	s_and_b64 s[18:19], s[24:25], s[10:11]
	s_mov_b64 s[10:11], -1
	s_and_b64 vcc, exec, s[18:19]
	s_cbranch_vccnz .LBB5_45
; %bb.1:
	v_cmp_lt_i64_e64 s[10:11], s[16:17], 1
	s_and_b64 vcc, exec, s[10:11]
	s_cbranch_vccnz .LBB5_44
; %bb.2:
	v_mov_b32_e32 v1, 0x10000
	s_load_dword s20, s[4:5], 0xc04
	v_mov_b32_e32 v2, 0
	v_cmp_lt_i64_e32 vcc, s[16:17], v[1:2]
	v_mov_b32_e32 v3, 0
	s_and_b64 s[10:11], vcc, exec
	s_cselect_b32 s19, s17, 0
	s_cselect_b32 s18, s16, 0x10000
	v_cmp_lt_u64_e32 vcc, s[16:17], v[1:2]
	s_waitcnt lgkmcnt(0)
	s_and_b32 s24, s20, 0xffff
	v_lshlrev_b32_e32 v2, 3, v0
	v_mad_u64_u32 v[3:4], s[10:11], s24, 24, v[2:3]
	s_and_b64 s[10:11], vcc, exec
	v_mov_b32_e32 v7, s9
	v_add_co_u32_e32 v27, vcc, s8, v3
	v_addc_co_u32_e32 v28, vcc, v7, v4, vcc
	v_mov_b32_e32 v7, s7
	v_add_co_u32_e32 v29, vcc, s6, v3
	v_addc_co_u32_e32 v30, vcc, v7, v4, vcc
	v_mov_b32_e32 v7, s3
	v_add_co_u32_e32 v31, vcc, s2, v3
	v_addc_co_u32_e32 v32, vcc, v7, v4, vcc
	v_mov_b32_e32 v7, s1
	v_add_co_u32_e32 v33, vcc, s0, v3
	s_cselect_b32 s21, s17, 0
	s_cselect_b32 s20, s16, 0x10000
	v_addc_co_u32_e32 v34, vcc, v7, v4, vcc
	s_lshl_b32 s10, s24, 4
	v_add_co_u32_e32 v4, vcc, s10, v2
	v_addc_co_u32_e64 v7, s[10:11], 0, 0, vcc
	v_mov_b32_e32 v8, s9
	v_add_co_u32_e32 v35, vcc, s8, v4
	v_addc_co_u32_e32 v36, vcc, v8, v7, vcc
	v_mov_b32_e32 v8, s7
	v_add_co_u32_e32 v37, vcc, s6, v4
	v_addc_co_u32_e32 v38, vcc, v8, v7, vcc
	;; [unrolled: 3-line block ×8, first 2 shown]
	v_add_co_u32_e32 v51, vcc, s24, v0
	v_lshlrev_b32_e32 v1, 3, v51
	v_addc_co_u32_e64 v52, s[10:11], 0, 0, vcc
	v_mov_b32_e32 v2, s9
	v_add_co_u32_e32 v53, vcc, s8, v1
	v_addc_co_u32_e32 v54, vcc, 0, v2, vcc
	v_mov_b32_e32 v2, s7
	v_add_co_u32_e32 v55, vcc, s6, v1
	v_cmp_neq_f64_e64 s[22:23], s[12:13], 1.0
	v_addc_co_u32_e32 v56, vcc, 0, v2, vcc
	v_mov_b32_e32 v2, s3
	v_add_co_u32_e32 v57, vcc, s2, v1
	v_addc_co_u32_e32 v58, vcc, 0, v2, vcc
	v_mov_b32_e32 v2, s1
	v_add_co_u32_e32 v59, vcc, s0, v1
	s_mul_i32 s27, s24, 3
	v_addc_co_u32_e32 v60, vcc, 0, v2, vcc
	s_lshl_b32 s26, s24, 1
	v_add_co_u32_e32 v61, vcc, s27, v0
	v_addc_co_u32_e64 v62, s[0:1], 0, 0, vcc
	v_add_co_u32_e32 v63, vcc, s26, v0
	s_lshl_b32 s37, s24, 2
	s_lshl_b32 s38, s24, 5
	s_mov_b64 s[24:25], 0
	v_addc_co_u32_e64 v64, s[0:1], 0, 0, vcc
	s_branch .LBB5_4
.LBB5_3:                                ;   in Loop: Header=BB5_4 Depth=1
	s_or_b64 exec, exec, s[0:1]
	v_add_co_u32_e32 v43, vcc, s38, v43
	v_addc_co_u32_e32 v44, vcc, 0, v44, vcc
	v_add_co_u32_e32 v45, vcc, s38, v45
	v_addc_co_u32_e32 v46, vcc, 0, v46, vcc
	;; [unrolled: 2-line block ×14, first 2 shown]
	s_add_u32 s24, s24, s37
	v_add_co_u32_e32 v57, vcc, s38, v57
	v_mov_b32_e32 v1, s18
	s_addc_u32 s25, s25, 0
	v_addc_co_u32_e32 v58, vcc, 0, v58, vcc
	v_mov_b32_e32 v2, s19
	v_cmp_ge_i64_e32 vcc, s[24:25], v[1:2]
	v_add_co_u32_e64 v59, s[0:1], s38, v59
	v_addc_co_u32_e64 v60, s[0:1], 0, v60, s[0:1]
	s_cbranch_vccnz .LBB5_44
.LBB5_4:                                ; =>This Inner Loop Header: Depth=1
	v_mov_b32_e32 v2, s25
	v_add_co_u32_e32 v1, vcc, s24, v0
	v_addc_co_u32_e32 v2, vcc, 0, v2, vcc
	v_cmp_gt_u64_e64 s[0:1], s[20:21], v[1:2]
	v_mov_b32_e32 v1, 0
	v_mov_b32_e32 v3, 0
	;; [unrolled: 1-line block ×6, first 2 shown]
	s_and_saveexec_b64 s[2:3], s[0:1]
	s_cbranch_execz .LBB5_6
; %bb.5:                                ;   in Loop: Header=BB5_4 Depth=1
	v_mov_b32_e32 v3, s15
	v_add_co_u32_e32 v7, vcc, s14, v43
	v_addc_co_u32_e32 v8, vcc, v44, v3, vcc
	v_add_co_u32_e32 v9, vcc, s14, v45
	v_addc_co_u32_e32 v10, vcc, v46, v3, vcc
	global_load_dwordx2 v[5:6], v[7:8], off
	global_load_dwordx2 v[3:4], v[9:10], off
.LBB5_6:                                ;   in Loop: Header=BB5_4 Depth=1
	s_or_b64 exec, exec, s[2:3]
	s_and_saveexec_b64 s[2:3], s[0:1]
	s_cbranch_execz .LBB5_8
; %bb.7:                                ;   in Loop: Header=BB5_4 Depth=1
	v_mov_b32_e32 v2, s15
	v_add_co_u32_e32 v1, vcc, s14, v47
	v_addc_co_u32_e32 v2, vcc, v48, v2, vcc
	global_load_dwordx2 v[1:2], v[1:2], off
.LBB5_8:                                ;   in Loop: Header=BB5_4 Depth=1
	s_or_b64 exec, exec, s[2:3]
	v_mov_b32_e32 v8, s25
	v_add_co_u32_e32 v7, vcc, s24, v51
	v_addc_co_u32_e32 v8, vcc, v52, v8, vcc
	v_cmp_gt_u64_e64 s[2:3], s[20:21], v[7:8]
	v_mov_b32_e32 v7, 0
	v_mov_b32_e32 v9, 0
	;; [unrolled: 1-line block ×6, first 2 shown]
	s_and_saveexec_b64 s[6:7], s[2:3]
	s_cbranch_execz .LBB5_10
; %bb.9:                                ;   in Loop: Header=BB5_4 Depth=1
	v_mov_b32_e32 v9, s15
	v_add_co_u32_e32 v13, vcc, s14, v53
	v_addc_co_u32_e32 v14, vcc, v54, v9, vcc
	v_add_co_u32_e32 v15, vcc, s14, v55
	v_addc_co_u32_e32 v16, vcc, v56, v9, vcc
	global_load_dwordx2 v[11:12], v[13:14], off
	global_load_dwordx2 v[9:10], v[15:16], off
.LBB5_10:                               ;   in Loop: Header=BB5_4 Depth=1
	s_or_b64 exec, exec, s[6:7]
	s_and_saveexec_b64 s[6:7], s[2:3]
	s_cbranch_execz .LBB5_12
; %bb.11:                               ;   in Loop: Header=BB5_4 Depth=1
	v_mov_b32_e32 v8, s15
	v_add_co_u32_e32 v7, vcc, s14, v57
	v_addc_co_u32_e32 v8, vcc, v58, v8, vcc
	global_load_dwordx2 v[7:8], v[7:8], off
.LBB5_12:                               ;   in Loop: Header=BB5_4 Depth=1
	s_or_b64 exec, exec, s[6:7]
	v_mov_b32_e32 v14, s25
	v_add_co_u32_e32 v13, vcc, s24, v63
	v_addc_co_u32_e32 v14, vcc, v64, v14, vcc
	v_cmp_gt_u64_e64 s[6:7], s[20:21], v[13:14]
	v_mov_b32_e32 v13, 0
	v_mov_b32_e32 v15, 0
	;; [unrolled: 1-line block ×6, first 2 shown]
	s_and_saveexec_b64 s[8:9], s[6:7]
	s_cbranch_execz .LBB5_14
; %bb.13:                               ;   in Loop: Header=BB5_4 Depth=1
	v_mov_b32_e32 v15, s15
	v_add_co_u32_e32 v19, vcc, s14, v35
	v_addc_co_u32_e32 v20, vcc, v36, v15, vcc
	v_add_co_u32_e32 v21, vcc, s14, v37
	v_addc_co_u32_e32 v22, vcc, v38, v15, vcc
	global_load_dwordx2 v[17:18], v[19:20], off
	global_load_dwordx2 v[15:16], v[21:22], off
.LBB5_14:                               ;   in Loop: Header=BB5_4 Depth=1
	s_or_b64 exec, exec, s[8:9]
	s_and_saveexec_b64 s[8:9], s[6:7]
	s_cbranch_execz .LBB5_16
; %bb.15:                               ;   in Loop: Header=BB5_4 Depth=1
	v_mov_b32_e32 v14, s15
	v_add_co_u32_e32 v13, vcc, s14, v39
	v_addc_co_u32_e32 v14, vcc, v40, v14, vcc
	global_load_dwordx2 v[13:14], v[13:14], off
.LBB5_16:                               ;   in Loop: Header=BB5_4 Depth=1
	s_or_b64 exec, exec, s[8:9]
	v_mov_b32_e32 v20, s25
	v_add_co_u32_e32 v19, vcc, s24, v61
	v_addc_co_u32_e32 v20, vcc, v62, v20, vcc
	v_cmp_gt_u64_e64 s[8:9], s[20:21], v[19:20]
	v_mov_b32_e32 v19, 0
	v_mov_b32_e32 v21, 0
	;; [unrolled: 1-line block ×6, first 2 shown]
	s_and_saveexec_b64 s[10:11], s[8:9]
	s_cbranch_execnz .LBB5_34
; %bb.17:                               ;   in Loop: Header=BB5_4 Depth=1
	s_or_b64 exec, exec, s[10:11]
	s_and_saveexec_b64 s[10:11], s[8:9]
	s_cbranch_execnz .LBB5_35
.LBB5_18:                               ;   in Loop: Header=BB5_4 Depth=1
	s_or_b64 exec, exec, s[10:11]
	s_and_b64 vcc, exec, s[22:23]
	s_cbranch_vccz .LBB5_36
.LBB5_19:                               ;   in Loop: Header=BB5_4 Depth=1
	s_waitcnt vmcnt(0)
	v_mul_f64 v[25:26], v[3:4], v[1:2]
	v_fma_f64 v[25:26], s[12:13], v[25:26], v[5:6]
	s_cbranch_execnz .LBB5_21
.LBB5_20:                               ;   in Loop: Header=BB5_4 Depth=1
	s_waitcnt vmcnt(0)
	v_fma_f64 v[25:26], v[3:4], v[1:2], v[5:6]
.LBB5_21:                               ;   in Loop: Header=BB5_4 Depth=1
	s_waitcnt vmcnt(0)
	v_cndmask_b32_e64 v1, 0, 1, s[22:23]
	v_cmp_ne_u32_e64 s[10:11], 1, v1
	s_andn2_b64 vcc, exec, s[22:23]
	s_cbranch_vccnz .LBB5_41
; %bb.22:                               ;   in Loop: Header=BB5_4 Depth=1
	v_mul_f64 v[1:2], v[9:10], v[7:8]
	v_fma_f64 v[1:2], s[12:13], v[1:2], v[11:12]
	s_cbranch_execnz .LBB5_24
.LBB5_23:                               ;   in Loop: Header=BB5_4 Depth=1
	v_fma_f64 v[1:2], v[9:10], v[7:8], v[11:12]
.LBB5_24:                               ;   in Loop: Header=BB5_4 Depth=1
	s_and_b64 vcc, exec, s[10:11]
	s_cbranch_vccnz .LBB5_42
; %bb.25:                               ;   in Loop: Header=BB5_4 Depth=1
	v_mul_f64 v[3:4], v[15:16], v[13:14]
	v_fma_f64 v[3:4], s[12:13], v[3:4], v[17:18]
	s_cbranch_execnz .LBB5_27
.LBB5_26:                               ;   in Loop: Header=BB5_4 Depth=1
	v_fma_f64 v[3:4], v[15:16], v[13:14], v[17:18]
.LBB5_27:                               ;   in Loop: Header=BB5_4 Depth=1
	s_and_b64 vcc, exec, s[10:11]
	s_cbranch_vccnz .LBB5_43
; %bb.28:                               ;   in Loop: Header=BB5_4 Depth=1
	v_mul_f64 v[5:6], v[21:22], v[19:20]
	v_fma_f64 v[5:6], s[12:13], v[5:6], v[23:24]
	s_cbranch_execnz .LBB5_30
.LBB5_29:                               ;   in Loop: Header=BB5_4 Depth=1
	v_fma_f64 v[5:6], v[21:22], v[19:20], v[23:24]
.LBB5_30:                               ;   in Loop: Header=BB5_4 Depth=1
	s_and_saveexec_b64 s[10:11], s[0:1]
	s_xor_b64 s[0:1], exec, s[10:11]
	s_cbranch_execnz .LBB5_37
; %bb.31:                               ;   in Loop: Header=BB5_4 Depth=1
	s_or_b64 exec, exec, s[0:1]
	s_and_saveexec_b64 s[0:1], s[2:3]
	s_cbranch_execnz .LBB5_38
.LBB5_32:                               ;   in Loop: Header=BB5_4 Depth=1
	s_or_b64 exec, exec, s[0:1]
	s_and_saveexec_b64 s[0:1], s[6:7]
	s_cbranch_execnz .LBB5_39
.LBB5_33:                               ;   in Loop: Header=BB5_4 Depth=1
	s_or_b64 exec, exec, s[0:1]
	s_and_saveexec_b64 s[0:1], s[8:9]
	s_cbranch_execz .LBB5_3
	s_branch .LBB5_40
.LBB5_34:                               ;   in Loop: Header=BB5_4 Depth=1
	v_mov_b32_e32 v23, s15
	v_add_co_u32_e32 v21, vcc, s14, v27
	v_addc_co_u32_e32 v22, vcc, v28, v23, vcc
	v_add_co_u32_e32 v25, vcc, s14, v29
	v_addc_co_u32_e32 v26, vcc, v30, v23, vcc
	global_load_dwordx2 v[23:24], v[21:22], off
	s_nop 0
	global_load_dwordx2 v[21:22], v[25:26], off
	s_or_b64 exec, exec, s[10:11]
	s_and_saveexec_b64 s[10:11], s[8:9]
	s_cbranch_execz .LBB5_18
.LBB5_35:                               ;   in Loop: Header=BB5_4 Depth=1
	v_mov_b32_e32 v20, s15
	v_add_co_u32_e32 v19, vcc, s14, v31
	v_addc_co_u32_e32 v20, vcc, v32, v20, vcc
	global_load_dwordx2 v[19:20], v[19:20], off
	s_or_b64 exec, exec, s[10:11]
	s_and_b64 vcc, exec, s[22:23]
	s_cbranch_vccnz .LBB5_19
.LBB5_36:                               ;   in Loop: Header=BB5_4 Depth=1
                                        ; implicit-def: $vgpr25_vgpr26
	s_branch .LBB5_20
.LBB5_37:                               ;   in Loop: Header=BB5_4 Depth=1
	v_mov_b32_e32 v8, s15
	v_add_co_u32_e32 v7, vcc, s14, v49
	v_addc_co_u32_e32 v8, vcc, v50, v8, vcc
	global_store_dwordx2 v[7:8], v[25:26], off
	s_or_b64 exec, exec, s[0:1]
	s_and_saveexec_b64 s[0:1], s[2:3]
	s_cbranch_execz .LBB5_32
.LBB5_38:                               ;   in Loop: Header=BB5_4 Depth=1
	v_mov_b32_e32 v8, s15
	v_add_co_u32_e32 v7, vcc, s14, v59
	v_addc_co_u32_e32 v8, vcc, v60, v8, vcc
	global_store_dwordx2 v[7:8], v[1:2], off
	s_or_b64 exec, exec, s[0:1]
	s_and_saveexec_b64 s[0:1], s[6:7]
	s_cbranch_execz .LBB5_33
.LBB5_39:                               ;   in Loop: Header=BB5_4 Depth=1
	v_mov_b32_e32 v2, s15
	v_add_co_u32_e32 v1, vcc, s14, v41
	v_addc_co_u32_e32 v2, vcc, v42, v2, vcc
	global_store_dwordx2 v[1:2], v[3:4], off
	s_or_b64 exec, exec, s[0:1]
	s_and_saveexec_b64 s[0:1], s[8:9]
	s_cbranch_execz .LBB5_3
.LBB5_40:                               ;   in Loop: Header=BB5_4 Depth=1
	v_mov_b32_e32 v2, s15
	v_add_co_u32_e32 v1, vcc, s14, v33
	v_addc_co_u32_e32 v2, vcc, v34, v2, vcc
	global_store_dwordx2 v[1:2], v[5:6], off
	s_branch .LBB5_3
.LBB5_41:                               ;   in Loop: Header=BB5_4 Depth=1
                                        ; implicit-def: $vgpr1_vgpr2
	s_branch .LBB5_23
.LBB5_42:                               ;   in Loop: Header=BB5_4 Depth=1
                                        ; implicit-def: $vgpr3_vgpr4
	s_branch .LBB5_26
.LBB5_43:                               ;   in Loop: Header=BB5_4 Depth=1
                                        ; implicit-def: $vgpr5_vgpr6
	s_branch .LBB5_29
.LBB5_44:
	s_mov_b64 s[10:11], 0
.LBB5_45:
	s_andn2_b64 vcc, exec, s[10:11]
	s_cbranch_vccnz .LBB5_65
; %bb.46:
	v_mov_b32_e32 v1, 0x10000
	v_mov_b32_e32 v2, 0
	v_cmp_lt_i64_e32 vcc, s[16:17], v[1:2]
	v_mov_b32_e32 v2, 0
	s_and_b64 s[0:1], vcc, exec
	s_cselect_b32 s3, s17, 0
	s_cselect_b32 s2, s16, 0x10000
	v_lshlrev_b32_e32 v1, 2, v0
	v_cmp_gt_i64_e32 vcc, s[2:3], v[1:2]
	s_and_saveexec_b64 s[0:1], vcc
	s_cbranch_execz .LBB5_65
; %bb.47:
	s_load_dword s0, s[4:5], 0xc04
	v_cmp_neq_f64_e64 s[4:5], s[12:13], 1.0
	v_mov_b32_e32 v1, v2
	v_lshlrev_b32_e32 v28, 5, v0
	s_mov_b64 s[6:7], 0
	s_waitcnt lgkmcnt(0)
	s_and_b32 s10, s0, 0xffff
	s_lshl_b32 s11, s10, 5
	s_branch .LBB5_49
.LBB5_48:                               ;   in Loop: Header=BB5_49 Depth=1
	v_mov_b32_e32 v3, s36
	v_add_co_u32_e32 v2, vcc, s35, v28
	s_add_u32 s35, s35, s11
	v_addc_co_u32_e32 v3, vcc, 0, v3, vcc
	s_addc_u32 s36, s36, 0
	v_add_co_u32_e32 v0, vcc, s10, v0
	s_add_u32 s28, s28, s11
	v_addc_co_u32_e32 v1, vcc, 0, v1, vcc
	s_addc_u32 s29, s29, 0
	v_lshlrev_b64 v[4:5], 2, v[0:1]
	s_add_u32 s33, s33, s11
	s_addc_u32 s34, s34, 0
	s_add_u32 s30, s30, s11
	v_cmp_le_i64_e32 vcc, s[2:3], v[4:5]
	s_addc_u32 s31, s31, 0
	s_or_b64 s[6:7], vcc, s[6:7]
	global_store_dwordx4 v[2:3], v[14:17], off
	s_waitcnt vmcnt(3)
	global_store_dwordx4 v[2:3], v[18:21], off offset:16
	s_andn2_b64 exec, exec, s[6:7]
	s_cbranch_execz .LBB5_65
.LBB5_49:                               ; =>This Inner Loop Header: Depth=1
	v_mov_b32_e32 v2, s29
	v_add_co_u32_e32 v6, vcc, s28, v28
	v_addc_co_u32_e32 v7, vcc, 0, v2, vcc
	global_load_dwordx4 v[2:5], v[6:7], off offset:16
	global_load_dwordx4 v[16:19], v[6:7], off
	v_mov_b32_e32 v6, s31
	s_waitcnt vmcnt(5)
	v_add_co_u32_e32 v10, vcc, s30, v28
	v_addc_co_u32_e32 v11, vcc, 0, v6, vcc
	global_load_dwordx4 v[6:9], v[10:11], off offset:16
	global_load_dwordx4 v[20:23], v[10:11], off
	v_mov_b32_e32 v10, s34
	v_add_co_u32_e32 v14, vcc, s33, v28
	v_addc_co_u32_e32 v15, vcc, 0, v10, vcc
	global_load_dwordx4 v[10:13], v[14:15], off offset:16
	global_load_dwordx4 v[24:27], v[14:15], off
	s_and_b64 vcc, exec, s[4:5]
	s_cbranch_vccz .LBB5_60
; %bb.50:                               ;   in Loop: Header=BB5_49 Depth=1
	s_waitcnt vmcnt(0)
	v_mul_f64 v[14:15], v[20:21], v[24:25]
	v_fma_f64 v[14:15], s[12:13], v[14:15], v[16:17]
	s_cbranch_execnz .LBB5_52
.LBB5_51:                               ;   in Loop: Header=BB5_49 Depth=1
	s_waitcnt vmcnt(0)
	v_fma_f64 v[14:15], v[20:21], v[24:25], v[16:17]
.LBB5_52:                               ;   in Loop: Header=BB5_49 Depth=1
	s_waitcnt vmcnt(4)
	v_cndmask_b32_e64 v16, 0, 1, s[4:5]
	v_cmp_ne_u32_e64 s[0:1], 1, v16
	s_andn2_b64 vcc, exec, s[4:5]
	s_cbranch_vccnz .LBB5_61
; %bb.53:                               ;   in Loop: Header=BB5_49 Depth=1
	s_waitcnt vmcnt(0)
	v_mul_f64 v[16:17], v[22:23], v[26:27]
	v_fma_f64 v[16:17], s[12:13], v[16:17], v[18:19]
	s_cbranch_execnz .LBB5_55
.LBB5_54:                               ;   in Loop: Header=BB5_49 Depth=1
	s_waitcnt vmcnt(0)
	v_fma_f64 v[16:17], v[22:23], v[26:27], v[18:19]
.LBB5_55:                               ;   in Loop: Header=BB5_49 Depth=1
	s_and_b64 vcc, exec, s[0:1]
	s_cbranch_vccnz .LBB5_62
; %bb.56:                               ;   in Loop: Header=BB5_49 Depth=1
	s_waitcnt vmcnt(1)
	v_mul_f64 v[18:19], v[6:7], v[10:11]
	v_fma_f64 v[18:19], s[12:13], v[18:19], v[2:3]
	s_cbranch_execnz .LBB5_58
.LBB5_57:                               ;   in Loop: Header=BB5_49 Depth=1
	s_waitcnt vmcnt(1)
	v_fma_f64 v[18:19], v[6:7], v[10:11], v[2:3]
.LBB5_58:                               ;   in Loop: Header=BB5_49 Depth=1
	s_and_b64 vcc, exec, s[0:1]
	s_cbranch_vccnz .LBB5_63
; %bb.59:                               ;   in Loop: Header=BB5_49 Depth=1
	s_waitcnt vmcnt(1)
	v_mul_f64 v[2:3], v[8:9], v[12:13]
	v_fma_f64 v[20:21], s[12:13], v[2:3], v[4:5]
	s_cbranch_execnz .LBB5_48
	s_branch .LBB5_64
.LBB5_60:                               ;   in Loop: Header=BB5_49 Depth=1
                                        ; implicit-def: $vgpr14_vgpr15
	s_branch .LBB5_51
.LBB5_61:                               ;   in Loop: Header=BB5_49 Depth=1
	s_branch .LBB5_54
.LBB5_62:                               ;   in Loop: Header=BB5_49 Depth=1
                                        ; implicit-def: $vgpr18_vgpr19
	s_branch .LBB5_57
.LBB5_63:                               ;   in Loop: Header=BB5_49 Depth=1
.LBB5_64:                               ;   in Loop: Header=BB5_49 Depth=1
	s_waitcnt vmcnt(1)
	v_fma_f64 v[20:21], v[8:9], v[12:13], v[4:5]
	s_branch .LBB5_48
.LBB5_65:
	s_endpgm
	.section	.rodata,"a",@progbits
	.p2align	6, 0x0
	.amdhsa_kernel _ZN2at6native12_GLOBAL__N_125multi_tensor_apply_kernelINS1_18TensorListMetadataILi4EEENS1_24PointwiseOpScalarFunctorIdLi4ELi3ELi3EEEJSt10multipliesIdEdEEEvT_T0_DpT1_
		.amdhsa_group_segment_fixed_size 0
		.amdhsa_private_segment_fixed_size 0
		.amdhsa_kernarg_size 3320
		.amdhsa_user_sgpr_count 6
		.amdhsa_user_sgpr_private_segment_buffer 1
		.amdhsa_user_sgpr_dispatch_ptr 0
		.amdhsa_user_sgpr_queue_ptr 0
		.amdhsa_user_sgpr_kernarg_segment_ptr 1
		.amdhsa_user_sgpr_dispatch_id 0
		.amdhsa_user_sgpr_flat_scratch_init 0
		.amdhsa_user_sgpr_private_segment_size 0
		.amdhsa_uses_dynamic_stack 0
		.amdhsa_system_sgpr_private_segment_wavefront_offset 0
		.amdhsa_system_sgpr_workgroup_id_x 1
		.amdhsa_system_sgpr_workgroup_id_y 0
		.amdhsa_system_sgpr_workgroup_id_z 0
		.amdhsa_system_sgpr_workgroup_info 0
		.amdhsa_system_vgpr_workitem_id 0
		.amdhsa_next_free_vgpr 65
		.amdhsa_next_free_sgpr 39
		.amdhsa_reserve_vcc 1
		.amdhsa_reserve_flat_scratch 0
		.amdhsa_float_round_mode_32 0
		.amdhsa_float_round_mode_16_64 0
		.amdhsa_float_denorm_mode_32 3
		.amdhsa_float_denorm_mode_16_64 3
		.amdhsa_dx10_clamp 1
		.amdhsa_ieee_mode 1
		.amdhsa_fp16_overflow 0
		.amdhsa_exception_fp_ieee_invalid_op 0
		.amdhsa_exception_fp_denorm_src 0
		.amdhsa_exception_fp_ieee_div_zero 0
		.amdhsa_exception_fp_ieee_overflow 0
		.amdhsa_exception_fp_ieee_underflow 0
		.amdhsa_exception_fp_ieee_inexact 0
		.amdhsa_exception_int_div_zero 0
	.end_amdhsa_kernel
	.section	.text._ZN2at6native12_GLOBAL__N_125multi_tensor_apply_kernelINS1_18TensorListMetadataILi4EEENS1_24PointwiseOpScalarFunctorIdLi4ELi3ELi3EEEJSt10multipliesIdEdEEEvT_T0_DpT1_,"axG",@progbits,_ZN2at6native12_GLOBAL__N_125multi_tensor_apply_kernelINS1_18TensorListMetadataILi4EEENS1_24PointwiseOpScalarFunctorIdLi4ELi3ELi3EEEJSt10multipliesIdEdEEEvT_T0_DpT1_,comdat
.Lfunc_end5:
	.size	_ZN2at6native12_GLOBAL__N_125multi_tensor_apply_kernelINS1_18TensorListMetadataILi4EEENS1_24PointwiseOpScalarFunctorIdLi4ELi3ELi3EEEJSt10multipliesIdEdEEEvT_T0_DpT1_, .Lfunc_end5-_ZN2at6native12_GLOBAL__N_125multi_tensor_apply_kernelINS1_18TensorListMetadataILi4EEENS1_24PointwiseOpScalarFunctorIdLi4ELi3ELi3EEEJSt10multipliesIdEdEEEvT_T0_DpT1_
                                        ; -- End function
	.set _ZN2at6native12_GLOBAL__N_125multi_tensor_apply_kernelINS1_18TensorListMetadataILi4EEENS1_24PointwiseOpScalarFunctorIdLi4ELi3ELi3EEEJSt10multipliesIdEdEEEvT_T0_DpT1_.num_vgpr, 65
	.set _ZN2at6native12_GLOBAL__N_125multi_tensor_apply_kernelINS1_18TensorListMetadataILi4EEENS1_24PointwiseOpScalarFunctorIdLi4ELi3ELi3EEEJSt10multipliesIdEdEEEvT_T0_DpT1_.num_agpr, 0
	.set _ZN2at6native12_GLOBAL__N_125multi_tensor_apply_kernelINS1_18TensorListMetadataILi4EEENS1_24PointwiseOpScalarFunctorIdLi4ELi3ELi3EEEJSt10multipliesIdEdEEEvT_T0_DpT1_.numbered_sgpr, 39
	.set _ZN2at6native12_GLOBAL__N_125multi_tensor_apply_kernelINS1_18TensorListMetadataILi4EEENS1_24PointwiseOpScalarFunctorIdLi4ELi3ELi3EEEJSt10multipliesIdEdEEEvT_T0_DpT1_.num_named_barrier, 0
	.set _ZN2at6native12_GLOBAL__N_125multi_tensor_apply_kernelINS1_18TensorListMetadataILi4EEENS1_24PointwiseOpScalarFunctorIdLi4ELi3ELi3EEEJSt10multipliesIdEdEEEvT_T0_DpT1_.private_seg_size, 0
	.set _ZN2at6native12_GLOBAL__N_125multi_tensor_apply_kernelINS1_18TensorListMetadataILi4EEENS1_24PointwiseOpScalarFunctorIdLi4ELi3ELi3EEEJSt10multipliesIdEdEEEvT_T0_DpT1_.uses_vcc, 1
	.set _ZN2at6native12_GLOBAL__N_125multi_tensor_apply_kernelINS1_18TensorListMetadataILi4EEENS1_24PointwiseOpScalarFunctorIdLi4ELi3ELi3EEEJSt10multipliesIdEdEEEvT_T0_DpT1_.uses_flat_scratch, 0
	.set _ZN2at6native12_GLOBAL__N_125multi_tensor_apply_kernelINS1_18TensorListMetadataILi4EEENS1_24PointwiseOpScalarFunctorIdLi4ELi3ELi3EEEJSt10multipliesIdEdEEEvT_T0_DpT1_.has_dyn_sized_stack, 0
	.set _ZN2at6native12_GLOBAL__N_125multi_tensor_apply_kernelINS1_18TensorListMetadataILi4EEENS1_24PointwiseOpScalarFunctorIdLi4ELi3ELi3EEEJSt10multipliesIdEdEEEvT_T0_DpT1_.has_recursion, 0
	.set _ZN2at6native12_GLOBAL__N_125multi_tensor_apply_kernelINS1_18TensorListMetadataILi4EEENS1_24PointwiseOpScalarFunctorIdLi4ELi3ELi3EEEJSt10multipliesIdEdEEEvT_T0_DpT1_.has_indirect_call, 0
	.section	.AMDGPU.csdata,"",@progbits
; Kernel info:
; codeLenInByte = 2192
; TotalNumSgprs: 43
; NumVgprs: 65
; ScratchSize: 0
; MemoryBound: 1
; FloatMode: 240
; IeeeMode: 1
; LDSByteSize: 0 bytes/workgroup (compile time only)
; SGPRBlocks: 5
; VGPRBlocks: 16
; NumSGPRsForWavesPerEU: 43
; NumVGPRsForWavesPerEU: 65
; Occupancy: 3
; WaveLimiterHint : 0
; COMPUTE_PGM_RSRC2:SCRATCH_EN: 0
; COMPUTE_PGM_RSRC2:USER_SGPR: 6
; COMPUTE_PGM_RSRC2:TRAP_HANDLER: 0
; COMPUTE_PGM_RSRC2:TGID_X_EN: 1
; COMPUTE_PGM_RSRC2:TGID_Y_EN: 0
; COMPUTE_PGM_RSRC2:TGID_Z_EN: 0
; COMPUTE_PGM_RSRC2:TIDIG_COMP_CNT: 0
	.section	.text._ZN2at6native12_GLOBAL__N_125multi_tensor_apply_kernelINS1_18TensorListMetadataILi4EEENS1_24PointwiseOpScalarFunctorIfLi4ELi3ELi3EEEJSt10multipliesIfEfEEEvT_T0_DpT1_,"axG",@progbits,_ZN2at6native12_GLOBAL__N_125multi_tensor_apply_kernelINS1_18TensorListMetadataILi4EEENS1_24PointwiseOpScalarFunctorIfLi4ELi3ELi3EEEJSt10multipliesIfEfEEEvT_T0_DpT1_,comdat
	.globl	_ZN2at6native12_GLOBAL__N_125multi_tensor_apply_kernelINS1_18TensorListMetadataILi4EEENS1_24PointwiseOpScalarFunctorIfLi4ELi3ELi3EEEJSt10multipliesIfEfEEEvT_T0_DpT1_ ; -- Begin function _ZN2at6native12_GLOBAL__N_125multi_tensor_apply_kernelINS1_18TensorListMetadataILi4EEENS1_24PointwiseOpScalarFunctorIfLi4ELi3ELi3EEEJSt10multipliesIfEfEEEvT_T0_DpT1_
	.p2align	8
	.type	_ZN2at6native12_GLOBAL__N_125multi_tensor_apply_kernelINS1_18TensorListMetadataILi4EEENS1_24PointwiseOpScalarFunctorIfLi4ELi3ELi3EEEJSt10multipliesIfEfEEEvT_T0_DpT1_,@function
_ZN2at6native12_GLOBAL__N_125multi_tensor_apply_kernelINS1_18TensorListMetadataILi4EEENS1_24PointwiseOpScalarFunctorIfLi4ELi3ELi3EEEJSt10multipliesIfEfEEEvT_T0_DpT1_: ; @_ZN2at6native12_GLOBAL__N_125multi_tensor_apply_kernelINS1_18TensorListMetadataILi4EEENS1_24PointwiseOpScalarFunctorIfLi4ELi3ELi3EEEJSt10multipliesIfEfEEEvT_T0_DpT1_
; %bb.0:
	v_mov_b32_e32 v1, s6
	global_load_ubyte v1, v1, s[4:5] offset:1440
	s_add_u32 s0, s4, s6
	s_mul_hi_u32 s1, s6, 3
	s_mul_i32 s6, s6, 3
	s_addc_u32 s2, s5, 0
	s_add_u32 s0, s0, s6
	s_addc_u32 s1, s2, s1
	s_load_dword s0, s[0:1], 0x6e0
	s_mov_b32 s17, 0
	s_mov_b32 s15, s17
	;; [unrolled: 1-line block ×3, first 2 shown]
	s_waitcnt lgkmcnt(0)
	s_ashr_i32 s1, s0, 31
	s_lshl_b64 s[12:13], s[0:1], 18
	s_waitcnt vmcnt(0)
	v_readfirstlane_b32 s2, v1
	s_lshl_b32 s14, s2, 3
	s_load_dwordx2 s[10:11], s[4:5], s14 offset:0x0
	s_load_dword s24, s[4:5], 0xbec
	s_load_dwordx2 s[20:21], s[4:5], s14 offset:0x480
	s_load_dwordx2 s[8:9], s[4:5], s14 offset:0x120
	;; [unrolled: 1-line block ×4, first 2 shown]
	s_waitcnt lgkmcnt(0)
	s_add_u32 s25, s10, s12
	s_addc_u32 s26, s11, s13
	s_and_b32 s16, s25, 15
	s_add_u32 s27, s8, s12
	s_addc_u32 s28, s9, s13
	s_and_b32 s14, s27, 15
	s_cmp_eq_u64 s[14:15], 0
	s_cselect_b64 s[14:15], -1, 0
	s_add_u32 s29, s6, s12
	s_addc_u32 s30, s7, s13
	s_add_u32 s31, s2, s12
	s_addc_u32 s33, s3, s13
	s_or_b32 s18, s31, s29
	s_and_b32 s18, s18, 15
	s_cmp_eq_u32 s18, 0
	s_cselect_b64 s[22:23], -1, 0
	s_lshl_b64 s[0:1], s[0:1], 16
	s_and_b64 s[22:23], s[22:23], s[14:15]
	s_sub_u32 s14, s20, s0
	s_subb_u32 s15, s21, s1
	s_and_b32 s18, s20, 3
	s_or_b64 s[0:1], s[16:17], s[18:19]
	s_cmp_eq_u64 s[0:1], 0
	s_cselect_b64 s[0:1], -1, 0
	s_and_b64 s[16:17], s[22:23], s[0:1]
	s_mov_b64 s[0:1], -1
	s_and_b64 vcc, exec, s[16:17]
	s_cbranch_vccnz .LBB6_29
; %bb.1:
	v_cmp_lt_i64_e64 s[0:1], s[14:15], 1
	s_and_b64 vcc, exec, s[0:1]
	s_cbranch_vccnz .LBB6_28
; %bb.2:
	v_mov_b32_e32 v1, 0x10000
	s_load_dword s18, s[4:5], 0xbfc
	v_mov_b32_e32 v2, 0
	v_cmp_lt_i64_e32 vcc, s[14:15], v[1:2]
	v_mov_b32_e32 v24, 0
	s_and_b64 s[0:1], vcc, exec
	s_cselect_b32 s17, s15, 0
	s_cselect_b32 s16, s14, 0x10000
	s_waitcnt lgkmcnt(0)
	s_and_b32 s20, s18, 0xffff
	v_lshlrev_b32_e32 v23, 2, v0
	v_mad_u64_u32 v[7:8], s[0:1], s20, 12, v[23:24]
	v_cmp_lt_u64_e32 vcc, s[14:15], v[1:2]
	v_mov_b32_e32 v2, s11
	s_and_b64 s[0:1], vcc, exec
	v_add_co_u32_e32 v1, vcc, s10, v7
	v_addc_co_u32_e32 v2, vcc, v2, v8, vcc
	v_mov_b32_e32 v4, s9
	v_add_co_u32_e32 v3, vcc, s8, v7
	v_addc_co_u32_e32 v4, vcc, v4, v8, vcc
	v_mov_b32_e32 v6, s7
	;; [unrolled: 3-line block ×3, first 2 shown]
	v_add_co_u32_e32 v7, vcc, s2, v7
	s_cselect_b32 s19, s15, 0
	s_cselect_b32 s18, s14, 0x10000
	v_addc_co_u32_e32 v8, vcc, v9, v8, vcc
	s_lshl_b32 s0, s20, 3
	v_add_co_u32_e32 v15, vcc, s0, v23
	v_addc_co_u32_e64 v16, s[0:1], 0, 0, vcc
	v_mov_b32_e32 v10, s11
	v_add_co_u32_e32 v9, vcc, s10, v15
	v_addc_co_u32_e32 v10, vcc, v10, v16, vcc
	v_mov_b32_e32 v12, s9
	v_add_co_u32_e32 v11, vcc, s8, v15
	v_addc_co_u32_e32 v12, vcc, v12, v16, vcc
	;; [unrolled: 3-line block ×8, first 2 shown]
	v_add_co_u32_e32 v25, vcc, s20, v0
	v_lshlrev_b32_e32 v33, 2, v25
	s_lshl_b32 s22, s20, 1
	s_mul_i32 s23, s20, 3
	s_lshl_b32 s34, s20, 2
	s_lshl_b32 s35, s20, 4
	v_addc_co_u32_e64 v26, s[20:21], 0, 0, vcc
	v_mov_b32_e32 v28, s11
	v_add_co_u32_e32 v27, vcc, s10, v33
	v_addc_co_u32_e32 v28, vcc, 0, v28, vcc
	v_mov_b32_e32 v30, s9
	v_add_co_u32_e32 v29, vcc, s8, v33
	v_addc_co_u32_e32 v30, vcc, 0, v30, vcc
	;; [unrolled: 3-line block ×4, first 2 shown]
	v_add_co_u32_e32 v35, vcc, s23, v0
	v_addc_co_u32_e64 v36, s[2:3], 0, 0, vcc
	v_add_co_u32_e32 v37, vcc, s22, v0
	v_cmp_eq_f32_e64 s[0:1], s24, 1.0
	s_mov_b64 s[20:21], 0
	v_addc_co_u32_e64 v38, s[2:3], 0, 0, vcc
	s_branch .LBB6_4
.LBB6_3:                                ;   in Loop: Header=BB6_4 Depth=1
	s_or_b64 exec, exec, s[2:3]
	v_add_co_u32_e32 v17, vcc, s35, v17
	v_addc_co_u32_e32 v18, vcc, 0, v18, vcc
	v_add_co_u32_e32 v19, vcc, s35, v19
	v_addc_co_u32_e32 v20, vcc, 0, v20, vcc
	;; [unrolled: 2-line block ×14, first 2 shown]
	s_add_u32 s20, s20, s34
	v_add_co_u32_e32 v31, vcc, s35, v31
	s_waitcnt vmcnt(0)
	v_mov_b32_e32 v40, s17
	s_addc_u32 s21, s21, 0
	v_addc_co_u32_e32 v32, vcc, 0, v32, vcc
	v_mov_b32_e32 v39, s16
	v_cmp_lt_i64_e32 vcc, s[20:21], v[39:40]
	v_add_co_u32_e64 v33, s[2:3], s35, v33
	v_addc_co_u32_e64 v34, s[2:3], 0, v34, s[2:3]
	s_cbranch_vccz .LBB6_28
.LBB6_4:                                ; =>This Inner Loop Header: Depth=1
	v_mov_b32_e32 v40, s21
	v_add_co_u32_e32 v39, vcc, s20, v0
	v_addc_co_u32_e32 v40, vcc, 0, v40, vcc
	v_cmp_gt_u64_e32 vcc, s[18:19], v[39:40]
	v_mov_b32_e32 v40, 0
	v_mov_b32_e32 v39, 0
	s_and_saveexec_b64 s[6:7], vcc
	s_cbranch_execz .LBB6_6
; %bb.5:                                ;   in Loop: Header=BB6_4 Depth=1
	v_mov_b32_e32 v39, s13
	v_add_co_u32_e64 v41, s[2:3], s12, v17
	v_addc_co_u32_e64 v42, s[2:3], v18, v39, s[2:3]
	v_add_co_u32_e64 v43, s[2:3], s12, v19
	v_addc_co_u32_e64 v44, s[2:3], v20, v39, s[2:3]
	global_load_dword v39, v[41:42], off
	global_load_dword v40, v[43:44], off
.LBB6_6:                                ;   in Loop: Header=BB6_4 Depth=1
	s_or_b64 exec, exec, s[6:7]
	v_mov_b32_e32 v41, 0
	v_mov_b32_e32 v42, 0
	s_and_saveexec_b64 s[6:7], vcc
	s_cbranch_execz .LBB6_8
; %bb.7:                                ;   in Loop: Header=BB6_4 Depth=1
	v_mov_b32_e32 v43, s13
	v_add_co_u32_e64 v42, s[2:3], s12, v21
	v_addc_co_u32_e64 v43, s[2:3], v22, v43, s[2:3]
	global_load_dword v42, v[42:43], off
.LBB6_8:                                ;   in Loop: Header=BB6_4 Depth=1
	s_or_b64 exec, exec, s[6:7]
	v_mov_b32_e32 v44, s21
	v_add_co_u32_e64 v43, s[2:3], s20, v25
	v_addc_co_u32_e64 v44, s[2:3], v26, v44, s[2:3]
	v_cmp_gt_u64_e64 s[2:3], s[18:19], v[43:44]
	v_mov_b32_e32 v43, 0
	s_and_saveexec_b64 s[8:9], s[2:3]
	s_cbranch_execz .LBB6_10
; %bb.9:                                ;   in Loop: Header=BB6_4 Depth=1
	v_mov_b32_e32 v41, s13
	v_add_co_u32_e64 v44, s[6:7], s12, v27
	v_addc_co_u32_e64 v45, s[6:7], v28, v41, s[6:7]
	v_add_co_u32_e64 v46, s[6:7], s12, v29
	v_addc_co_u32_e64 v47, s[6:7], v30, v41, s[6:7]
	global_load_dword v43, v[44:45], off
	global_load_dword v41, v[46:47], off
.LBB6_10:                               ;   in Loop: Header=BB6_4 Depth=1
	s_or_b64 exec, exec, s[8:9]
	v_mov_b32_e32 v44, 0
	v_mov_b32_e32 v45, 0
	s_and_saveexec_b64 s[8:9], s[2:3]
	s_cbranch_execz .LBB6_12
; %bb.11:                               ;   in Loop: Header=BB6_4 Depth=1
	v_mov_b32_e32 v46, s13
	v_add_co_u32_e64 v45, s[6:7], s12, v31
	v_addc_co_u32_e64 v46, s[6:7], v32, v46, s[6:7]
	global_load_dword v45, v[45:46], off
.LBB6_12:                               ;   in Loop: Header=BB6_4 Depth=1
	s_or_b64 exec, exec, s[8:9]
	v_mov_b32_e32 v47, s21
	v_add_co_u32_e64 v46, s[6:7], s20, v37
	v_addc_co_u32_e64 v47, s[6:7], v38, v47, s[6:7]
	v_cmp_gt_u64_e64 s[6:7], s[18:19], v[46:47]
	v_mov_b32_e32 v46, 0
	s_and_saveexec_b64 s[10:11], s[6:7]
	s_cbranch_execz .LBB6_14
; %bb.13:                               ;   in Loop: Header=BB6_4 Depth=1
	v_mov_b32_e32 v44, s13
	v_add_co_u32_e64 v47, s[8:9], s12, v9
	v_addc_co_u32_e64 v48, s[8:9], v10, v44, s[8:9]
	v_add_co_u32_e64 v49, s[8:9], s12, v11
	v_addc_co_u32_e64 v50, s[8:9], v12, v44, s[8:9]
	global_load_dword v46, v[47:48], off
	global_load_dword v44, v[49:50], off
.LBB6_14:                               ;   in Loop: Header=BB6_4 Depth=1
	s_or_b64 exec, exec, s[10:11]
	v_mov_b32_e32 v47, 0
	v_mov_b32_e32 v48, 0
	s_and_saveexec_b64 s[10:11], s[6:7]
	s_cbranch_execz .LBB6_16
; %bb.15:                               ;   in Loop: Header=BB6_4 Depth=1
	v_mov_b32_e32 v49, s13
	v_add_co_u32_e64 v48, s[8:9], s12, v13
	v_addc_co_u32_e64 v49, s[8:9], v14, v49, s[8:9]
	global_load_dword v48, v[48:49], off
.LBB6_16:                               ;   in Loop: Header=BB6_4 Depth=1
	s_or_b64 exec, exec, s[10:11]
	v_mov_b32_e32 v50, s21
	v_add_co_u32_e64 v49, s[8:9], s20, v35
	v_addc_co_u32_e64 v50, s[8:9], v36, v50, s[8:9]
	v_cmp_gt_u64_e64 s[8:9], s[18:19], v[49:50]
	v_mov_b32_e32 v49, 0
	s_and_saveexec_b64 s[22:23], s[8:9]
	s_cbranch_execnz .LBB6_22
; %bb.17:                               ;   in Loop: Header=BB6_4 Depth=1
	s_or_b64 exec, exec, s[22:23]
	v_mov_b32_e32 v50, 0
	s_and_saveexec_b64 s[22:23], s[8:9]
	s_cbranch_execnz .LBB6_23
.LBB6_18:                               ;   in Loop: Header=BB6_4 Depth=1
	s_or_b64 exec, exec, s[22:23]
	s_and_saveexec_b64 s[10:11], vcc
	s_cbranch_execnz .LBB6_24
.LBB6_19:                               ;   in Loop: Header=BB6_4 Depth=1
	s_or_b64 exec, exec, s[10:11]
	s_and_saveexec_b64 s[10:11], s[2:3]
	s_cbranch_execnz .LBB6_25
.LBB6_20:                               ;   in Loop: Header=BB6_4 Depth=1
	s_or_b64 exec, exec, s[10:11]
	s_and_saveexec_b64 s[2:3], s[6:7]
	s_cbranch_execnz .LBB6_26
.LBB6_21:                               ;   in Loop: Header=BB6_4 Depth=1
	s_or_b64 exec, exec, s[2:3]
	s_and_saveexec_b64 s[2:3], s[8:9]
	s_cbranch_execz .LBB6_3
	s_branch .LBB6_27
.LBB6_22:                               ;   in Loop: Header=BB6_4 Depth=1
	v_mov_b32_e32 v47, s13
	v_add_co_u32_e64 v50, s[10:11], s12, v1
	v_addc_co_u32_e64 v51, s[10:11], v2, v47, s[10:11]
	v_add_co_u32_e64 v52, s[10:11], s12, v3
	v_addc_co_u32_e64 v53, s[10:11], v4, v47, s[10:11]
	global_load_dword v49, v[50:51], off
	global_load_dword v47, v[52:53], off
	s_or_b64 exec, exec, s[22:23]
	v_mov_b32_e32 v50, 0
	s_and_saveexec_b64 s[22:23], s[8:9]
	s_cbranch_execz .LBB6_18
.LBB6_23:                               ;   in Loop: Header=BB6_4 Depth=1
	v_mov_b32_e32 v51, s13
	v_add_co_u32_e64 v50, s[10:11], s12, v5
	v_addc_co_u32_e64 v51, s[10:11], v6, v51, s[10:11]
	global_load_dword v50, v[50:51], off
	s_or_b64 exec, exec, s[22:23]
	s_and_saveexec_b64 s[10:11], vcc
	s_cbranch_execz .LBB6_19
.LBB6_24:                               ;   in Loop: Header=BB6_4 Depth=1
	s_waitcnt vmcnt(0)
	v_fma_f32 v51, v40, v42, v39
	v_mul_f32_e32 v40, v40, v42
	v_fmac_f32_e32 v39, s24, v40
	v_cndmask_b32_e64 v42, v39, v51, s[0:1]
	v_mov_b32_e32 v40, s13
	v_add_co_u32_e32 v39, vcc, s12, v23
	v_addc_co_u32_e32 v40, vcc, v24, v40, vcc
	global_store_dword v[39:40], v42, off
	s_or_b64 exec, exec, s[10:11]
	s_and_saveexec_b64 s[10:11], s[2:3]
	s_cbranch_execz .LBB6_20
.LBB6_25:                               ;   in Loop: Header=BB6_4 Depth=1
	s_waitcnt vmcnt(0)
	v_mul_f32_e32 v40, v41, v45
	v_fma_f32 v39, v41, v45, v43
	v_fmac_f32_e32 v43, s24, v40
	v_cndmask_b32_e64 v41, v43, v39, s[0:1]
	v_mov_b32_e32 v40, s13
	v_add_co_u32_e32 v39, vcc, s12, v33
	v_addc_co_u32_e32 v40, vcc, v34, v40, vcc
	global_store_dword v[39:40], v41, off
	s_or_b64 exec, exec, s[10:11]
	s_and_saveexec_b64 s[2:3], s[6:7]
	s_cbranch_execz .LBB6_21
.LBB6_26:                               ;   in Loop: Header=BB6_4 Depth=1
	s_waitcnt vmcnt(0)
	v_mul_f32_e32 v40, v44, v48
	v_fma_f32 v39, v44, v48, v46
	v_fmac_f32_e32 v46, s24, v40
	v_cndmask_b32_e64 v41, v46, v39, s[0:1]
	v_mov_b32_e32 v40, s13
	v_add_co_u32_e32 v39, vcc, s12, v15
	v_addc_co_u32_e32 v40, vcc, v16, v40, vcc
	global_store_dword v[39:40], v41, off
	s_or_b64 exec, exec, s[2:3]
	s_and_saveexec_b64 s[2:3], s[8:9]
	s_cbranch_execz .LBB6_3
.LBB6_27:                               ;   in Loop: Header=BB6_4 Depth=1
	s_waitcnt vmcnt(0)
	v_mul_f32_e32 v40, v47, v50
	v_fma_f32 v39, v47, v50, v49
	v_fmac_f32_e32 v49, s24, v40
	v_cndmask_b32_e64 v41, v49, v39, s[0:1]
	v_mov_b32_e32 v40, s13
	v_add_co_u32_e32 v39, vcc, s12, v7
	v_addc_co_u32_e32 v40, vcc, v8, v40, vcc
	global_store_dword v[39:40], v41, off
	s_branch .LBB6_3
.LBB6_28:
	s_mov_b64 s[0:1], 0
.LBB6_29:
	s_andn2_b64 vcc, exec, s[0:1]
	s_cbranch_vccnz .LBB6_33
; %bb.30:
	v_mov_b32_e32 v1, 0x10000
	v_mov_b32_e32 v2, 0
	v_cmp_lt_i64_e32 vcc, s[14:15], v[1:2]
	v_mov_b32_e32 v2, 0
	s_and_b64 s[0:1], vcc, exec
	s_cselect_b32 s7, s15, 0
	s_cselect_b32 s6, s14, 0x10000
	v_lshlrev_b32_e32 v1, 2, v0
	v_cmp_gt_i64_e32 vcc, s[6:7], v[1:2]
	s_and_saveexec_b64 s[0:1], vcc
	s_cbranch_execz .LBB6_33
; %bb.31:
	s_load_dword s0, s[4:5], 0xbfc
	v_mov_b32_e32 v1, v2
	v_cmp_eq_f32_e64 vcc, s24, 1.0
	v_lshlrev_b32_e32 v2, 4, v0
	s_mov_b64 s[8:9], 0
	s_waitcnt lgkmcnt(0)
	s_and_b32 s10, s0, 0xffff
	s_lshl_b32 s11, s10, 4
.LBB6_32:                               ; =>This Inner Loop Header: Depth=1
	v_mov_b32_e32 v4, s28
	v_add_co_u32_e64 v15, s[0:1], s27, v2
	v_mov_b32_e32 v3, s26
	v_mov_b32_e32 v5, s30
	v_add_co_u32_e64 v17, s[2:3], s29, v2
	v_add_co_u32_e64 v19, s[4:5], s25, v2
	v_addc_co_u32_e64 v16, s[0:1], 0, v4, s[0:1]
	v_addc_co_u32_e64 v20, s[4:5], 0, v3, s[4:5]
	;; [unrolled: 1-line block ×3, first 2 shown]
	global_load_dwordx4 v[3:6], v[15:16], off
	global_load_dwordx4 v[7:10], v[17:18], off
	;; [unrolled: 1-line block ×3, first 2 shown]
	v_add_co_u32_e64 v15, s[0:1], s31, v2
	s_add_u32 s31, s31, s11
	v_mov_b32_e32 v16, s33
	s_addc_u32 s33, s33, 0
	v_add_co_u32_e64 v0, s[2:3], s10, v0
	s_add_u32 s25, s25, s11
	v_addc_co_u32_e64 v1, s[2:3], 0, v1, s[2:3]
	s_addc_u32 s26, s26, 0
	v_lshlrev_b64 v[17:18], 2, v[0:1]
	s_add_u32 s29, s29, s11
	v_addc_co_u32_e64 v16, s[0:1], 0, v16, s[0:1]
	s_addc_u32 s30, s30, 0
	v_cmp_le_i64_e64 s[0:1], s[6:7], v[17:18]
	s_add_u32 s27, s27, s11
	s_addc_u32 s28, s28, 0
	s_or_b64 s[8:9], s[0:1], s[8:9]
	s_waitcnt vmcnt(0)
	v_fma_f32 v17, v3, v7, v11
	v_mul_f32_e32 v3, v3, v7
	v_fma_f32 v7, v4, v8, v12
	v_mul_f32_e32 v4, v4, v8
	;; [unrolled: 2-line block ×4, first 2 shown]
	v_fma_f32 v3, s24, v3, v11
	v_fma_f32 v4, s24, v4, v12
	;; [unrolled: 1-line block ×3, first 2 shown]
	v_fmac_f32_e32 v14, s24, v6
	v_cndmask_b32_e32 v3, v3, v17, vcc
	v_cndmask_b32_e32 v4, v4, v7, vcc
	;; [unrolled: 1-line block ×4, first 2 shown]
	global_store_dwordx4 v[15:16], v[3:6], off
	s_andn2_b64 exec, exec, s[8:9]
	s_cbranch_execnz .LBB6_32
.LBB6_33:
	s_endpgm
	.section	.rodata,"a",@progbits
	.p2align	6, 0x0
	.amdhsa_kernel _ZN2at6native12_GLOBAL__N_125multi_tensor_apply_kernelINS1_18TensorListMetadataILi4EEENS1_24PointwiseOpScalarFunctorIfLi4ELi3ELi3EEEJSt10multipliesIfEfEEEvT_T0_DpT1_
		.amdhsa_group_segment_fixed_size 0
		.amdhsa_private_segment_fixed_size 0
		.amdhsa_kernarg_size 3312
		.amdhsa_user_sgpr_count 6
		.amdhsa_user_sgpr_private_segment_buffer 1
		.amdhsa_user_sgpr_dispatch_ptr 0
		.amdhsa_user_sgpr_queue_ptr 0
		.amdhsa_user_sgpr_kernarg_segment_ptr 1
		.amdhsa_user_sgpr_dispatch_id 0
		.amdhsa_user_sgpr_flat_scratch_init 0
		.amdhsa_user_sgpr_private_segment_size 0
		.amdhsa_uses_dynamic_stack 0
		.amdhsa_system_sgpr_private_segment_wavefront_offset 0
		.amdhsa_system_sgpr_workgroup_id_x 1
		.amdhsa_system_sgpr_workgroup_id_y 0
		.amdhsa_system_sgpr_workgroup_id_z 0
		.amdhsa_system_sgpr_workgroup_info 0
		.amdhsa_system_vgpr_workitem_id 0
		.amdhsa_next_free_vgpr 54
		.amdhsa_next_free_sgpr 36
		.amdhsa_reserve_vcc 1
		.amdhsa_reserve_flat_scratch 0
		.amdhsa_float_round_mode_32 0
		.amdhsa_float_round_mode_16_64 0
		.amdhsa_float_denorm_mode_32 3
		.amdhsa_float_denorm_mode_16_64 3
		.amdhsa_dx10_clamp 1
		.amdhsa_ieee_mode 1
		.amdhsa_fp16_overflow 0
		.amdhsa_exception_fp_ieee_invalid_op 0
		.amdhsa_exception_fp_denorm_src 0
		.amdhsa_exception_fp_ieee_div_zero 0
		.amdhsa_exception_fp_ieee_overflow 0
		.amdhsa_exception_fp_ieee_underflow 0
		.amdhsa_exception_fp_ieee_inexact 0
		.amdhsa_exception_int_div_zero 0
	.end_amdhsa_kernel
	.section	.text._ZN2at6native12_GLOBAL__N_125multi_tensor_apply_kernelINS1_18TensorListMetadataILi4EEENS1_24PointwiseOpScalarFunctorIfLi4ELi3ELi3EEEJSt10multipliesIfEfEEEvT_T0_DpT1_,"axG",@progbits,_ZN2at6native12_GLOBAL__N_125multi_tensor_apply_kernelINS1_18TensorListMetadataILi4EEENS1_24PointwiseOpScalarFunctorIfLi4ELi3ELi3EEEJSt10multipliesIfEfEEEvT_T0_DpT1_,comdat
.Lfunc_end6:
	.size	_ZN2at6native12_GLOBAL__N_125multi_tensor_apply_kernelINS1_18TensorListMetadataILi4EEENS1_24PointwiseOpScalarFunctorIfLi4ELi3ELi3EEEJSt10multipliesIfEfEEEvT_T0_DpT1_, .Lfunc_end6-_ZN2at6native12_GLOBAL__N_125multi_tensor_apply_kernelINS1_18TensorListMetadataILi4EEENS1_24PointwiseOpScalarFunctorIfLi4ELi3ELi3EEEJSt10multipliesIfEfEEEvT_T0_DpT1_
                                        ; -- End function
	.set _ZN2at6native12_GLOBAL__N_125multi_tensor_apply_kernelINS1_18TensorListMetadataILi4EEENS1_24PointwiseOpScalarFunctorIfLi4ELi3ELi3EEEJSt10multipliesIfEfEEEvT_T0_DpT1_.num_vgpr, 54
	.set _ZN2at6native12_GLOBAL__N_125multi_tensor_apply_kernelINS1_18TensorListMetadataILi4EEENS1_24PointwiseOpScalarFunctorIfLi4ELi3ELi3EEEJSt10multipliesIfEfEEEvT_T0_DpT1_.num_agpr, 0
	.set _ZN2at6native12_GLOBAL__N_125multi_tensor_apply_kernelINS1_18TensorListMetadataILi4EEENS1_24PointwiseOpScalarFunctorIfLi4ELi3ELi3EEEJSt10multipliesIfEfEEEvT_T0_DpT1_.numbered_sgpr, 36
	.set _ZN2at6native12_GLOBAL__N_125multi_tensor_apply_kernelINS1_18TensorListMetadataILi4EEENS1_24PointwiseOpScalarFunctorIfLi4ELi3ELi3EEEJSt10multipliesIfEfEEEvT_T0_DpT1_.num_named_barrier, 0
	.set _ZN2at6native12_GLOBAL__N_125multi_tensor_apply_kernelINS1_18TensorListMetadataILi4EEENS1_24PointwiseOpScalarFunctorIfLi4ELi3ELi3EEEJSt10multipliesIfEfEEEvT_T0_DpT1_.private_seg_size, 0
	.set _ZN2at6native12_GLOBAL__N_125multi_tensor_apply_kernelINS1_18TensorListMetadataILi4EEENS1_24PointwiseOpScalarFunctorIfLi4ELi3ELi3EEEJSt10multipliesIfEfEEEvT_T0_DpT1_.uses_vcc, 1
	.set _ZN2at6native12_GLOBAL__N_125multi_tensor_apply_kernelINS1_18TensorListMetadataILi4EEENS1_24PointwiseOpScalarFunctorIfLi4ELi3ELi3EEEJSt10multipliesIfEfEEEvT_T0_DpT1_.uses_flat_scratch, 0
	.set _ZN2at6native12_GLOBAL__N_125multi_tensor_apply_kernelINS1_18TensorListMetadataILi4EEENS1_24PointwiseOpScalarFunctorIfLi4ELi3ELi3EEEJSt10multipliesIfEfEEEvT_T0_DpT1_.has_dyn_sized_stack, 0
	.set _ZN2at6native12_GLOBAL__N_125multi_tensor_apply_kernelINS1_18TensorListMetadataILi4EEENS1_24PointwiseOpScalarFunctorIfLi4ELi3ELi3EEEJSt10multipliesIfEfEEEvT_T0_DpT1_.has_recursion, 0
	.set _ZN2at6native12_GLOBAL__N_125multi_tensor_apply_kernelINS1_18TensorListMetadataILi4EEENS1_24PointwiseOpScalarFunctorIfLi4ELi3ELi3EEEJSt10multipliesIfEfEEEvT_T0_DpT1_.has_indirect_call, 0
	.section	.AMDGPU.csdata,"",@progbits
; Kernel info:
; codeLenInByte = 2064
; TotalNumSgprs: 40
; NumVgprs: 54
; ScratchSize: 0
; MemoryBound: 0
; FloatMode: 240
; IeeeMode: 1
; LDSByteSize: 0 bytes/workgroup (compile time only)
; SGPRBlocks: 4
; VGPRBlocks: 13
; NumSGPRsForWavesPerEU: 40
; NumVGPRsForWavesPerEU: 54
; Occupancy: 4
; WaveLimiterHint : 0
; COMPUTE_PGM_RSRC2:SCRATCH_EN: 0
; COMPUTE_PGM_RSRC2:USER_SGPR: 6
; COMPUTE_PGM_RSRC2:TRAP_HANDLER: 0
; COMPUTE_PGM_RSRC2:TGID_X_EN: 1
; COMPUTE_PGM_RSRC2:TGID_Y_EN: 0
; COMPUTE_PGM_RSRC2:TGID_Z_EN: 0
; COMPUTE_PGM_RSRC2:TIDIG_COMP_CNT: 0
	.section	.text._ZN2at6native12_GLOBAL__N_125multi_tensor_apply_kernelINS1_18TensorListMetadataILi4EEENS1_24PointwiseOpScalarFunctorIN3c107complexIdEELi4ELi3ELi3EEEJSt10multipliesIS8_ES8_EEEvT_T0_DpT1_,"axG",@progbits,_ZN2at6native12_GLOBAL__N_125multi_tensor_apply_kernelINS1_18TensorListMetadataILi4EEENS1_24PointwiseOpScalarFunctorIN3c107complexIdEELi4ELi3ELi3EEEJSt10multipliesIS8_ES8_EEEvT_T0_DpT1_,comdat
	.globl	_ZN2at6native12_GLOBAL__N_125multi_tensor_apply_kernelINS1_18TensorListMetadataILi4EEENS1_24PointwiseOpScalarFunctorIN3c107complexIdEELi4ELi3ELi3EEEJSt10multipliesIS8_ES8_EEEvT_T0_DpT1_ ; -- Begin function _ZN2at6native12_GLOBAL__N_125multi_tensor_apply_kernelINS1_18TensorListMetadataILi4EEENS1_24PointwiseOpScalarFunctorIN3c107complexIdEELi4ELi3ELi3EEEJSt10multipliesIS8_ES8_EEEvT_T0_DpT1_
	.p2align	8
	.type	_ZN2at6native12_GLOBAL__N_125multi_tensor_apply_kernelINS1_18TensorListMetadataILi4EEENS1_24PointwiseOpScalarFunctorIN3c107complexIdEELi4ELi3ELi3EEEJSt10multipliesIS8_ES8_EEEvT_T0_DpT1_,@function
_ZN2at6native12_GLOBAL__N_125multi_tensor_apply_kernelINS1_18TensorListMetadataILi4EEENS1_24PointwiseOpScalarFunctorIN3c107complexIdEELi4ELi3ELi3EEEJSt10multipliesIS8_ES8_EEEvT_T0_DpT1_: ; @_ZN2at6native12_GLOBAL__N_125multi_tensor_apply_kernelINS1_18TensorListMetadataILi4EEENS1_24PointwiseOpScalarFunctorIN3c107complexIdEELi4ELi3ELi3EEEJSt10multipliesIS8_ES8_EEEvT_T0_DpT1_
; %bb.0:
	v_mov_b32_e32 v1, s6
	global_load_ubyte v1, v1, s[4:5] offset:1440
	s_add_u32 s0, s4, s6
	s_mul_hi_u32 s1, s6, 3
	s_mul_i32 s6, s6, 3
	s_addc_u32 s2, s5, 0
	s_add_u32 s0, s0, s6
	s_addc_u32 s1, s2, s1
	s_load_dword s0, s[0:1], 0x6e0
	s_mov_b32 s3, 0
	s_mov_b32 s7, s3
	s_waitcnt lgkmcnt(0)
	s_ashr_i32 s1, s0, 31
	s_lshl_b64 s[8:9], s[0:1], 20
	s_waitcnt vmcnt(0)
	v_readfirstlane_b32 s2, v1
	s_lshl_b32 s2, s2, 3
	s_load_dwordx2 s[10:11], s[4:5], s2 offset:0x0
	s_load_dwordx4 s[12:15], s[4:5], 0xbf0
	s_load_dwordx2 s[18:19], s[4:5], s2 offset:0x480
	s_load_dwordx2 s[16:17], s[4:5], s2 offset:0x120
	;; [unrolled: 1-line block ×4, first 2 shown]
	s_waitcnt lgkmcnt(0)
	s_add_u32 s26, s10, s8
	s_addc_u32 s27, s11, s9
	s_add_u32 s28, s16, s8
	s_addc_u32 s29, s17, s9
	s_and_b32 s2, s28, 63
	s_add_u32 s30, s20, s8
	s_addc_u32 s31, s21, s9
	s_add_u32 s33, s22, s8
	s_addc_u32 s34, s23, s9
	s_or_b32 s6, s33, s30
	s_and_b32 s6, s6, 63
	s_cmp_eq_u32 s6, 0
	s_cselect_b64 s[8:9], -1, 0
	s_and_b32 s6, s26, 63
	s_cmp_eq_u64 s[2:3], 0
	s_cselect_b64 s[10:11], -1, 0
	s_lshl_b64 s[0:1], s[0:1], 16
	s_and_b64 s[8:9], s[8:9], s[10:11]
	s_sub_u32 s16, s18, s0
	s_subb_u32 s17, s19, s1
	s_and_b32 s2, s18, 3
	s_or_b64 s[0:1], s[6:7], s[2:3]
	s_cmp_eq_u64 s[0:1], 0
	s_cselect_b64 s[0:1], -1, 0
	s_and_b64 s[2:3], s[8:9], s[0:1]
	s_mov_b64 s[0:1], -1
	s_and_b64 vcc, exec, s[2:3]
	s_cbranch_vccnz .LBB7_29
; %bb.1:
	v_cmp_lt_i64_e64 s[0:1], s[16:17], 1
	s_and_b64 vcc, exec, s[0:1]
	s_cbranch_vccnz .LBB7_28
; %bb.2:
	v_mov_b32_e32 v1, 0x10000
	v_mov_b32_e32 v2, 0
	v_cmp_lt_i64_e32 vcc, s[16:17], v[1:2]
	v_cmp_eq_f64_e64 s[2:3], s[14:15], 0
	s_and_b64 s[0:1], vcc, exec
	v_cmp_eq_f64_e64 s[0:1], s[12:13], 1.0
	s_load_dword s6, s[4:5], 0xc0c
	v_cmp_lt_u64_e32 vcc, s[16:17], v[1:2]
	s_cselect_b32 s19, s17, 0
	s_cselect_b32 s18, s16, 0x10000
	s_mov_b64 s[22:23], 0
	s_waitcnt lgkmcnt(0)
	s_and_b32 s35, s6, 0xffff
	s_and_b64 s[6:7], vcc, exec
	s_cselect_b32 s21, s17, 0
	s_cselect_b32 s20, s16, 0x10000
	s_lshl_b32 s36, s35, 1
	s_mul_i32 s37, s35, 3
	s_and_b64 s[0:1], s[0:1], s[2:3]
	s_lshl_b32 s38, s35, 2
	s_branch .LBB7_4
.LBB7_3:                                ;   in Loop: Header=BB7_4 Depth=1
	s_or_b64 exec, exec, s[2:3]
	s_add_u32 s22, s22, s38
	s_waitcnt vmcnt(1)
	v_mov_b32_e32 v1, s18
	s_addc_u32 s23, s23, 0
	v_mov_b32_e32 v2, s19
	v_cmp_lt_i64_e32 vcc, s[22:23], v[1:2]
	s_cbranch_vccz .LBB7_28
.LBB7_4:                                ; =>This Inner Loop Header: Depth=1
	v_mov_b32_e32 v1, s23
	v_add_co_u32_e32 v49, vcc, s22, v0
	v_addc_co_u32_e32 v50, vcc, 0, v1, vcc
	v_cmp_gt_u64_e32 vcc, s[20:21], v[49:50]
	s_waitcnt vmcnt(0)
	v_mov_b32_e32 v7, 0
	v_mov_b32_e32 v11, 0
	;; [unrolled: 1-line block ×10, first 2 shown]
	s_and_saveexec_b64 s[6:7], vcc
	s_cbranch_execz .LBB7_6
; %bb.5:                                ;   in Loop: Header=BB7_4 Depth=1
	v_lshlrev_b64 v[1:2], 4, v[49:50]
	v_mov_b32_e32 v3, s29
	v_add_co_u32_e64 v5, s[2:3], s28, v1
	v_addc_co_u32_e64 v6, s[2:3], v3, v2, s[2:3]
	v_mov_b32_e32 v3, s27
	v_add_co_u32_e64 v13, s[2:3], s26, v1
	v_addc_co_u32_e64 v14, s[2:3], v3, v2, s[2:3]
	global_load_dwordx4 v[1:4], v[13:14], off
	global_load_dwordx4 v[9:12], v[5:6], off
.LBB7_6:                                ;   in Loop: Header=BB7_4 Depth=1
	s_or_b64 exec, exec, s[6:7]
	v_mov_b32_e32 v5, 0
	v_mov_b32_e32 v6, 0
	s_and_saveexec_b64 s[6:7], vcc
	s_cbranch_execz .LBB7_8
; %bb.7:                                ;   in Loop: Header=BB7_4 Depth=1
	v_lshlrev_b64 v[5:6], 4, v[49:50]
	v_mov_b32_e32 v7, s31
	v_add_co_u32_e64 v5, s[2:3], s30, v5
	v_addc_co_u32_e64 v6, s[2:3], v7, v6, s[2:3]
	global_load_dwordx4 v[5:8], v[5:6], off
.LBB7_8:                                ;   in Loop: Header=BB7_4 Depth=1
	s_or_b64 exec, exec, s[6:7]
	v_add_co_u32_e64 v51, s[2:3], s35, v49
	v_addc_co_u32_e64 v52, s[2:3], 0, v50, s[2:3]
	v_cmp_gt_u64_e64 s[2:3], s[20:21], v[51:52]
	v_mov_b32_e32 v19, 0
	v_mov_b32_e32 v23, 0
	;; [unrolled: 1-line block ×10, first 2 shown]
	s_and_saveexec_b64 s[8:9], s[2:3]
	s_cbranch_execz .LBB7_10
; %bb.9:                                ;   in Loop: Header=BB7_4 Depth=1
	v_lshlrev_b64 v[13:14], 4, v[51:52]
	v_mov_b32_e32 v15, s29
	v_add_co_u32_e64 v17, s[6:7], s28, v13
	v_addc_co_u32_e64 v18, s[6:7], v15, v14, s[6:7]
	v_mov_b32_e32 v15, s27
	v_add_co_u32_e64 v25, s[6:7], s26, v13
	v_addc_co_u32_e64 v26, s[6:7], v15, v14, s[6:7]
	global_load_dwordx4 v[13:16], v[25:26], off
	global_load_dwordx4 v[21:24], v[17:18], off
.LBB7_10:                               ;   in Loop: Header=BB7_4 Depth=1
	s_or_b64 exec, exec, s[8:9]
	v_mov_b32_e32 v17, 0
	v_mov_b32_e32 v18, 0
	s_and_saveexec_b64 s[8:9], s[2:3]
	s_cbranch_execz .LBB7_12
; %bb.11:                               ;   in Loop: Header=BB7_4 Depth=1
	v_lshlrev_b64 v[17:18], 4, v[51:52]
	v_mov_b32_e32 v19, s31
	v_add_co_u32_e64 v17, s[6:7], s30, v17
	v_addc_co_u32_e64 v18, s[6:7], v19, v18, s[6:7]
	global_load_dwordx4 v[17:20], v[17:18], off
.LBB7_12:                               ;   in Loop: Header=BB7_4 Depth=1
	s_or_b64 exec, exec, s[8:9]
	v_add_co_u32_e64 v53, s[6:7], s36, v49
	v_addc_co_u32_e64 v54, s[6:7], 0, v50, s[6:7]
	v_cmp_gt_u64_e64 s[6:7], s[20:21], v[53:54]
	v_mov_b32_e32 v31, 0
	v_mov_b32_e32 v35, 0
	v_mov_b32_e32 v33, 0
	v_mov_b32_e32 v27, 0
	v_mov_b32_e32 v25, 0
	v_mov_b32_e32 v32, 0
	v_mov_b32_e32 v36, 0
	v_mov_b32_e32 v34, 0
	v_mov_b32_e32 v28, 0
	v_mov_b32_e32 v26, 0
	s_and_saveexec_b64 s[10:11], s[6:7]
	s_cbranch_execz .LBB7_14
; %bb.13:                               ;   in Loop: Header=BB7_4 Depth=1
	v_lshlrev_b64 v[25:26], 4, v[53:54]
	v_mov_b32_e32 v27, s29
	v_add_co_u32_e64 v29, s[8:9], s28, v25
	v_addc_co_u32_e64 v30, s[8:9], v27, v26, s[8:9]
	v_mov_b32_e32 v27, s27
	v_add_co_u32_e64 v37, s[8:9], s26, v25
	v_addc_co_u32_e64 v38, s[8:9], v27, v26, s[8:9]
	global_load_dwordx4 v[25:28], v[37:38], off
	global_load_dwordx4 v[33:36], v[29:30], off
.LBB7_14:                               ;   in Loop: Header=BB7_4 Depth=1
	s_or_b64 exec, exec, s[10:11]
	v_mov_b32_e32 v29, 0
	v_mov_b32_e32 v30, 0
	s_and_saveexec_b64 s[10:11], s[6:7]
	s_cbranch_execz .LBB7_16
; %bb.15:                               ;   in Loop: Header=BB7_4 Depth=1
	v_lshlrev_b64 v[29:30], 4, v[53:54]
	v_mov_b32_e32 v31, s31
	v_add_co_u32_e64 v29, s[8:9], s30, v29
	v_addc_co_u32_e64 v30, s[8:9], v31, v30, s[8:9]
	global_load_dwordx4 v[29:32], v[29:30], off
.LBB7_16:                               ;   in Loop: Header=BB7_4 Depth=1
	s_or_b64 exec, exec, s[10:11]
	v_add_co_u32_e64 v55, s[8:9], s37, v49
	v_addc_co_u32_e64 v56, s[8:9], 0, v50, s[8:9]
	v_cmp_gt_u64_e64 s[8:9], s[20:21], v[55:56]
	v_mov_b32_e32 v43, 0
	v_mov_b32_e32 v47, 0
	;; [unrolled: 1-line block ×10, first 2 shown]
	s_and_saveexec_b64 s[24:25], s[8:9]
	s_cbranch_execz .LBB7_18
; %bb.17:                               ;   in Loop: Header=BB7_4 Depth=1
	v_lshlrev_b64 v[37:38], 4, v[55:56]
	v_mov_b32_e32 v39, s29
	v_add_co_u32_e64 v41, s[10:11], s28, v37
	v_addc_co_u32_e64 v42, s[10:11], v39, v38, s[10:11]
	v_mov_b32_e32 v39, s27
	v_add_co_u32_e64 v57, s[10:11], s26, v37
	v_addc_co_u32_e64 v58, s[10:11], v39, v38, s[10:11]
	global_load_dwordx4 v[37:40], v[57:58], off
	global_load_dwordx4 v[45:48], v[41:42], off
.LBB7_18:                               ;   in Loop: Header=BB7_4 Depth=1
	s_or_b64 exec, exec, s[24:25]
	v_mov_b32_e32 v41, 0
	v_mov_b32_e32 v42, 0
	s_and_saveexec_b64 s[24:25], s[8:9]
	s_cbranch_execnz .LBB7_23
; %bb.19:                               ;   in Loop: Header=BB7_4 Depth=1
	s_or_b64 exec, exec, s[24:25]
	s_and_saveexec_b64 s[10:11], vcc
	s_cbranch_execnz .LBB7_24
.LBB7_20:                               ;   in Loop: Header=BB7_4 Depth=1
	s_or_b64 exec, exec, s[10:11]
	s_and_saveexec_b64 s[10:11], s[2:3]
	s_cbranch_execnz .LBB7_25
.LBB7_21:                               ;   in Loop: Header=BB7_4 Depth=1
	s_or_b64 exec, exec, s[10:11]
	s_and_saveexec_b64 s[2:3], s[6:7]
	s_cbranch_execnz .LBB7_26
.LBB7_22:                               ;   in Loop: Header=BB7_4 Depth=1
	s_or_b64 exec, exec, s[2:3]
	s_and_saveexec_b64 s[2:3], s[8:9]
	s_cbranch_execz .LBB7_3
	s_branch .LBB7_27
.LBB7_23:                               ;   in Loop: Header=BB7_4 Depth=1
	v_lshlrev_b64 v[41:42], 4, v[55:56]
	v_mov_b32_e32 v43, s31
	v_add_co_u32_e64 v41, s[10:11], s30, v41
	v_addc_co_u32_e64 v42, s[10:11], v43, v42, s[10:11]
	global_load_dwordx4 v[41:44], v[41:42], off
	s_or_b64 exec, exec, s[24:25]
	s_and_saveexec_b64 s[10:11], vcc
	s_cbranch_execz .LBB7_20
.LBB7_24:                               ;   in Loop: Header=BB7_4 Depth=1
	s_waitcnt vmcnt(0)
	v_mul_f64 v[57:58], v[11:12], v[5:6]
	v_mul_f64 v[11:12], v[11:12], v[7:8]
	v_fma_f64 v[7:8], v[9:10], v[7:8], v[57:58]
	v_fma_f64 v[5:6], v[9:10], v[5:6], -v[11:12]
	v_mul_f64 v[9:10], s[14:15], v[7:8]
	v_mul_f64 v[11:12], s[14:15], v[5:6]
	v_fma_f64 v[9:10], s[12:13], v[5:6], -v[9:10]
	v_fma_f64 v[11:12], s[12:13], v[7:8], v[11:12]
	v_cndmask_b32_e64 v6, v10, v6, s[0:1]
	v_cndmask_b32_e64 v5, v9, v5, s[0:1]
	;; [unrolled: 1-line block ×4, first 2 shown]
	v_add_f64 v[1:2], v[1:2], v[5:6]
	v_add_f64 v[3:4], v[3:4], v[7:8]
	v_lshlrev_b64 v[5:6], 4, v[49:50]
	v_mov_b32_e32 v7, s34
	v_add_co_u32_e32 v5, vcc, s33, v5
	v_addc_co_u32_e32 v6, vcc, v7, v6, vcc
	global_store_dwordx4 v[5:6], v[1:4], off
	s_or_b64 exec, exec, s[10:11]
	s_and_saveexec_b64 s[10:11], s[2:3]
	s_cbranch_execz .LBB7_21
.LBB7_25:                               ;   in Loop: Header=BB7_4 Depth=1
	s_waitcnt vmcnt(0)
	v_mul_f64 v[1:2], v[23:24], v[17:18]
	v_mul_f64 v[3:4], v[23:24], v[19:20]
	v_fma_f64 v[1:2], v[21:22], v[19:20], v[1:2]
	v_fma_f64 v[3:4], v[21:22], v[17:18], -v[3:4]
	v_mul_f64 v[5:6], s[14:15], v[1:2]
	v_mul_f64 v[7:8], s[14:15], v[3:4]
	v_fma_f64 v[5:6], s[12:13], v[3:4], -v[5:6]
	v_fma_f64 v[7:8], s[12:13], v[1:2], v[7:8]
	v_cndmask_b32_e64 v6, v6, v4, s[0:1]
	v_cndmask_b32_e64 v5, v5, v3, s[0:1]
	;; [unrolled: 1-line block ×4, first 2 shown]
	v_add_f64 v[3:4], v[15:16], v[1:2]
	v_add_f64 v[1:2], v[13:14], v[5:6]
	v_lshlrev_b64 v[5:6], 4, v[51:52]
	v_mov_b32_e32 v7, s34
	v_add_co_u32_e32 v5, vcc, s33, v5
	v_addc_co_u32_e32 v6, vcc, v7, v6, vcc
	global_store_dwordx4 v[5:6], v[1:4], off
	s_or_b64 exec, exec, s[10:11]
	s_and_saveexec_b64 s[2:3], s[6:7]
	s_cbranch_execz .LBB7_22
.LBB7_26:                               ;   in Loop: Header=BB7_4 Depth=1
	s_waitcnt vmcnt(0)
	v_mul_f64 v[1:2], v[35:36], v[29:30]
	v_mul_f64 v[3:4], v[35:36], v[31:32]
	v_fma_f64 v[1:2], v[33:34], v[31:32], v[1:2]
	v_fma_f64 v[3:4], v[33:34], v[29:30], -v[3:4]
	v_mul_f64 v[5:6], s[14:15], v[1:2]
	v_mul_f64 v[7:8], s[14:15], v[3:4]
	v_fma_f64 v[5:6], s[12:13], v[3:4], -v[5:6]
	v_fma_f64 v[7:8], s[12:13], v[1:2], v[7:8]
	v_cndmask_b32_e64 v6, v6, v4, s[0:1]
	v_cndmask_b32_e64 v5, v5, v3, s[0:1]
	;; [unrolled: 1-line block ×4, first 2 shown]
	v_add_f64 v[3:4], v[27:28], v[1:2]
	v_add_f64 v[1:2], v[25:26], v[5:6]
	v_lshlrev_b64 v[5:6], 4, v[53:54]
	v_mov_b32_e32 v7, s34
	v_add_co_u32_e32 v5, vcc, s33, v5
	v_addc_co_u32_e32 v6, vcc, v7, v6, vcc
	global_store_dwordx4 v[5:6], v[1:4], off
	s_or_b64 exec, exec, s[2:3]
	s_and_saveexec_b64 s[2:3], s[8:9]
	s_cbranch_execz .LBB7_3
.LBB7_27:                               ;   in Loop: Header=BB7_4 Depth=1
	s_waitcnt vmcnt(0)
	v_mul_f64 v[1:2], v[47:48], v[41:42]
	v_mul_f64 v[3:4], v[47:48], v[43:44]
	v_fma_f64 v[1:2], v[45:46], v[43:44], v[1:2]
	v_fma_f64 v[3:4], v[45:46], v[41:42], -v[3:4]
	v_mul_f64 v[5:6], s[14:15], v[1:2]
	v_mul_f64 v[7:8], s[14:15], v[3:4]
	v_fma_f64 v[5:6], s[12:13], v[3:4], -v[5:6]
	v_fma_f64 v[7:8], s[12:13], v[1:2], v[7:8]
	v_cndmask_b32_e64 v6, v6, v4, s[0:1]
	v_cndmask_b32_e64 v5, v5, v3, s[0:1]
	;; [unrolled: 1-line block ×4, first 2 shown]
	v_add_f64 v[3:4], v[39:40], v[1:2]
	v_add_f64 v[1:2], v[37:38], v[5:6]
	v_lshlrev_b64 v[5:6], 4, v[55:56]
	v_mov_b32_e32 v7, s34
	v_add_co_u32_e32 v5, vcc, s33, v5
	v_addc_co_u32_e32 v6, vcc, v7, v6, vcc
	global_store_dwordx4 v[5:6], v[1:4], off
	s_branch .LBB7_3
.LBB7_28:
	s_mov_b64 s[0:1], 0
.LBB7_29:
	s_andn2_b64 vcc, exec, s[0:1]
	s_cbranch_vccnz .LBB7_33
; %bb.30:
	v_mov_b32_e32 v1, 0x10000
	v_mov_b32_e32 v2, 0
	v_cmp_lt_i64_e32 vcc, s[16:17], v[1:2]
	v_mov_b32_e32 v2, 0
	s_and_b64 s[0:1], vcc, exec
	s_cselect_b32 s7, s17, 0
	s_cselect_b32 s6, s16, 0x10000
	v_lshlrev_b32_e32 v1, 2, v0
	v_cmp_gt_i64_e32 vcc, s[6:7], v[1:2]
	s_and_saveexec_b64 s[0:1], vcc
	s_cbranch_execz .LBB7_33
; %bb.31:
	v_cmp_eq_f64_e64 s[0:1], s[12:13], 1.0
	v_cmp_eq_f64_e64 s[2:3], s[14:15], 0
	s_load_dword s8, s[4:5], 0xc0c
	v_mov_b32_e32 v1, v2
	s_mov_b64 s[4:5], 0
	v_lshlrev_b32_e32 v2, 6, v0
	s_waitcnt lgkmcnt(0)
	s_and_b32 s8, s8, 0xffff
	s_lshl_b32 s9, s8, 6
	s_and_b64 vcc, s[0:1], s[2:3]
.LBB7_32:                               ; =>This Inner Loop Header: Depth=1
	v_mov_b32_e32 v4, s31
	s_waitcnt vmcnt(0)
	v_add_co_u32_e64 v35, s[0:1], s30, v2
	v_mov_b32_e32 v3, s29
	v_add_co_u32_e64 v37, s[2:3], s28, v2
	v_addc_co_u32_e64 v36, s[0:1], 0, v4, s[0:1]
	v_addc_co_u32_e64 v38, s[2:3], 0, v3, s[2:3]
	global_load_dwordx4 v[3:6], v[35:36], off
	global_load_dwordx4 v[7:10], v[37:38], off
	global_load_dwordx4 v[11:14], v[37:38], off offset:16
	global_load_dwordx4 v[15:18], v[35:36], off offset:16
	;; [unrolled: 1-line block ×6, first 2 shown]
	v_mov_b32_e32 v35, s27
	v_add_co_u32_e64 v52, s[2:3], s26, v2
	v_addc_co_u32_e64 v53, s[2:3], 0, v35, s[2:3]
	global_load_dwordx4 v[35:38], v[52:53], off
	global_load_dwordx4 v[39:42], v[52:53], off offset:16
	global_load_dwordx4 v[43:46], v[52:53], off offset:32
	;; [unrolled: 1-line block ×3, first 2 shown]
	v_add_co_u32_e64 v0, s[2:3], s8, v0
	v_mov_b32_e32 v54, s34
	v_add_co_u32_e64 v51, s[0:1], s33, v2
	v_addc_co_u32_e64 v1, s[2:3], 0, v1, s[2:3]
	v_addc_co_u32_e64 v52, s[0:1], 0, v54, s[0:1]
	v_lshlrev_b64 v[53:54], 2, v[0:1]
	s_add_u32 s33, s33, s9
	v_cmp_le_i64_e64 s[0:1], s[6:7], v[53:54]
	s_addc_u32 s34, s34, 0
	s_add_u32 s26, s26, s9
	s_addc_u32 s27, s27, 0
	s_add_u32 s30, s30, s9
	;; [unrolled: 2-line block ×3, first 2 shown]
	s_addc_u32 s29, s29, 0
	s_or_b64 s[4:5], s[0:1], s[4:5]
	s_waitcnt vmcnt(10)
	v_mul_f64 v[53:54], v[9:10], v[5:6]
	v_mul_f64 v[5:6], v[7:8], v[5:6]
	s_waitcnt vmcnt(8)
	v_mul_f64 v[55:56], v[13:14], v[17:18]
	v_fma_f64 v[7:8], v[7:8], v[3:4], -v[53:54]
	v_fma_f64 v[3:4], v[9:10], v[3:4], v[5:6]
	v_mul_f64 v[5:6], v[11:12], v[17:18]
	s_waitcnt vmcnt(6)
	v_mul_f64 v[9:10], v[25:26], v[21:22]
	v_mul_f64 v[17:18], v[23:24], v[21:22]
	s_waitcnt vmcnt(4)
	v_mul_f64 v[21:22], v[27:28], v[33:34]
	v_fma_f64 v[11:12], v[11:12], v[15:16], -v[55:56]
	v_fma_f64 v[5:6], v[13:14], v[15:16], v[5:6]
	v_mul_f64 v[13:14], v[29:30], v[33:34]
	v_fma_f64 v[15:16], v[25:26], v[19:20], v[17:18]
	v_fma_f64 v[9:10], v[23:24], v[19:20], -v[9:10]
	v_fma_f64 v[17:18], v[29:30], v[31:32], v[21:22]
	v_mul_f64 v[19:20], s[14:15], v[3:4]
	v_mul_f64 v[21:22], s[14:15], v[7:8]
	;; [unrolled: 1-line block ×4, first 2 shown]
	v_fma_f64 v[13:14], v[27:28], v[31:32], -v[13:14]
	v_mul_f64 v[27:28], s[14:15], v[15:16]
	v_mul_f64 v[29:30], s[14:15], v[9:10]
	;; [unrolled: 1-line block ×3, first 2 shown]
	v_fma_f64 v[19:20], s[12:13], v[7:8], -v[19:20]
	v_fma_f64 v[21:22], s[12:13], v[3:4], v[21:22]
	v_fma_f64 v[25:26], s[12:13], v[5:6], v[25:26]
	v_fma_f64 v[23:24], s[12:13], v[11:12], -v[23:24]
	v_mul_f64 v[33:34], s[14:15], v[13:14]
	v_fma_f64 v[27:28], s[12:13], v[9:10], -v[27:28]
	v_fma_f64 v[29:30], s[12:13], v[15:16], v[29:30]
	v_fma_f64 v[31:32], s[12:13], v[13:14], -v[31:32]
	v_cndmask_b32_e32 v8, v20, v8, vcc
	v_cndmask_b32_e32 v7, v19, v7, vcc
	;; [unrolled: 1-line block ×4, first 2 shown]
	v_fma_f64 v[33:34], s[12:13], v[17:18], v[33:34]
	v_cndmask_b32_e32 v12, v24, v12, vcc
	v_cndmask_b32_e32 v11, v23, v11, vcc
	v_cndmask_b32_e32 v20, v26, v6, vcc
	v_cndmask_b32_e32 v19, v25, v5, vcc
	s_waitcnt vmcnt(3)
	v_add_f64 v[5:6], v[37:38], v[3:4]
	v_add_f64 v[3:4], v[35:36], v[7:8]
	v_cndmask_b32_e32 v22, v28, v10, vcc
	v_cndmask_b32_e32 v21, v27, v9, vcc
	v_cndmask_b32_e32 v16, v30, v16, vcc
	v_cndmask_b32_e32 v15, v29, v15, vcc
	s_waitcnt vmcnt(2)
	v_add_f64 v[9:10], v[41:42], v[19:20]
	v_add_f64 v[7:8], v[39:40], v[11:12]
	;; [unrolled: 7-line block ×3, first 2 shown]
	s_waitcnt vmcnt(0)
	v_add_f64 v[17:18], v[49:50], v[17:18]
	v_add_f64 v[15:16], v[47:48], v[23:24]
	global_store_dwordx4 v[51:52], v[3:6], off
	global_store_dwordx4 v[51:52], v[7:10], off offset:16
	global_store_dwordx4 v[51:52], v[11:14], off offset:32
	;; [unrolled: 1-line block ×3, first 2 shown]
	s_andn2_b64 exec, exec, s[4:5]
	s_cbranch_execnz .LBB7_32
.LBB7_33:
	s_endpgm
	.section	.rodata,"a",@progbits
	.p2align	6, 0x0
	.amdhsa_kernel _ZN2at6native12_GLOBAL__N_125multi_tensor_apply_kernelINS1_18TensorListMetadataILi4EEENS1_24PointwiseOpScalarFunctorIN3c107complexIdEELi4ELi3ELi3EEEJSt10multipliesIS8_ES8_EEEvT_T0_DpT1_
		.amdhsa_group_segment_fixed_size 0
		.amdhsa_private_segment_fixed_size 0
		.amdhsa_kernarg_size 3328
		.amdhsa_user_sgpr_count 6
		.amdhsa_user_sgpr_private_segment_buffer 1
		.amdhsa_user_sgpr_dispatch_ptr 0
		.amdhsa_user_sgpr_queue_ptr 0
		.amdhsa_user_sgpr_kernarg_segment_ptr 1
		.amdhsa_user_sgpr_dispatch_id 0
		.amdhsa_user_sgpr_flat_scratch_init 0
		.amdhsa_user_sgpr_private_segment_size 0
		.amdhsa_uses_dynamic_stack 0
		.amdhsa_system_sgpr_private_segment_wavefront_offset 0
		.amdhsa_system_sgpr_workgroup_id_x 1
		.amdhsa_system_sgpr_workgroup_id_y 0
		.amdhsa_system_sgpr_workgroup_id_z 0
		.amdhsa_system_sgpr_workgroup_info 0
		.amdhsa_system_vgpr_workitem_id 0
		.amdhsa_next_free_vgpr 59
		.amdhsa_next_free_sgpr 39
		.amdhsa_reserve_vcc 1
		.amdhsa_reserve_flat_scratch 0
		.amdhsa_float_round_mode_32 0
		.amdhsa_float_round_mode_16_64 0
		.amdhsa_float_denorm_mode_32 3
		.amdhsa_float_denorm_mode_16_64 3
		.amdhsa_dx10_clamp 1
		.amdhsa_ieee_mode 1
		.amdhsa_fp16_overflow 0
		.amdhsa_exception_fp_ieee_invalid_op 0
		.amdhsa_exception_fp_denorm_src 0
		.amdhsa_exception_fp_ieee_div_zero 0
		.amdhsa_exception_fp_ieee_overflow 0
		.amdhsa_exception_fp_ieee_underflow 0
		.amdhsa_exception_fp_ieee_inexact 0
		.amdhsa_exception_int_div_zero 0
	.end_amdhsa_kernel
	.section	.text._ZN2at6native12_GLOBAL__N_125multi_tensor_apply_kernelINS1_18TensorListMetadataILi4EEENS1_24PointwiseOpScalarFunctorIN3c107complexIdEELi4ELi3ELi3EEEJSt10multipliesIS8_ES8_EEEvT_T0_DpT1_,"axG",@progbits,_ZN2at6native12_GLOBAL__N_125multi_tensor_apply_kernelINS1_18TensorListMetadataILi4EEENS1_24PointwiseOpScalarFunctorIN3c107complexIdEELi4ELi3ELi3EEEJSt10multipliesIS8_ES8_EEEvT_T0_DpT1_,comdat
.Lfunc_end7:
	.size	_ZN2at6native12_GLOBAL__N_125multi_tensor_apply_kernelINS1_18TensorListMetadataILi4EEENS1_24PointwiseOpScalarFunctorIN3c107complexIdEELi4ELi3ELi3EEEJSt10multipliesIS8_ES8_EEEvT_T0_DpT1_, .Lfunc_end7-_ZN2at6native12_GLOBAL__N_125multi_tensor_apply_kernelINS1_18TensorListMetadataILi4EEENS1_24PointwiseOpScalarFunctorIN3c107complexIdEELi4ELi3ELi3EEEJSt10multipliesIS8_ES8_EEEvT_T0_DpT1_
                                        ; -- End function
	.set _ZN2at6native12_GLOBAL__N_125multi_tensor_apply_kernelINS1_18TensorListMetadataILi4EEENS1_24PointwiseOpScalarFunctorIN3c107complexIdEELi4ELi3ELi3EEEJSt10multipliesIS8_ES8_EEEvT_T0_DpT1_.num_vgpr, 59
	.set _ZN2at6native12_GLOBAL__N_125multi_tensor_apply_kernelINS1_18TensorListMetadataILi4EEENS1_24PointwiseOpScalarFunctorIN3c107complexIdEELi4ELi3ELi3EEEJSt10multipliesIS8_ES8_EEEvT_T0_DpT1_.num_agpr, 0
	.set _ZN2at6native12_GLOBAL__N_125multi_tensor_apply_kernelINS1_18TensorListMetadataILi4EEENS1_24PointwiseOpScalarFunctorIN3c107complexIdEELi4ELi3ELi3EEEJSt10multipliesIS8_ES8_EEEvT_T0_DpT1_.numbered_sgpr, 39
	.set _ZN2at6native12_GLOBAL__N_125multi_tensor_apply_kernelINS1_18TensorListMetadataILi4EEENS1_24PointwiseOpScalarFunctorIN3c107complexIdEELi4ELi3ELi3EEEJSt10multipliesIS8_ES8_EEEvT_T0_DpT1_.num_named_barrier, 0
	.set _ZN2at6native12_GLOBAL__N_125multi_tensor_apply_kernelINS1_18TensorListMetadataILi4EEENS1_24PointwiseOpScalarFunctorIN3c107complexIdEELi4ELi3ELi3EEEJSt10multipliesIS8_ES8_EEEvT_T0_DpT1_.private_seg_size, 0
	.set _ZN2at6native12_GLOBAL__N_125multi_tensor_apply_kernelINS1_18TensorListMetadataILi4EEENS1_24PointwiseOpScalarFunctorIN3c107complexIdEELi4ELi3ELi3EEEJSt10multipliesIS8_ES8_EEEvT_T0_DpT1_.uses_vcc, 1
	.set _ZN2at6native12_GLOBAL__N_125multi_tensor_apply_kernelINS1_18TensorListMetadataILi4EEENS1_24PointwiseOpScalarFunctorIN3c107complexIdEELi4ELi3ELi3EEEJSt10multipliesIS8_ES8_EEEvT_T0_DpT1_.uses_flat_scratch, 0
	.set _ZN2at6native12_GLOBAL__N_125multi_tensor_apply_kernelINS1_18TensorListMetadataILi4EEENS1_24PointwiseOpScalarFunctorIN3c107complexIdEELi4ELi3ELi3EEEJSt10multipliesIS8_ES8_EEEvT_T0_DpT1_.has_dyn_sized_stack, 0
	.set _ZN2at6native12_GLOBAL__N_125multi_tensor_apply_kernelINS1_18TensorListMetadataILi4EEENS1_24PointwiseOpScalarFunctorIN3c107complexIdEELi4ELi3ELi3EEEJSt10multipliesIS8_ES8_EEEvT_T0_DpT1_.has_recursion, 0
	.set _ZN2at6native12_GLOBAL__N_125multi_tensor_apply_kernelINS1_18TensorListMetadataILi4EEENS1_24PointwiseOpScalarFunctorIN3c107complexIdEELi4ELi3ELi3EEEJSt10multipliesIS8_ES8_EEEvT_T0_DpT1_.has_indirect_call, 0
	.section	.AMDGPU.csdata,"",@progbits
; Kernel info:
; codeLenInByte = 2684
; TotalNumSgprs: 43
; NumVgprs: 59
; ScratchSize: 0
; MemoryBound: 1
; FloatMode: 240
; IeeeMode: 1
; LDSByteSize: 0 bytes/workgroup (compile time only)
; SGPRBlocks: 5
; VGPRBlocks: 14
; NumSGPRsForWavesPerEU: 43
; NumVGPRsForWavesPerEU: 59
; Occupancy: 4
; WaveLimiterHint : 0
; COMPUTE_PGM_RSRC2:SCRATCH_EN: 0
; COMPUTE_PGM_RSRC2:USER_SGPR: 6
; COMPUTE_PGM_RSRC2:TRAP_HANDLER: 0
; COMPUTE_PGM_RSRC2:TGID_X_EN: 1
; COMPUTE_PGM_RSRC2:TGID_Y_EN: 0
; COMPUTE_PGM_RSRC2:TGID_Z_EN: 0
; COMPUTE_PGM_RSRC2:TIDIG_COMP_CNT: 0
	.section	.text._ZN2at6native12_GLOBAL__N_125multi_tensor_apply_kernelINS1_18TensorListMetadataILi4EEENS1_24PointwiseOpScalarFunctorIN3c107complexIfEELi4ELi3ELi3EEEJSt10multipliesIS8_ES8_EEEvT_T0_DpT1_,"axG",@progbits,_ZN2at6native12_GLOBAL__N_125multi_tensor_apply_kernelINS1_18TensorListMetadataILi4EEENS1_24PointwiseOpScalarFunctorIN3c107complexIfEELi4ELi3ELi3EEEJSt10multipliesIS8_ES8_EEEvT_T0_DpT1_,comdat
	.globl	_ZN2at6native12_GLOBAL__N_125multi_tensor_apply_kernelINS1_18TensorListMetadataILi4EEENS1_24PointwiseOpScalarFunctorIN3c107complexIfEELi4ELi3ELi3EEEJSt10multipliesIS8_ES8_EEEvT_T0_DpT1_ ; -- Begin function _ZN2at6native12_GLOBAL__N_125multi_tensor_apply_kernelINS1_18TensorListMetadataILi4EEENS1_24PointwiseOpScalarFunctorIN3c107complexIfEELi4ELi3ELi3EEEJSt10multipliesIS8_ES8_EEEvT_T0_DpT1_
	.p2align	8
	.type	_ZN2at6native12_GLOBAL__N_125multi_tensor_apply_kernelINS1_18TensorListMetadataILi4EEENS1_24PointwiseOpScalarFunctorIN3c107complexIfEELi4ELi3ELi3EEEJSt10multipliesIS8_ES8_EEEvT_T0_DpT1_,@function
_ZN2at6native12_GLOBAL__N_125multi_tensor_apply_kernelINS1_18TensorListMetadataILi4EEENS1_24PointwiseOpScalarFunctorIN3c107complexIfEELi4ELi3ELi3EEEJSt10multipliesIS8_ES8_EEEvT_T0_DpT1_: ; @_ZN2at6native12_GLOBAL__N_125multi_tensor_apply_kernelINS1_18TensorListMetadataILi4EEENS1_24PointwiseOpScalarFunctorIN3c107complexIfEELi4ELi3ELi3EEEJSt10multipliesIS8_ES8_EEEvT_T0_DpT1_
; %bb.0:
	v_mov_b32_e32 v1, s6
	global_load_ubyte v1, v1, s[4:5] offset:1440
	s_add_u32 s0, s4, s6
	s_mul_hi_u32 s1, s6, 3
	s_mul_i32 s6, s6, 3
	s_addc_u32 s2, s5, 0
	s_add_u32 s0, s0, s6
	s_addc_u32 s1, s2, s1
	s_load_dword s0, s[0:1], 0x6e0
	s_mov_b32 s3, 0
	s_mov_b32 s7, s3
	s_waitcnt lgkmcnt(0)
	s_ashr_i32 s1, s0, 31
	s_lshl_b64 s[8:9], s[0:1], 19
	s_waitcnt vmcnt(0)
	v_readfirstlane_b32 s2, v1
	s_lshl_b32 s2, s2, 3
	s_load_dwordx2 s[10:11], s[4:5], s2 offset:0x0
	s_load_dwordx2 s[12:13], s[4:5], 0xbf0
	s_load_dwordx2 s[16:17], s[4:5], s2 offset:0x480
	s_load_dwordx2 s[14:15], s[4:5], s2 offset:0x120
	;; [unrolled: 1-line block ×4, first 2 shown]
	s_waitcnt lgkmcnt(0)
	s_add_u32 s24, s10, s8
	s_addc_u32 s25, s11, s9
	s_add_u32 s26, s14, s8
	s_addc_u32 s27, s15, s9
	s_and_b32 s2, s26, 31
	s_add_u32 s28, s18, s8
	s_addc_u32 s29, s19, s9
	s_add_u32 s30, s20, s8
	s_addc_u32 s31, s21, s9
	s_or_b32 s6, s30, s28
	s_and_b32 s6, s6, 31
	s_cmp_eq_u32 s6, 0
	s_cselect_b64 s[8:9], -1, 0
	s_and_b32 s6, s24, 31
	s_cmp_eq_u64 s[2:3], 0
	s_cselect_b64 s[10:11], -1, 0
	s_lshl_b64 s[0:1], s[0:1], 16
	s_and_b64 s[8:9], s[8:9], s[10:11]
	s_sub_u32 s14, s16, s0
	s_subb_u32 s15, s17, s1
	s_and_b32 s2, s16, 3
	s_or_b64 s[0:1], s[6:7], s[2:3]
	s_cmp_eq_u64 s[0:1], 0
	s_cselect_b64 s[0:1], -1, 0
	s_and_b64 s[2:3], s[8:9], s[0:1]
	s_mov_b64 s[0:1], -1
	s_and_b64 vcc, exec, s[2:3]
	s_cbranch_vccnz .LBB8_29
; %bb.1:
	v_cmp_lt_i64_e64 s[0:1], s[14:15], 1
	s_and_b64 vcc, exec, s[0:1]
	s_cbranch_vccnz .LBB8_28
; %bb.2:
	v_mov_b32_e32 v1, 0x10000
	s_load_dword s2, s[4:5], 0xc04
	v_mov_b32_e32 v2, 0
	v_cmp_lt_i64_e32 vcc, s[14:15], v[1:2]
	s_mov_b64 s[20:21], 0
	s_and_b64 s[0:1], vcc, exec
	v_cmp_lt_u64_e32 vcc, s[14:15], v[1:2]
	s_cselect_b32 s17, s15, 0
	s_cselect_b32 s16, s14, 0x10000
	s_waitcnt lgkmcnt(0)
	s_and_b32 s33, s2, 0xffff
	s_and_b64 s[0:1], vcc, exec
	s_cselect_b32 s19, s15, 0
	s_cselect_b32 s18, s14, 0x10000
	s_lshl_b32 s34, s33, 1
	s_and_b32 s2, s13, 0x7fffffff
	s_cmp_eq_u32 s2, 0
	v_cmp_eq_f32_e64 s[0:1], s12, 1.0
	s_cselect_b64 s[2:3], -1, 0
	s_mul_i32 s35, s33, 3
	s_and_b64 s[0:1], s[0:1], s[2:3]
	s_lshl_b32 s36, s33, 2
	s_branch .LBB8_4
.LBB8_3:                                ;   in Loop: Header=BB8_4 Depth=1
	s_or_b64 exec, exec, s[2:3]
	s_add_u32 s20, s20, s36
	v_mov_b32_e32 v1, s16
	s_addc_u32 s21, s21, 0
	v_mov_b32_e32 v2, s17
	v_cmp_lt_i64_e32 vcc, s[20:21], v[1:2]
	s_cbranch_vccz .LBB8_28
.LBB8_4:                                ; =>This Inner Loop Header: Depth=1
	v_mov_b32_e32 v2, s21
	v_add_co_u32_e32 v1, vcc, s20, v0
	v_addc_co_u32_e32 v2, vcc, 0, v2, vcc
	v_cmp_gt_u64_e32 vcc, s[18:19], v[1:2]
	s_waitcnt vmcnt(0)
	v_mov_b32_e32 v6, 0
	v_mov_b32_e32 v5, 0
	;; [unrolled: 1-line block ×4, first 2 shown]
	s_and_saveexec_b64 s[6:7], vcc
	s_cbranch_execz .LBB8_6
; %bb.5:                                ;   in Loop: Header=BB8_4 Depth=1
	v_lshlrev_b64 v[5:6], 3, v[1:2]
	v_mov_b32_e32 v4, s25
	v_add_co_u32_e64 v3, s[2:3], s24, v5
	v_addc_co_u32_e64 v4, s[2:3], v4, v6, s[2:3]
	v_mov_b32_e32 v7, s27
	v_add_co_u32_e64 v5, s[2:3], s26, v5
	v_addc_co_u32_e64 v6, s[2:3], v7, v6, s[2:3]
	global_load_dwordx2 v[3:4], v[3:4], off
	s_nop 0
	global_load_dwordx2 v[5:6], v[5:6], off
.LBB8_6:                                ;   in Loop: Header=BB8_4 Depth=1
	s_or_b64 exec, exec, s[6:7]
	v_mov_b32_e32 v10, 0
	v_mov_b32_e32 v14, 0
	;; [unrolled: 1-line block ×3, first 2 shown]
	s_and_saveexec_b64 s[6:7], vcc
	s_cbranch_execz .LBB8_8
; %bb.7:                                ;   in Loop: Header=BB8_4 Depth=1
	v_lshlrev_b64 v[7:8], 3, v[1:2]
	v_mov_b32_e32 v9, s29
	v_add_co_u32_e64 v7, s[2:3], s28, v7
	v_addc_co_u32_e64 v8, s[2:3], v9, v8, s[2:3]
	global_load_dwordx2 v[13:14], v[7:8], off
.LBB8_8:                                ;   in Loop: Header=BB8_4 Depth=1
	s_or_b64 exec, exec, s[6:7]
	v_add_co_u32_e64 v7, s[2:3], s33, v1
	v_addc_co_u32_e64 v8, s[2:3], 0, v2, s[2:3]
	v_cmp_gt_u64_e64 s[2:3], s[18:19], v[7:8]
	v_mov_b32_e32 v9, 0
	v_mov_b32_e32 v12, 0
	;; [unrolled: 1-line block ×3, first 2 shown]
	s_and_saveexec_b64 s[8:9], s[2:3]
	s_cbranch_execz .LBB8_10
; %bb.9:                                ;   in Loop: Header=BB8_4 Depth=1
	v_lshlrev_b64 v[9:10], 3, v[7:8]
	v_mov_b32_e32 v12, s25
	v_add_co_u32_e64 v11, s[6:7], s24, v9
	v_addc_co_u32_e64 v12, s[6:7], v12, v10, s[6:7]
	v_mov_b32_e32 v15, s27
	v_add_co_u32_e64 v9, s[6:7], s26, v9
	v_addc_co_u32_e64 v10, s[6:7], v15, v10, s[6:7]
	global_load_dwordx2 v[11:12], v[11:12], off
	s_nop 0
	global_load_dwordx2 v[9:10], v[9:10], off
.LBB8_10:                               ;   in Loop: Header=BB8_4 Depth=1
	s_or_b64 exec, exec, s[8:9]
	v_mov_b32_e32 v18, 0
	v_mov_b32_e32 v22, 0
	;; [unrolled: 1-line block ×3, first 2 shown]
	s_and_saveexec_b64 s[8:9], s[2:3]
	s_cbranch_execz .LBB8_12
; %bb.11:                               ;   in Loop: Header=BB8_4 Depth=1
	v_lshlrev_b64 v[15:16], 3, v[7:8]
	v_mov_b32_e32 v17, s29
	v_add_co_u32_e64 v15, s[6:7], s28, v15
	v_addc_co_u32_e64 v16, s[6:7], v17, v16, s[6:7]
	global_load_dwordx2 v[21:22], v[15:16], off
.LBB8_12:                               ;   in Loop: Header=BB8_4 Depth=1
	s_or_b64 exec, exec, s[8:9]
	v_add_co_u32_e64 v15, s[6:7], s34, v1
	v_addc_co_u32_e64 v16, s[6:7], 0, v2, s[6:7]
	v_cmp_gt_u64_e64 s[6:7], s[18:19], v[15:16]
	v_mov_b32_e32 v17, 0
	v_mov_b32_e32 v20, 0
	;; [unrolled: 1-line block ×3, first 2 shown]
	s_and_saveexec_b64 s[10:11], s[6:7]
	s_cbranch_execz .LBB8_14
; %bb.13:                               ;   in Loop: Header=BB8_4 Depth=1
	v_lshlrev_b64 v[17:18], 3, v[15:16]
	v_mov_b32_e32 v20, s25
	v_add_co_u32_e64 v19, s[8:9], s24, v17
	v_addc_co_u32_e64 v20, s[8:9], v20, v18, s[8:9]
	v_mov_b32_e32 v23, s27
	v_add_co_u32_e64 v17, s[8:9], s26, v17
	v_addc_co_u32_e64 v18, s[8:9], v23, v18, s[8:9]
	global_load_dwordx2 v[19:20], v[19:20], off
	s_nop 0
	global_load_dwordx2 v[17:18], v[17:18], off
.LBB8_14:                               ;   in Loop: Header=BB8_4 Depth=1
	s_or_b64 exec, exec, s[10:11]
	v_mov_b32_e32 v26, 0
	v_mov_b32_e32 v30, 0
	v_mov_b32_e32 v29, 0
	s_and_saveexec_b64 s[10:11], s[6:7]
	s_cbranch_execz .LBB8_16
; %bb.15:                               ;   in Loop: Header=BB8_4 Depth=1
	v_lshlrev_b64 v[23:24], 3, v[15:16]
	v_mov_b32_e32 v25, s29
	v_add_co_u32_e64 v23, s[8:9], s28, v23
	v_addc_co_u32_e64 v24, s[8:9], v25, v24, s[8:9]
	global_load_dwordx2 v[29:30], v[23:24], off
.LBB8_16:                               ;   in Loop: Header=BB8_4 Depth=1
	s_or_b64 exec, exec, s[10:11]
	v_add_co_u32_e64 v23, s[8:9], s35, v1
	v_addc_co_u32_e64 v24, s[8:9], 0, v2, s[8:9]
	v_cmp_gt_u64_e64 s[8:9], s[18:19], v[23:24]
	v_mov_b32_e32 v25, 0
	v_mov_b32_e32 v28, 0
	;; [unrolled: 1-line block ×3, first 2 shown]
	s_and_saveexec_b64 s[22:23], s[8:9]
	s_cbranch_execz .LBB8_18
; %bb.17:                               ;   in Loop: Header=BB8_4 Depth=1
	v_lshlrev_b64 v[25:26], 3, v[23:24]
	v_mov_b32_e32 v28, s25
	v_add_co_u32_e64 v27, s[10:11], s24, v25
	v_addc_co_u32_e64 v28, s[10:11], v28, v26, s[10:11]
	v_mov_b32_e32 v31, s27
	v_add_co_u32_e64 v25, s[10:11], s26, v25
	v_addc_co_u32_e64 v26, s[10:11], v31, v26, s[10:11]
	global_load_dwordx2 v[27:28], v[27:28], off
	s_nop 0
	global_load_dwordx2 v[25:26], v[25:26], off
.LBB8_18:                               ;   in Loop: Header=BB8_4 Depth=1
	s_or_b64 exec, exec, s[22:23]
	v_mov_b32_e32 v32, 0
	v_mov_b32_e32 v31, 0
	s_and_saveexec_b64 s[22:23], s[8:9]
	s_cbranch_execnz .LBB8_23
; %bb.19:                               ;   in Loop: Header=BB8_4 Depth=1
	s_or_b64 exec, exec, s[22:23]
	s_and_saveexec_b64 s[10:11], vcc
	s_cbranch_execnz .LBB8_24
.LBB8_20:                               ;   in Loop: Header=BB8_4 Depth=1
	s_or_b64 exec, exec, s[10:11]
	s_and_saveexec_b64 s[10:11], s[2:3]
	s_cbranch_execnz .LBB8_25
.LBB8_21:                               ;   in Loop: Header=BB8_4 Depth=1
	s_or_b64 exec, exec, s[10:11]
	s_and_saveexec_b64 s[2:3], s[6:7]
	s_cbranch_execnz .LBB8_26
.LBB8_22:                               ;   in Loop: Header=BB8_4 Depth=1
	s_or_b64 exec, exec, s[2:3]
	s_and_saveexec_b64 s[2:3], s[8:9]
	s_cbranch_execz .LBB8_3
	s_branch .LBB8_27
.LBB8_23:                               ;   in Loop: Header=BB8_4 Depth=1
	v_lshlrev_b64 v[31:32], 3, v[23:24]
	v_mov_b32_e32 v33, s29
	v_add_co_u32_e64 v31, s[10:11], s28, v31
	v_addc_co_u32_e64 v32, s[10:11], v33, v32, s[10:11]
	global_load_dwordx2 v[31:32], v[31:32], off
	s_or_b64 exec, exec, s[22:23]
	s_and_saveexec_b64 s[10:11], vcc
	s_cbranch_execz .LBB8_20
.LBB8_24:                               ;   in Loop: Header=BB8_4 Depth=1
	s_waitcnt vmcnt(0)
	v_mul_f32_e32 v33, v6, v13
	v_mul_f32_e32 v6, v6, v14
	v_fmac_f32_e32 v33, v5, v14
	v_fma_f32 v5, v5, v13, -v6
	v_mul_f32_e32 v6, s13, v5
	v_fmac_f32_e32 v6, s12, v33
	v_cndmask_b32_e64 v6, v6, v33, s[0:1]
	v_add_f32_e32 v4, v4, v6
	v_mul_f32_e32 v6, s13, v33
	v_fma_f32 v6, v5, s12, -v6
	v_lshlrev_b64 v[1:2], 3, v[1:2]
	v_cndmask_b32_e64 v5, v6, v5, s[0:1]
	v_add_f32_e32 v3, v3, v5
	v_mov_b32_e32 v5, s31
	v_add_co_u32_e32 v1, vcc, s30, v1
	v_addc_co_u32_e32 v2, vcc, v5, v2, vcc
	global_store_dwordx2 v[1:2], v[3:4], off
	s_or_b64 exec, exec, s[10:11]
	s_and_saveexec_b64 s[10:11], s[2:3]
	s_cbranch_execz .LBB8_21
.LBB8_25:                               ;   in Loop: Header=BB8_4 Depth=1
	s_waitcnt vmcnt(0)
	v_mul_f32_e32 v1, v10, v22
	v_mul_f32_e32 v2, v10, v21
	v_fma_f32 v1, v9, v21, -v1
	v_fmac_f32_e32 v2, v9, v22
	v_mul_f32_e32 v3, s13, v2
	v_mul_f32_e32 v4, s13, v1
	v_fma_f32 v3, v1, s12, -v3
	v_fmac_f32_e32 v4, s12, v2
	v_cndmask_b32_e64 v1, v3, v1, s[0:1]
	v_cndmask_b32_e64 v2, v4, v2, s[0:1]
	v_lshlrev_b64 v[3:4], 3, v[7:8]
	v_mov_b32_e32 v5, s31
	v_add_co_u32_e32 v3, vcc, s30, v3
	v_add_f32_e32 v1, v11, v1
	v_add_f32_e32 v2, v12, v2
	v_addc_co_u32_e32 v4, vcc, v5, v4, vcc
	global_store_dwordx2 v[3:4], v[1:2], off
	s_or_b64 exec, exec, s[10:11]
	s_and_saveexec_b64 s[2:3], s[6:7]
	s_cbranch_execz .LBB8_22
.LBB8_26:                               ;   in Loop: Header=BB8_4 Depth=1
	s_waitcnt vmcnt(0)
	v_mul_f32_e32 v1, v18, v30
	v_mul_f32_e32 v2, v18, v29
	v_fma_f32 v1, v17, v29, -v1
	v_fmac_f32_e32 v2, v17, v30
	v_mul_f32_e32 v3, s13, v2
	v_mul_f32_e32 v4, s13, v1
	v_fma_f32 v3, v1, s12, -v3
	v_fmac_f32_e32 v4, s12, v2
	v_cndmask_b32_e64 v1, v3, v1, s[0:1]
	v_cndmask_b32_e64 v2, v4, v2, s[0:1]
	v_lshlrev_b64 v[3:4], 3, v[15:16]
	v_mov_b32_e32 v5, s31
	v_add_co_u32_e32 v3, vcc, s30, v3
	v_add_f32_e32 v1, v19, v1
	v_add_f32_e32 v2, v20, v2
	v_addc_co_u32_e32 v4, vcc, v5, v4, vcc
	global_store_dwordx2 v[3:4], v[1:2], off
	s_or_b64 exec, exec, s[2:3]
	s_and_saveexec_b64 s[2:3], s[8:9]
	s_cbranch_execz .LBB8_3
.LBB8_27:                               ;   in Loop: Header=BB8_4 Depth=1
	s_waitcnt vmcnt(0)
	v_mul_f32_e32 v1, v26, v32
	v_mul_f32_e32 v2, v26, v31
	v_fma_f32 v1, v25, v31, -v1
	v_fmac_f32_e32 v2, v25, v32
	v_mul_f32_e32 v3, s13, v2
	v_mul_f32_e32 v4, s13, v1
	v_fma_f32 v3, v1, s12, -v3
	v_fmac_f32_e32 v4, s12, v2
	v_cndmask_b32_e64 v1, v3, v1, s[0:1]
	v_cndmask_b32_e64 v2, v4, v2, s[0:1]
	v_lshlrev_b64 v[3:4], 3, v[23:24]
	v_mov_b32_e32 v5, s31
	v_add_co_u32_e32 v3, vcc, s30, v3
	v_add_f32_e32 v1, v27, v1
	v_add_f32_e32 v2, v28, v2
	v_addc_co_u32_e32 v4, vcc, v5, v4, vcc
	global_store_dwordx2 v[3:4], v[1:2], off
	s_branch .LBB8_3
.LBB8_28:
	s_mov_b64 s[0:1], 0
.LBB8_29:
	s_andn2_b64 vcc, exec, s[0:1]
	s_cbranch_vccnz .LBB8_33
; %bb.30:
	v_mov_b32_e32 v1, 0x10000
	v_mov_b32_e32 v2, 0
	v_cmp_lt_i64_e32 vcc, s[14:15], v[1:2]
	v_mov_b32_e32 v2, 0
	s_and_b64 s[0:1], vcc, exec
	s_cselect_b32 s7, s15, 0
	s_cselect_b32 s6, s14, 0x10000
	v_lshlrev_b32_e32 v1, 2, v0
	v_cmp_gt_i64_e32 vcc, s[6:7], v[1:2]
	s_and_saveexec_b64 s[0:1], vcc
	s_cbranch_execz .LBB8_33
; %bb.31:
	s_load_dword s4, s[4:5], 0xc04
	s_and_b32 s2, s13, 0x7fffffff
	s_cmp_eq_u32 s2, 0
	v_cmp_eq_f32_e64 s[0:1], s12, 1.0
	s_cselect_b64 s[2:3], -1, 0
	s_waitcnt lgkmcnt(0)
	s_and_b32 s10, s4, 0xffff
	v_mov_b32_e32 v1, v2
	s_and_b64 vcc, s[0:1], s[2:3]
	v_lshlrev_b32_e32 v2, 5, v0
	s_lshl_b32 s11, s10, 5
	s_mov_b64 s[8:9], 0
.LBB8_32:                               ; =>This Inner Loop Header: Depth=1
	s_waitcnt vmcnt(0)
	v_mov_b32_e32 v5, s29
	v_add_co_u32_e64 v27, s[0:1], s28, v2
	v_mov_b32_e32 v3, s25
	v_mov_b32_e32 v4, s27
	v_add_co_u32_e64 v29, s[2:3], s24, v2
	v_add_co_u32_e64 v31, s[4:5], s26, v2
	v_addc_co_u32_e64 v28, s[0:1], 0, v5, s[0:1]
	v_addc_co_u32_e64 v32, s[4:5], 0, v4, s[4:5]
	v_addc_co_u32_e64 v30, s[0:1], 0, v3, s[2:3]
	global_load_dwordx4 v[3:6], v[27:28], off
	global_load_dwordx4 v[7:10], v[31:32], off
	global_load_dwordx4 v[11:14], v[31:32], off offset:16
	global_load_dwordx4 v[15:18], v[27:28], off offset:16
	global_load_dwordx4 v[19:22], v[29:30], off
	global_load_dwordx4 v[23:26], v[29:30], off offset:16
	v_add_co_u32_e64 v0, s[2:3], s10, v0
	v_mov_b32_e32 v28, s31
	v_addc_co_u32_e64 v1, s[2:3], 0, v1, s[2:3]
	s_waitcnt vmcnt(4)
	v_mul_f32_e32 v27, v8, v4
	v_mul_f32_e32 v29, v7, v4
	v_fma_f32 v7, v7, v3, -v27
	v_add_co_u32_e64 v27, s[0:1], s30, v2
	s_add_u32 s30, s30, s11
	v_mul_f32_e32 v4, v10, v6
	s_addc_u32 s31, s31, 0
	v_fmac_f32_e32 v29, v8, v3
	v_fma_f32 v8, v9, v5, -v4
	v_lshlrev_b64 v[3:4], 2, v[0:1]
	s_add_u32 s24, s24, s11
	v_mul_f32_e32 v6, v9, v6
	v_addc_co_u32_e64 v28, s[0:1], 0, v28, s[0:1]
	s_addc_u32 s25, s25, 0
	v_fmac_f32_e32 v6, v10, v5
	v_cmp_le_i64_e64 s[0:1], s[6:7], v[3:4]
	s_add_u32 s28, s28, s11
	s_waitcnt vmcnt(2)
	v_mul_f32_e32 v3, v12, v16
	v_mul_f32_e32 v4, v11, v16
	v_mul_f32_e32 v5, v14, v18
	v_mul_f32_e32 v9, v13, v18
	s_addc_u32 s29, s29, 0
	v_fma_f32 v3, v11, v15, -v3
	v_fmac_f32_e32 v4, v12, v15
	v_fma_f32 v5, v13, v17, -v5
	v_fmac_f32_e32 v9, v14, v17
	v_mul_f32_e32 v10, s13, v29
	v_mul_f32_e32 v11, s13, v7
	;; [unrolled: 1-line block ×4, first 2 shown]
	s_add_u32 s26, s26, s11
	v_mul_f32_e32 v14, s13, v4
	v_mul_f32_e32 v15, s13, v3
	;; [unrolled: 1-line block ×4, first 2 shown]
	v_fma_f32 v10, v7, s12, -v10
	v_fmac_f32_e32 v11, s12, v29
	v_fma_f32 v12, v8, s12, -v12
	v_fmac_f32_e32 v13, s12, v6
	s_addc_u32 s27, s27, 0
	v_fma_f32 v14, v3, s12, -v14
	v_fmac_f32_e32 v15, s12, v4
	v_fma_f32 v16, v5, s12, -v16
	v_fmac_f32_e32 v17, s12, v9
	v_cndmask_b32_e32 v7, v10, v7, vcc
	v_cndmask_b32_e32 v10, v11, v29, vcc
	;; [unrolled: 1-line block ×4, first 2 shown]
	s_or_b64 s[8:9], s[0:1], s[8:9]
	v_cndmask_b32_e32 v11, v14, v3, vcc
	v_cndmask_b32_e32 v12, v15, v4, vcc
	;; [unrolled: 1-line block ×4, first 2 shown]
	s_waitcnt vmcnt(1)
	v_add_f32_e32 v3, v19, v7
	v_add_f32_e32 v4, v20, v10
	;; [unrolled: 1-line block ×4, first 2 shown]
	s_waitcnt vmcnt(0)
	v_add_f32_e32 v7, v23, v11
	v_add_f32_e32 v8, v24, v12
	v_add_f32_e32 v9, v25, v13
	v_add_f32_e32 v10, v26, v14
	global_store_dwordx4 v[27:28], v[3:6], off
	global_store_dwordx4 v[27:28], v[7:10], off offset:16
	s_andn2_b64 exec, exec, s[8:9]
	s_cbranch_execnz .LBB8_32
.LBB8_33:
	s_endpgm
	.section	.rodata,"a",@progbits
	.p2align	6, 0x0
	.amdhsa_kernel _ZN2at6native12_GLOBAL__N_125multi_tensor_apply_kernelINS1_18TensorListMetadataILi4EEENS1_24PointwiseOpScalarFunctorIN3c107complexIfEELi4ELi3ELi3EEEJSt10multipliesIS8_ES8_EEEvT_T0_DpT1_
		.amdhsa_group_segment_fixed_size 0
		.amdhsa_private_segment_fixed_size 0
		.amdhsa_kernarg_size 3320
		.amdhsa_user_sgpr_count 6
		.amdhsa_user_sgpr_private_segment_buffer 1
		.amdhsa_user_sgpr_dispatch_ptr 0
		.amdhsa_user_sgpr_queue_ptr 0
		.amdhsa_user_sgpr_kernarg_segment_ptr 1
		.amdhsa_user_sgpr_dispatch_id 0
		.amdhsa_user_sgpr_flat_scratch_init 0
		.amdhsa_user_sgpr_private_segment_size 0
		.amdhsa_uses_dynamic_stack 0
		.amdhsa_system_sgpr_private_segment_wavefront_offset 0
		.amdhsa_system_sgpr_workgroup_id_x 1
		.amdhsa_system_sgpr_workgroup_id_y 0
		.amdhsa_system_sgpr_workgroup_id_z 0
		.amdhsa_system_sgpr_workgroup_info 0
		.amdhsa_system_vgpr_workitem_id 0
		.amdhsa_next_free_vgpr 34
		.amdhsa_next_free_sgpr 37
		.amdhsa_reserve_vcc 1
		.amdhsa_reserve_flat_scratch 0
		.amdhsa_float_round_mode_32 0
		.amdhsa_float_round_mode_16_64 0
		.amdhsa_float_denorm_mode_32 3
		.amdhsa_float_denorm_mode_16_64 3
		.amdhsa_dx10_clamp 1
		.amdhsa_ieee_mode 1
		.amdhsa_fp16_overflow 0
		.amdhsa_exception_fp_ieee_invalid_op 0
		.amdhsa_exception_fp_denorm_src 0
		.amdhsa_exception_fp_ieee_div_zero 0
		.amdhsa_exception_fp_ieee_overflow 0
		.amdhsa_exception_fp_ieee_underflow 0
		.amdhsa_exception_fp_ieee_inexact 0
		.amdhsa_exception_int_div_zero 0
	.end_amdhsa_kernel
	.section	.text._ZN2at6native12_GLOBAL__N_125multi_tensor_apply_kernelINS1_18TensorListMetadataILi4EEENS1_24PointwiseOpScalarFunctorIN3c107complexIfEELi4ELi3ELi3EEEJSt10multipliesIS8_ES8_EEEvT_T0_DpT1_,"axG",@progbits,_ZN2at6native12_GLOBAL__N_125multi_tensor_apply_kernelINS1_18TensorListMetadataILi4EEENS1_24PointwiseOpScalarFunctorIN3c107complexIfEELi4ELi3ELi3EEEJSt10multipliesIS8_ES8_EEEvT_T0_DpT1_,comdat
.Lfunc_end8:
	.size	_ZN2at6native12_GLOBAL__N_125multi_tensor_apply_kernelINS1_18TensorListMetadataILi4EEENS1_24PointwiseOpScalarFunctorIN3c107complexIfEELi4ELi3ELi3EEEJSt10multipliesIS8_ES8_EEEvT_T0_DpT1_, .Lfunc_end8-_ZN2at6native12_GLOBAL__N_125multi_tensor_apply_kernelINS1_18TensorListMetadataILi4EEENS1_24PointwiseOpScalarFunctorIN3c107complexIfEELi4ELi3ELi3EEEJSt10multipliesIS8_ES8_EEEvT_T0_DpT1_
                                        ; -- End function
	.set _ZN2at6native12_GLOBAL__N_125multi_tensor_apply_kernelINS1_18TensorListMetadataILi4EEENS1_24PointwiseOpScalarFunctorIN3c107complexIfEELi4ELi3ELi3EEEJSt10multipliesIS8_ES8_EEEvT_T0_DpT1_.num_vgpr, 34
	.set _ZN2at6native12_GLOBAL__N_125multi_tensor_apply_kernelINS1_18TensorListMetadataILi4EEENS1_24PointwiseOpScalarFunctorIN3c107complexIfEELi4ELi3ELi3EEEJSt10multipliesIS8_ES8_EEEvT_T0_DpT1_.num_agpr, 0
	.set _ZN2at6native12_GLOBAL__N_125multi_tensor_apply_kernelINS1_18TensorListMetadataILi4EEENS1_24PointwiseOpScalarFunctorIN3c107complexIfEELi4ELi3ELi3EEEJSt10multipliesIS8_ES8_EEEvT_T0_DpT1_.numbered_sgpr, 37
	.set _ZN2at6native12_GLOBAL__N_125multi_tensor_apply_kernelINS1_18TensorListMetadataILi4EEENS1_24PointwiseOpScalarFunctorIN3c107complexIfEELi4ELi3ELi3EEEJSt10multipliesIS8_ES8_EEEvT_T0_DpT1_.num_named_barrier, 0
	.set _ZN2at6native12_GLOBAL__N_125multi_tensor_apply_kernelINS1_18TensorListMetadataILi4EEENS1_24PointwiseOpScalarFunctorIN3c107complexIfEELi4ELi3ELi3EEEJSt10multipliesIS8_ES8_EEEvT_T0_DpT1_.private_seg_size, 0
	.set _ZN2at6native12_GLOBAL__N_125multi_tensor_apply_kernelINS1_18TensorListMetadataILi4EEENS1_24PointwiseOpScalarFunctorIN3c107complexIfEELi4ELi3ELi3EEEJSt10multipliesIS8_ES8_EEEvT_T0_DpT1_.uses_vcc, 1
	.set _ZN2at6native12_GLOBAL__N_125multi_tensor_apply_kernelINS1_18TensorListMetadataILi4EEENS1_24PointwiseOpScalarFunctorIN3c107complexIfEELi4ELi3ELi3EEEJSt10multipliesIS8_ES8_EEEvT_T0_DpT1_.uses_flat_scratch, 0
	.set _ZN2at6native12_GLOBAL__N_125multi_tensor_apply_kernelINS1_18TensorListMetadataILi4EEENS1_24PointwiseOpScalarFunctorIN3c107complexIfEELi4ELi3ELi3EEEJSt10multipliesIS8_ES8_EEEvT_T0_DpT1_.has_dyn_sized_stack, 0
	.set _ZN2at6native12_GLOBAL__N_125multi_tensor_apply_kernelINS1_18TensorListMetadataILi4EEENS1_24PointwiseOpScalarFunctorIN3c107complexIfEELi4ELi3ELi3EEEJSt10multipliesIS8_ES8_EEEvT_T0_DpT1_.has_recursion, 0
	.set _ZN2at6native12_GLOBAL__N_125multi_tensor_apply_kernelINS1_18TensorListMetadataILi4EEENS1_24PointwiseOpScalarFunctorIN3c107complexIfEELi4ELi3ELi3EEEJSt10multipliesIS8_ES8_EEEvT_T0_DpT1_.has_indirect_call, 0
	.section	.AMDGPU.csdata,"",@progbits
; Kernel info:
; codeLenInByte = 2184
; TotalNumSgprs: 41
; NumVgprs: 34
; ScratchSize: 0
; MemoryBound: 0
; FloatMode: 240
; IeeeMode: 1
; LDSByteSize: 0 bytes/workgroup (compile time only)
; SGPRBlocks: 5
; VGPRBlocks: 8
; NumSGPRsForWavesPerEU: 41
; NumVGPRsForWavesPerEU: 34
; Occupancy: 7
; WaveLimiterHint : 0
; COMPUTE_PGM_RSRC2:SCRATCH_EN: 0
; COMPUTE_PGM_RSRC2:USER_SGPR: 6
; COMPUTE_PGM_RSRC2:TRAP_HANDLER: 0
; COMPUTE_PGM_RSRC2:TGID_X_EN: 1
; COMPUTE_PGM_RSRC2:TGID_Y_EN: 0
; COMPUTE_PGM_RSRC2:TGID_Z_EN: 0
; COMPUTE_PGM_RSRC2:TIDIG_COMP_CNT: 0
	.section	.text._ZN2at6native12_GLOBAL__N_125multi_tensor_apply_kernelINS1_18TensorListMetadataILi4EEENS1_24PointwiseOpScalarFunctorIN3c104HalfELi4ELi3ELi3EEEJSt10multipliesIfEfEEEvT_T0_DpT1_,"axG",@progbits,_ZN2at6native12_GLOBAL__N_125multi_tensor_apply_kernelINS1_18TensorListMetadataILi4EEENS1_24PointwiseOpScalarFunctorIN3c104HalfELi4ELi3ELi3EEEJSt10multipliesIfEfEEEvT_T0_DpT1_,comdat
	.globl	_ZN2at6native12_GLOBAL__N_125multi_tensor_apply_kernelINS1_18TensorListMetadataILi4EEENS1_24PointwiseOpScalarFunctorIN3c104HalfELi4ELi3ELi3EEEJSt10multipliesIfEfEEEvT_T0_DpT1_ ; -- Begin function _ZN2at6native12_GLOBAL__N_125multi_tensor_apply_kernelINS1_18TensorListMetadataILi4EEENS1_24PointwiseOpScalarFunctorIN3c104HalfELi4ELi3ELi3EEEJSt10multipliesIfEfEEEvT_T0_DpT1_
	.p2align	8
	.type	_ZN2at6native12_GLOBAL__N_125multi_tensor_apply_kernelINS1_18TensorListMetadataILi4EEENS1_24PointwiseOpScalarFunctorIN3c104HalfELi4ELi3ELi3EEEJSt10multipliesIfEfEEEvT_T0_DpT1_,@function
_ZN2at6native12_GLOBAL__N_125multi_tensor_apply_kernelINS1_18TensorListMetadataILi4EEENS1_24PointwiseOpScalarFunctorIN3c104HalfELi4ELi3ELi3EEEJSt10multipliesIfEfEEEvT_T0_DpT1_: ; @_ZN2at6native12_GLOBAL__N_125multi_tensor_apply_kernelINS1_18TensorListMetadataILi4EEENS1_24PointwiseOpScalarFunctorIN3c104HalfELi4ELi3ELi3EEEJSt10multipliesIfEfEEEvT_T0_DpT1_
; %bb.0:
	v_mov_b32_e32 v1, s6
	global_load_ubyte v1, v1, s[4:5] offset:1440
	s_add_u32 s0, s4, s6
	s_mul_hi_u32 s1, s6, 3
	s_mul_i32 s6, s6, 3
	s_addc_u32 s2, s5, 0
	s_add_u32 s0, s0, s6
	s_addc_u32 s1, s2, s1
	s_load_dword s0, s[0:1], 0x6e0
	s_mov_b32 s3, 0
	s_mov_b32 s7, s3
	;; [unrolled: 1-line block ×3, first 2 shown]
	s_waitcnt lgkmcnt(0)
	s_ashr_i32 s1, s0, 31
	s_lshl_b64 s[18:19], s[0:1], 17
	s_waitcnt vmcnt(0)
	v_readfirstlane_b32 s2, v1
	s_lshl_b32 s2, s2, 3
	s_load_dwordx2 s[12:13], s[4:5], s2 offset:0x0
	s_load_dwordx2 s[14:15], s[4:5], s2 offset:0x120
	s_load_dword s33, s[4:5], 0xbec
	s_load_dwordx2 s[10:11], s[4:5], s2 offset:0x480
	s_load_dwordx2 s[16:17], s[4:5], s2 offset:0x240
	;; [unrolled: 1-line block ×3, first 2 shown]
	s_waitcnt lgkmcnt(0)
	s_add_u32 s6, s14, s18
	s_and_b32 s2, s12, 7
	s_and_b32 s6, s6, 7
	s_cmp_eq_u64 s[6:7], 0
	s_cselect_b64 s[6:7], -1, 0
	s_add_u32 s8, s16, s18
	s_or_b32 s8, s20, s8
	s_and_b32 s8, s8, 7
	s_cmp_eq_u32 s8, 0
	s_cselect_b64 s[22:23], -1, 0
	s_lshl_b64 s[0:1], s[0:1], 16
	s_and_b64 s[6:7], s[22:23], s[6:7]
	s_sub_u32 s22, s10, s0
	s_subb_u32 s23, s11, s1
	s_and_b32 s8, s10, 3
	s_or_b64 s[0:1], s[2:3], s[8:9]
	s_cmp_eq_u64 s[0:1], 0
	s_cselect_b64 s[0:1], -1, 0
	s_and_b64 s[2:3], s[6:7], s[0:1]
	s_mov_b64 s[0:1], -1
	s_and_b64 vcc, exec, s[2:3]
	s_cbranch_vccnz .LBB9_29
; %bb.1:
	v_cmp_lt_i64_e64 s[0:1], s[22:23], 1
	s_and_b64 vcc, exec, s[0:1]
	s_cbranch_vccnz .LBB9_28
; %bb.2:
	v_mov_b32_e32 v1, 0x10000
	s_load_dword s2, s[4:5], 0xbfc
	v_mov_b32_e32 v2, 0
	v_cmp_lt_i64_e32 vcc, s[22:23], v[1:2]
	v_mov_b32_e32 v24, 0
	s_and_b64 s[0:1], vcc, exec
	s_cselect_b32 s25, s23, 0
	s_cselect_b32 s24, s22, 0x10000
	s_waitcnt lgkmcnt(0)
	s_and_b32 s2, s2, 0xffff
	v_lshlrev_b32_e32 v23, 1, v0
	v_mad_u64_u32 v[7:8], s[0:1], s2, 6, v[23:24]
	v_cmp_lt_u64_e32 vcc, s[22:23], v[1:2]
	v_mov_b32_e32 v2, s13
	s_and_b64 s[0:1], vcc, exec
	v_add_co_u32_e32 v1, vcc, s12, v7
	v_addc_co_u32_e32 v2, vcc, v2, v8, vcc
	v_mov_b32_e32 v4, s15
	v_add_co_u32_e32 v3, vcc, s14, v7
	v_addc_co_u32_e32 v4, vcc, v4, v8, vcc
	v_mov_b32_e32 v6, s17
	;; [unrolled: 3-line block ×3, first 2 shown]
	v_add_co_u32_e32 v7, vcc, s20, v7
	s_cselect_b32 s27, s23, 0
	s_cselect_b32 s26, s22, 0x10000
	s_lshl_b32 s34, s2, 2
	v_addc_co_u32_e32 v8, vcc, v9, v8, vcc
	v_add_co_u32_e32 v15, vcc, s34, v23
	v_addc_co_u32_e64 v16, s[0:1], 0, 0, vcc
	v_mov_b32_e32 v10, s13
	v_add_co_u32_e32 v9, vcc, s12, v15
	v_addc_co_u32_e32 v10, vcc, v10, v16, vcc
	v_mov_b32_e32 v12, s15
	v_add_co_u32_e32 v11, vcc, s14, v15
	v_addc_co_u32_e32 v12, vcc, v12, v16, vcc
	;; [unrolled: 3-line block ×8, first 2 shown]
	v_add_co_u32_e32 v25, vcc, s2, v0
	v_lshlrev_b32_e32 v33, 1, v25
	s_lshl_b32 s6, s2, 1
	s_mul_i32 s7, s2, 3
	s_lshl_b32 s35, s2, 3
	v_addc_co_u32_e64 v26, s[2:3], 0, 0, vcc
	v_mov_b32_e32 v28, s13
	v_add_co_u32_e32 v27, vcc, s12, v33
	v_addc_co_u32_e32 v28, vcc, 0, v28, vcc
	v_mov_b32_e32 v30, s15
	v_add_co_u32_e32 v29, vcc, s14, v33
	v_addc_co_u32_e32 v30, vcc, 0, v30, vcc
	;; [unrolled: 3-line block ×4, first 2 shown]
	v_add_co_u32_e32 v35, vcc, s7, v0
	v_addc_co_u32_e64 v36, s[2:3], 0, 0, vcc
	v_add_co_u32_e32 v37, vcc, s6, v0
	v_cmp_eq_f32_e64 s[0:1], s33, 1.0
	s_mov_b64 s[28:29], 0
	v_addc_co_u32_e64 v38, s[2:3], 0, 0, vcc
	s_branch .LBB9_4
.LBB9_3:                                ;   in Loop: Header=BB9_4 Depth=1
	s_or_b64 exec, exec, s[2:3]
	v_add_co_u32_e32 v17, vcc, s35, v17
	v_addc_co_u32_e32 v18, vcc, 0, v18, vcc
	v_add_co_u32_e32 v19, vcc, s35, v19
	v_addc_co_u32_e32 v20, vcc, 0, v20, vcc
	;; [unrolled: 2-line block ×14, first 2 shown]
	s_add_u32 s28, s28, s34
	v_add_co_u32_e32 v31, vcc, s35, v31
	v_mov_b32_e32 v40, s25
	s_addc_u32 s29, s29, 0
	v_addc_co_u32_e32 v32, vcc, 0, v32, vcc
	v_mov_b32_e32 v39, s24
	v_cmp_lt_i64_e32 vcc, s[28:29], v[39:40]
	v_add_co_u32_e64 v33, s[2:3], s35, v33
	v_addc_co_u32_e64 v34, s[2:3], 0, v34, s[2:3]
	s_cbranch_vccz .LBB9_28
.LBB9_4:                                ; =>This Inner Loop Header: Depth=1
	v_mov_b32_e32 v40, s29
	v_add_co_u32_e32 v39, vcc, s28, v0
	v_addc_co_u32_e32 v40, vcc, 0, v40, vcc
	v_cmp_gt_u64_e32 vcc, s[26:27], v[39:40]
	v_mov_b32_e32 v40, 0
	v_mov_b32_e32 v39, 0
	s_and_saveexec_b64 s[6:7], vcc
	s_cbranch_execz .LBB9_6
; %bb.5:                                ;   in Loop: Header=BB9_4 Depth=1
	v_mov_b32_e32 v42, s19
	v_add_co_u32_e64 v39, s[2:3], s18, v19
	v_addc_co_u32_e64 v40, s[2:3], v20, v42, s[2:3]
	v_add_co_u32_e64 v41, s[2:3], s18, v17
	v_addc_co_u32_e64 v42, s[2:3], v18, v42, s[2:3]
	global_load_ushort v43, v[41:42], off
	global_load_ushort v44, v[39:40], off
	s_waitcnt vmcnt(1)
	v_cvt_f32_f16_e32 v39, v43
	s_waitcnt vmcnt(0)
	v_cvt_f32_f16_e32 v40, v44
.LBB9_6:                                ;   in Loop: Header=BB9_4 Depth=1
	s_or_b64 exec, exec, s[6:7]
	v_mov_b32_e32 v41, 0
	v_mov_b32_e32 v42, 0
	s_and_saveexec_b64 s[6:7], vcc
	s_cbranch_execz .LBB9_8
; %bb.7:                                ;   in Loop: Header=BB9_4 Depth=1
	v_mov_b32_e32 v43, s19
	v_add_co_u32_e64 v42, s[2:3], s18, v21
	v_addc_co_u32_e64 v43, s[2:3], v22, v43, s[2:3]
	global_load_ushort v42, v[42:43], off
	s_waitcnt vmcnt(0)
	v_cvt_f32_f16_e32 v42, v42
.LBB9_8:                                ;   in Loop: Header=BB9_4 Depth=1
	s_or_b64 exec, exec, s[6:7]
	v_mov_b32_e32 v44, s29
	v_add_co_u32_e64 v43, s[2:3], s28, v25
	v_addc_co_u32_e64 v44, s[2:3], v26, v44, s[2:3]
	v_cmp_gt_u64_e64 s[2:3], s[26:27], v[43:44]
	v_mov_b32_e32 v43, 0
	s_and_saveexec_b64 s[8:9], s[2:3]
	s_cbranch_execz .LBB9_10
; %bb.9:                                ;   in Loop: Header=BB9_4 Depth=1
	v_mov_b32_e32 v41, s19
	v_add_co_u32_e64 v43, s[6:7], s18, v29
	v_addc_co_u32_e64 v44, s[6:7], v30, v41, s[6:7]
	v_add_co_u32_e64 v45, s[6:7], s18, v27
	v_addc_co_u32_e64 v46, s[6:7], v28, v41, s[6:7]
	global_load_ushort v41, v[45:46], off
	global_load_ushort v47, v[43:44], off
	s_waitcnt vmcnt(1)
	v_cvt_f32_f16_e32 v43, v41
	s_waitcnt vmcnt(0)
	v_cvt_f32_f16_e32 v41, v47
.LBB9_10:                               ;   in Loop: Header=BB9_4 Depth=1
	s_or_b64 exec, exec, s[8:9]
	v_mov_b32_e32 v44, 0
	v_mov_b32_e32 v45, 0
	s_and_saveexec_b64 s[8:9], s[2:3]
	s_cbranch_execz .LBB9_12
; %bb.11:                               ;   in Loop: Header=BB9_4 Depth=1
	v_mov_b32_e32 v46, s19
	v_add_co_u32_e64 v45, s[6:7], s18, v31
	v_addc_co_u32_e64 v46, s[6:7], v32, v46, s[6:7]
	global_load_ushort v45, v[45:46], off
	s_waitcnt vmcnt(0)
	v_cvt_f32_f16_e32 v45, v45
.LBB9_12:                               ;   in Loop: Header=BB9_4 Depth=1
	s_or_b64 exec, exec, s[8:9]
	v_mov_b32_e32 v47, s29
	v_add_co_u32_e64 v46, s[6:7], s28, v37
	v_addc_co_u32_e64 v47, s[6:7], v38, v47, s[6:7]
	v_cmp_gt_u64_e64 s[6:7], s[26:27], v[46:47]
	v_mov_b32_e32 v46, 0
	s_and_saveexec_b64 s[10:11], s[6:7]
	s_cbranch_execz .LBB9_14
; %bb.13:                               ;   in Loop: Header=BB9_4 Depth=1
	v_mov_b32_e32 v44, s19
	v_add_co_u32_e64 v46, s[8:9], s18, v11
	v_addc_co_u32_e64 v47, s[8:9], v12, v44, s[8:9]
	v_add_co_u32_e64 v48, s[8:9], s18, v9
	v_addc_co_u32_e64 v49, s[8:9], v10, v44, s[8:9]
	global_load_ushort v44, v[48:49], off
	global_load_ushort v50, v[46:47], off
	s_waitcnt vmcnt(1)
	v_cvt_f32_f16_e32 v46, v44
	s_waitcnt vmcnt(0)
	v_cvt_f32_f16_e32 v44, v50
.LBB9_14:                               ;   in Loop: Header=BB9_4 Depth=1
	s_or_b64 exec, exec, s[10:11]
	v_mov_b32_e32 v47, 0
	v_mov_b32_e32 v48, 0
	s_and_saveexec_b64 s[10:11], s[6:7]
	s_cbranch_execz .LBB9_16
; %bb.15:                               ;   in Loop: Header=BB9_4 Depth=1
	v_mov_b32_e32 v49, s19
	v_add_co_u32_e64 v48, s[8:9], s18, v13
	v_addc_co_u32_e64 v49, s[8:9], v14, v49, s[8:9]
	global_load_ushort v48, v[48:49], off
	s_waitcnt vmcnt(0)
	v_cvt_f32_f16_e32 v48, v48
.LBB9_16:                               ;   in Loop: Header=BB9_4 Depth=1
	s_or_b64 exec, exec, s[10:11]
	v_mov_b32_e32 v50, s29
	v_add_co_u32_e64 v49, s[8:9], s28, v35
	v_addc_co_u32_e64 v50, s[8:9], v36, v50, s[8:9]
	v_cmp_gt_u64_e64 s[8:9], s[26:27], v[49:50]
	v_mov_b32_e32 v49, 0
	s_and_saveexec_b64 s[30:31], s[8:9]
	s_cbranch_execnz .LBB9_22
; %bb.17:                               ;   in Loop: Header=BB9_4 Depth=1
	s_or_b64 exec, exec, s[30:31]
	v_mov_b32_e32 v50, 0
	s_and_saveexec_b64 s[30:31], s[8:9]
	s_cbranch_execnz .LBB9_23
.LBB9_18:                               ;   in Loop: Header=BB9_4 Depth=1
	s_or_b64 exec, exec, s[30:31]
	s_and_saveexec_b64 s[10:11], vcc
	s_cbranch_execnz .LBB9_24
.LBB9_19:                               ;   in Loop: Header=BB9_4 Depth=1
	s_or_b64 exec, exec, s[10:11]
	s_and_saveexec_b64 s[10:11], s[2:3]
	s_cbranch_execnz .LBB9_25
.LBB9_20:                               ;   in Loop: Header=BB9_4 Depth=1
	s_or_b64 exec, exec, s[10:11]
	s_and_saveexec_b64 s[2:3], s[6:7]
	s_cbranch_execnz .LBB9_26
.LBB9_21:                               ;   in Loop: Header=BB9_4 Depth=1
	s_or_b64 exec, exec, s[2:3]
	s_and_saveexec_b64 s[2:3], s[8:9]
	s_cbranch_execz .LBB9_3
	s_branch .LBB9_27
.LBB9_22:                               ;   in Loop: Header=BB9_4 Depth=1
	v_mov_b32_e32 v47, s19
	v_add_co_u32_e64 v49, s[10:11], s18, v3
	v_addc_co_u32_e64 v50, s[10:11], v4, v47, s[10:11]
	v_add_co_u32_e64 v51, s[10:11], s18, v1
	v_addc_co_u32_e64 v52, s[10:11], v2, v47, s[10:11]
	global_load_ushort v47, v[51:52], off
	global_load_ushort v53, v[49:50], off
	s_waitcnt vmcnt(1)
	v_cvt_f32_f16_e32 v49, v47
	s_waitcnt vmcnt(0)
	v_cvt_f32_f16_e32 v47, v53
	s_or_b64 exec, exec, s[30:31]
	v_mov_b32_e32 v50, 0
	s_and_saveexec_b64 s[30:31], s[8:9]
	s_cbranch_execz .LBB9_18
.LBB9_23:                               ;   in Loop: Header=BB9_4 Depth=1
	v_mov_b32_e32 v51, s19
	v_add_co_u32_e64 v50, s[10:11], s18, v5
	v_addc_co_u32_e64 v51, s[10:11], v6, v51, s[10:11]
	global_load_ushort v50, v[50:51], off
	s_waitcnt vmcnt(0)
	v_cvt_f32_f16_e32 v50, v50
	s_or_b64 exec, exec, s[30:31]
	s_and_saveexec_b64 s[10:11], vcc
	s_cbranch_execz .LBB9_19
.LBB9_24:                               ;   in Loop: Header=BB9_4 Depth=1
	v_fma_f32 v51, v40, v42, v39
	v_mul_f32_e32 v40, v40, v42
	v_fmac_f32_e32 v39, s33, v40
	v_cndmask_b32_e64 v39, v39, v51, s[0:1]
	v_cvt_f16_f32_e32 v42, v39
	v_mov_b32_e32 v40, s19
	v_add_co_u32_e32 v39, vcc, s18, v23
	v_addc_co_u32_e32 v40, vcc, v24, v40, vcc
	global_store_short v[39:40], v42, off
	s_or_b64 exec, exec, s[10:11]
	s_and_saveexec_b64 s[10:11], s[2:3]
	s_cbranch_execz .LBB9_20
.LBB9_25:                               ;   in Loop: Header=BB9_4 Depth=1
	v_mul_f32_e32 v40, v41, v45
	v_fma_f32 v39, v41, v45, v43
	v_fmac_f32_e32 v43, s33, v40
	v_cndmask_b32_e64 v39, v43, v39, s[0:1]
	v_cvt_f16_f32_e32 v41, v39
	v_mov_b32_e32 v40, s19
	v_add_co_u32_e32 v39, vcc, s18, v33
	v_addc_co_u32_e32 v40, vcc, v34, v40, vcc
	global_store_short v[39:40], v41, off
	s_or_b64 exec, exec, s[10:11]
	s_and_saveexec_b64 s[2:3], s[6:7]
	s_cbranch_execz .LBB9_21
.LBB9_26:                               ;   in Loop: Header=BB9_4 Depth=1
	v_mul_f32_e32 v40, v44, v48
	v_fma_f32 v39, v44, v48, v46
	v_fmac_f32_e32 v46, s33, v40
	v_cndmask_b32_e64 v39, v46, v39, s[0:1]
	v_cvt_f16_f32_e32 v41, v39
	v_mov_b32_e32 v40, s19
	v_add_co_u32_e32 v39, vcc, s18, v15
	v_addc_co_u32_e32 v40, vcc, v16, v40, vcc
	global_store_short v[39:40], v41, off
	s_or_b64 exec, exec, s[2:3]
	s_and_saveexec_b64 s[2:3], s[8:9]
	s_cbranch_execz .LBB9_3
.LBB9_27:                               ;   in Loop: Header=BB9_4 Depth=1
	v_mul_f32_e32 v40, v47, v50
	v_fma_f32 v39, v47, v50, v49
	v_fmac_f32_e32 v49, s33, v40
	v_cndmask_b32_e64 v39, v49, v39, s[0:1]
	v_cvt_f16_f32_e32 v41, v39
	v_mov_b32_e32 v40, s19
	v_add_co_u32_e32 v39, vcc, s18, v7
	v_addc_co_u32_e32 v40, vcc, v8, v40, vcc
	global_store_short v[39:40], v41, off
	s_branch .LBB9_3
.LBB9_28:
	s_mov_b64 s[0:1], 0
.LBB9_29:
	s_andn2_b64 vcc, exec, s[0:1]
	s_cbranch_vccnz .LBB9_33
; %bb.30:
	v_mov_b32_e32 v1, 0x10000
	v_mov_b32_e32 v2, 0
	v_cmp_lt_i64_e32 vcc, s[22:23], v[1:2]
	v_mov_b32_e32 v2, 0
	s_and_b64 s[0:1], vcc, exec
	s_cselect_b32 s3, s23, 0
	s_cselect_b32 s2, s22, 0x10000
	v_lshlrev_b32_e32 v1, 2, v0
	v_cmp_gt_i64_e32 vcc, s[2:3], v[1:2]
	s_and_saveexec_b64 s[0:1], vcc
	s_cbranch_execz .LBB9_33
; %bb.31:
	s_load_dword s0, s[4:5], 0xbfc
	v_mov_b32_e32 v1, v2
	v_lshlrev_b32_e32 v2, 3, v0
	v_mov_b32_e32 v3, s19
	v_cmp_eq_f32_e64 vcc, s33, 1.0
	s_waitcnt lgkmcnt(0)
	s_and_b32 s7, s0, 0xffff
	v_add_co_u32_e64 v2, s[0:1], s18, v2
	s_lshl_b32 s8, s7, 3
	v_addc_co_u32_e64 v3, s[0:1], 0, v3, s[0:1]
	s_add_u32 s9, s20, 4
	s_addc_u32 s0, s21, 0
	s_mov_b32 s6, s33
	s_mov_b64 s[4:5], 0
	v_mov_b32_e32 v4, s13
	v_mov_b32_e32 v5, s15
	v_mov_b32_e32 v6, s17
	v_mov_b32_e32 v7, s0
.LBB9_32:                               ; =>This Inner Loop Header: Depth=1
	v_add_co_u32_e64 v8, s[0:1], s12, v2
	v_addc_co_u32_e64 v9, s[0:1], v4, v3, s[0:1]
	v_add_co_u32_e64 v10, s[0:1], s14, v2
	v_addc_co_u32_e64 v11, s[0:1], v5, v3, s[0:1]
	;; [unrolled: 2-line block ×3, first 2 shown]
	global_load_dwordx2 v[14:15], v[10:11], off
	global_load_dwordx2 v[16:17], v[12:13], off
	;; [unrolled: 1-line block ×3, first 2 shown]
	v_add_co_u32_e64 v8, s[0:1], s9, v2
	v_addc_co_u32_e64 v9, s[0:1], v7, v3, s[0:1]
	v_add_co_u32_e64 v0, s[0:1], s7, v0
	v_addc_co_u32_e64 v1, s[0:1], 0, v1, s[0:1]
	v_add_co_u32_e64 v2, s[0:1], s8, v2
	v_lshlrev_b64 v[10:11], 2, v[0:1]
	v_addc_co_u32_e64 v3, s[0:1], 0, v3, s[0:1]
	v_cmp_le_i64_e64 s[0:1], s[2:3], v[10:11]
	s_or_b64 s[4:5], s[0:1], s[4:5]
	s_waitcnt vmcnt(2)
	v_cvt_f32_f16_e32 v12, v14
	v_cvt_f32_f16_sdwa v13, v14 dst_sel:DWORD dst_unused:UNUSED_PAD src0_sel:WORD_1
	s_waitcnt vmcnt(1)
	v_cvt_f32_f16_e32 v20, v16
	v_cvt_f32_f16_sdwa v21, v16 dst_sel:DWORD dst_unused:UNUSED_PAD src0_sel:WORD_1
	s_waitcnt vmcnt(0)
	v_fma_mix_f32 v22, v14, v16, v18 op_sel_hi:[1,1,1]
	v_fma_mix_f32 v14, v14, v16, v18 op_sel:[1,1,1] op_sel_hi:[1,1,1]
	v_cvt_f32_f16_e32 v16, v15
	v_cvt_f32_f16_sdwa v23, v15 dst_sel:DWORD dst_unused:UNUSED_PAD src0_sel:WORD_1
	v_cvt_f32_f16_e32 v24, v17
	v_cvt_f32_f16_sdwa v25, v17 dst_sel:DWORD dst_unused:UNUSED_PAD src0_sel:WORD_1
	v_fma_mix_f32 v26, v15, v17, v19 op_sel_hi:[1,1,1]
	v_fma_mix_f32 v15, v15, v17, v19 op_sel:[1,1,1] op_sel_hi:[1,1,1]
	v_mul_f32_e32 v13, v13, v21
	v_mul_f32_e32 v12, v12, v20
	v_mul_f32_e32 v17, v23, v25
	v_mul_f32_e32 v16, v16, v24
	v_fma_mix_f32 v12, s33, v12, v18 op_sel_hi:[0,0,1]
	v_fma_mix_f32 v13, s6, v13, v18 op_sel:[0,0,1] op_sel_hi:[0,0,1]
	v_fma_mix_f32 v16, s33, v16, v19 op_sel_hi:[0,0,1]
	v_fma_mix_f32 v17, s6, v17, v19 op_sel:[0,0,1] op_sel_hi:[0,0,1]
	v_cndmask_b32_e32 v13, v13, v14, vcc
	v_cndmask_b32_e32 v12, v12, v22, vcc
	;; [unrolled: 1-line block ×4, first 2 shown]
	v_cvt_f16_f32_e32 v12, v12
	v_cvt_f16_f32_e32 v13, v13
	;; [unrolled: 1-line block ×4, first 2 shown]
	v_pack_b32_f16 v10, v12, v13
	v_pack_b32_f16 v11, v15, v14
	global_store_dwordx2 v[8:9], v[10:11], off offset:-4
	s_andn2_b64 exec, exec, s[4:5]
	s_cbranch_execnz .LBB9_32
.LBB9_33:
	s_endpgm
	.section	.rodata,"a",@progbits
	.p2align	6, 0x0
	.amdhsa_kernel _ZN2at6native12_GLOBAL__N_125multi_tensor_apply_kernelINS1_18TensorListMetadataILi4EEENS1_24PointwiseOpScalarFunctorIN3c104HalfELi4ELi3ELi3EEEJSt10multipliesIfEfEEEvT_T0_DpT1_
		.amdhsa_group_segment_fixed_size 0
		.amdhsa_private_segment_fixed_size 0
		.amdhsa_kernarg_size 3312
		.amdhsa_user_sgpr_count 6
		.amdhsa_user_sgpr_private_segment_buffer 1
		.amdhsa_user_sgpr_dispatch_ptr 0
		.amdhsa_user_sgpr_queue_ptr 0
		.amdhsa_user_sgpr_kernarg_segment_ptr 1
		.amdhsa_user_sgpr_dispatch_id 0
		.amdhsa_user_sgpr_flat_scratch_init 0
		.amdhsa_user_sgpr_private_segment_size 0
		.amdhsa_uses_dynamic_stack 0
		.amdhsa_system_sgpr_private_segment_wavefront_offset 0
		.amdhsa_system_sgpr_workgroup_id_x 1
		.amdhsa_system_sgpr_workgroup_id_y 0
		.amdhsa_system_sgpr_workgroup_id_z 0
		.amdhsa_system_sgpr_workgroup_info 0
		.amdhsa_system_vgpr_workitem_id 0
		.amdhsa_next_free_vgpr 54
		.amdhsa_next_free_sgpr 36
		.amdhsa_reserve_vcc 1
		.amdhsa_reserve_flat_scratch 0
		.amdhsa_float_round_mode_32 0
		.amdhsa_float_round_mode_16_64 0
		.amdhsa_float_denorm_mode_32 3
		.amdhsa_float_denorm_mode_16_64 3
		.amdhsa_dx10_clamp 1
		.amdhsa_ieee_mode 1
		.amdhsa_fp16_overflow 0
		.amdhsa_exception_fp_ieee_invalid_op 0
		.amdhsa_exception_fp_denorm_src 0
		.amdhsa_exception_fp_ieee_div_zero 0
		.amdhsa_exception_fp_ieee_overflow 0
		.amdhsa_exception_fp_ieee_underflow 0
		.amdhsa_exception_fp_ieee_inexact 0
		.amdhsa_exception_int_div_zero 0
	.end_amdhsa_kernel
	.section	.text._ZN2at6native12_GLOBAL__N_125multi_tensor_apply_kernelINS1_18TensorListMetadataILi4EEENS1_24PointwiseOpScalarFunctorIN3c104HalfELi4ELi3ELi3EEEJSt10multipliesIfEfEEEvT_T0_DpT1_,"axG",@progbits,_ZN2at6native12_GLOBAL__N_125multi_tensor_apply_kernelINS1_18TensorListMetadataILi4EEENS1_24PointwiseOpScalarFunctorIN3c104HalfELi4ELi3ELi3EEEJSt10multipliesIfEfEEEvT_T0_DpT1_,comdat
.Lfunc_end9:
	.size	_ZN2at6native12_GLOBAL__N_125multi_tensor_apply_kernelINS1_18TensorListMetadataILi4EEENS1_24PointwiseOpScalarFunctorIN3c104HalfELi4ELi3ELi3EEEJSt10multipliesIfEfEEEvT_T0_DpT1_, .Lfunc_end9-_ZN2at6native12_GLOBAL__N_125multi_tensor_apply_kernelINS1_18TensorListMetadataILi4EEENS1_24PointwiseOpScalarFunctorIN3c104HalfELi4ELi3ELi3EEEJSt10multipliesIfEfEEEvT_T0_DpT1_
                                        ; -- End function
	.set _ZN2at6native12_GLOBAL__N_125multi_tensor_apply_kernelINS1_18TensorListMetadataILi4EEENS1_24PointwiseOpScalarFunctorIN3c104HalfELi4ELi3ELi3EEEJSt10multipliesIfEfEEEvT_T0_DpT1_.num_vgpr, 54
	.set _ZN2at6native12_GLOBAL__N_125multi_tensor_apply_kernelINS1_18TensorListMetadataILi4EEENS1_24PointwiseOpScalarFunctorIN3c104HalfELi4ELi3ELi3EEEJSt10multipliesIfEfEEEvT_T0_DpT1_.num_agpr, 0
	.set _ZN2at6native12_GLOBAL__N_125multi_tensor_apply_kernelINS1_18TensorListMetadataILi4EEENS1_24PointwiseOpScalarFunctorIN3c104HalfELi4ELi3ELi3EEEJSt10multipliesIfEfEEEvT_T0_DpT1_.numbered_sgpr, 36
	.set _ZN2at6native12_GLOBAL__N_125multi_tensor_apply_kernelINS1_18TensorListMetadataILi4EEENS1_24PointwiseOpScalarFunctorIN3c104HalfELi4ELi3ELi3EEEJSt10multipliesIfEfEEEvT_T0_DpT1_.num_named_barrier, 0
	.set _ZN2at6native12_GLOBAL__N_125multi_tensor_apply_kernelINS1_18TensorListMetadataILi4EEENS1_24PointwiseOpScalarFunctorIN3c104HalfELi4ELi3ELi3EEEJSt10multipliesIfEfEEEvT_T0_DpT1_.private_seg_size, 0
	.set _ZN2at6native12_GLOBAL__N_125multi_tensor_apply_kernelINS1_18TensorListMetadataILi4EEENS1_24PointwiseOpScalarFunctorIN3c104HalfELi4ELi3ELi3EEEJSt10multipliesIfEfEEEvT_T0_DpT1_.uses_vcc, 1
	.set _ZN2at6native12_GLOBAL__N_125multi_tensor_apply_kernelINS1_18TensorListMetadataILi4EEENS1_24PointwiseOpScalarFunctorIN3c104HalfELi4ELi3ELi3EEEJSt10multipliesIfEfEEEvT_T0_DpT1_.uses_flat_scratch, 0
	.set _ZN2at6native12_GLOBAL__N_125multi_tensor_apply_kernelINS1_18TensorListMetadataILi4EEENS1_24PointwiseOpScalarFunctorIN3c104HalfELi4ELi3ELi3EEEJSt10multipliesIfEfEEEvT_T0_DpT1_.has_dyn_sized_stack, 0
	.set _ZN2at6native12_GLOBAL__N_125multi_tensor_apply_kernelINS1_18TensorListMetadataILi4EEENS1_24PointwiseOpScalarFunctorIN3c104HalfELi4ELi3ELi3EEEJSt10multipliesIfEfEEEvT_T0_DpT1_.has_recursion, 0
	.set _ZN2at6native12_GLOBAL__N_125multi_tensor_apply_kernelINS1_18TensorListMetadataILi4EEENS1_24PointwiseOpScalarFunctorIN3c104HalfELi4ELi3ELi3EEEJSt10multipliesIfEfEEEvT_T0_DpT1_.has_indirect_call, 0
	.section	.AMDGPU.csdata,"",@progbits
; Kernel info:
; codeLenInByte = 2236
; TotalNumSgprs: 40
; NumVgprs: 54
; ScratchSize: 0
; MemoryBound: 0
; FloatMode: 240
; IeeeMode: 1
; LDSByteSize: 0 bytes/workgroup (compile time only)
; SGPRBlocks: 4
; VGPRBlocks: 13
; NumSGPRsForWavesPerEU: 40
; NumVGPRsForWavesPerEU: 54
; Occupancy: 4
; WaveLimiterHint : 0
; COMPUTE_PGM_RSRC2:SCRATCH_EN: 0
; COMPUTE_PGM_RSRC2:USER_SGPR: 6
; COMPUTE_PGM_RSRC2:TRAP_HANDLER: 0
; COMPUTE_PGM_RSRC2:TGID_X_EN: 1
; COMPUTE_PGM_RSRC2:TGID_Y_EN: 0
; COMPUTE_PGM_RSRC2:TGID_Z_EN: 0
; COMPUTE_PGM_RSRC2:TIDIG_COMP_CNT: 0
	.section	.text._ZN2at6native12_GLOBAL__N_125multi_tensor_apply_kernelINS1_18TensorListMetadataILi4EEENS1_24PointwiseOpScalarFunctorIN3c108BFloat16ELi4ELi3ELi3EEEJSt10multipliesIfEfEEEvT_T0_DpT1_,"axG",@progbits,_ZN2at6native12_GLOBAL__N_125multi_tensor_apply_kernelINS1_18TensorListMetadataILi4EEENS1_24PointwiseOpScalarFunctorIN3c108BFloat16ELi4ELi3ELi3EEEJSt10multipliesIfEfEEEvT_T0_DpT1_,comdat
	.globl	_ZN2at6native12_GLOBAL__N_125multi_tensor_apply_kernelINS1_18TensorListMetadataILi4EEENS1_24PointwiseOpScalarFunctorIN3c108BFloat16ELi4ELi3ELi3EEEJSt10multipliesIfEfEEEvT_T0_DpT1_ ; -- Begin function _ZN2at6native12_GLOBAL__N_125multi_tensor_apply_kernelINS1_18TensorListMetadataILi4EEENS1_24PointwiseOpScalarFunctorIN3c108BFloat16ELi4ELi3ELi3EEEJSt10multipliesIfEfEEEvT_T0_DpT1_
	.p2align	8
	.type	_ZN2at6native12_GLOBAL__N_125multi_tensor_apply_kernelINS1_18TensorListMetadataILi4EEENS1_24PointwiseOpScalarFunctorIN3c108BFloat16ELi4ELi3ELi3EEEJSt10multipliesIfEfEEEvT_T0_DpT1_,@function
_ZN2at6native12_GLOBAL__N_125multi_tensor_apply_kernelINS1_18TensorListMetadataILi4EEENS1_24PointwiseOpScalarFunctorIN3c108BFloat16ELi4ELi3ELi3EEEJSt10multipliesIfEfEEEvT_T0_DpT1_: ; @_ZN2at6native12_GLOBAL__N_125multi_tensor_apply_kernelINS1_18TensorListMetadataILi4EEENS1_24PointwiseOpScalarFunctorIN3c108BFloat16ELi4ELi3ELi3EEEJSt10multipliesIfEfEEEvT_T0_DpT1_
; %bb.0:
	v_mov_b32_e32 v1, s6
	global_load_ubyte v1, v1, s[4:5] offset:1440
	s_add_u32 s0, s4, s6
	s_mul_hi_u32 s1, s6, 3
	s_mul_i32 s6, s6, 3
	s_addc_u32 s2, s5, 0
	s_add_u32 s0, s0, s6
	s_addc_u32 s1, s2, s1
	s_load_dword s0, s[0:1], 0x6e0
	s_mov_b32 s3, 0
	s_mov_b32 s7, s3
	;; [unrolled: 1-line block ×3, first 2 shown]
	s_waitcnt lgkmcnt(0)
	s_ashr_i32 s1, s0, 31
	s_lshl_b64 s[20:21], s[0:1], 17
	s_waitcnt vmcnt(0)
	v_readfirstlane_b32 s2, v1
	s_lshl_b32 s2, s2, 3
	s_load_dwordx2 s[12:13], s[4:5], s2 offset:0x0
	s_load_dwordx2 s[14:15], s[4:5], s2 offset:0x120
	s_load_dword s33, s[4:5], 0xbec
	s_load_dwordx2 s[10:11], s[4:5], s2 offset:0x480
	s_load_dwordx2 s[16:17], s[4:5], s2 offset:0x240
	s_load_dwordx2 s[18:19], s[4:5], s2 offset:0x360
	s_waitcnt lgkmcnt(0)
	s_add_u32 s6, s14, s20
	s_and_b32 s2, s12, 7
	s_and_b32 s6, s6, 7
	s_cmp_eq_u64 s[6:7], 0
	s_cselect_b64 s[6:7], -1, 0
	s_add_u32 s8, s16, s20
	s_or_b32 s8, s18, s8
	s_and_b32 s8, s8, 7
	s_cmp_eq_u32 s8, 0
	s_cselect_b64 s[22:23], -1, 0
	s_lshl_b64 s[0:1], s[0:1], 16
	s_and_b64 s[6:7], s[22:23], s[6:7]
	s_sub_u32 s22, s10, s0
	s_subb_u32 s23, s11, s1
	s_and_b32 s8, s10, 3
	s_or_b64 s[0:1], s[2:3], s[8:9]
	s_cmp_eq_u64 s[0:1], 0
	s_cselect_b64 s[0:1], -1, 0
	s_and_b64 s[2:3], s[6:7], s[0:1]
	s_mov_b64 s[0:1], -1
	s_and_b64 vcc, exec, s[2:3]
	s_cbranch_vccnz .LBB10_29
; %bb.1:
	v_cmp_lt_i64_e64 s[0:1], s[22:23], 1
	s_and_b64 vcc, exec, s[0:1]
	s_cbranch_vccnz .LBB10_28
; %bb.2:
	v_mov_b32_e32 v1, 0x10000
	s_load_dword s2, s[4:5], 0xbfc
	v_mov_b32_e32 v2, 0
	v_cmp_lt_i64_e32 vcc, s[22:23], v[1:2]
	v_mov_b32_e32 v24, 0
	s_and_b64 s[0:1], vcc, exec
	s_cselect_b32 s25, s23, 0
	s_cselect_b32 s24, s22, 0x10000
	s_waitcnt lgkmcnt(0)
	s_and_b32 s2, s2, 0xffff
	v_lshlrev_b32_e32 v23, 1, v0
	v_mad_u64_u32 v[7:8], s[0:1], s2, 6, v[23:24]
	v_cmp_lt_u64_e32 vcc, s[22:23], v[1:2]
	v_mov_b32_e32 v2, s13
	s_and_b64 s[0:1], vcc, exec
	v_add_co_u32_e32 v1, vcc, s12, v7
	v_addc_co_u32_e32 v2, vcc, v2, v8, vcc
	v_mov_b32_e32 v4, s15
	v_add_co_u32_e32 v3, vcc, s14, v7
	v_addc_co_u32_e32 v4, vcc, v4, v8, vcc
	v_mov_b32_e32 v6, s17
	;; [unrolled: 3-line block ×3, first 2 shown]
	v_add_co_u32_e32 v7, vcc, s18, v7
	s_cselect_b32 s27, s23, 0
	s_cselect_b32 s26, s22, 0x10000
	s_lshl_b32 s34, s2, 2
	v_addc_co_u32_e32 v8, vcc, v9, v8, vcc
	v_add_co_u32_e32 v15, vcc, s34, v23
	v_addc_co_u32_e64 v16, s[0:1], 0, 0, vcc
	v_mov_b32_e32 v10, s13
	v_add_co_u32_e32 v9, vcc, s12, v15
	v_addc_co_u32_e32 v10, vcc, v10, v16, vcc
	v_mov_b32_e32 v12, s15
	v_add_co_u32_e32 v11, vcc, s14, v15
	v_addc_co_u32_e32 v12, vcc, v12, v16, vcc
	;; [unrolled: 3-line block ×8, first 2 shown]
	v_add_co_u32_e32 v25, vcc, s2, v0
	v_lshlrev_b32_e32 v33, 1, v25
	s_lshl_b32 s6, s2, 1
	s_mul_i32 s7, s2, 3
	s_lshl_b32 s35, s2, 3
	v_addc_co_u32_e64 v26, s[2:3], 0, 0, vcc
	v_mov_b32_e32 v28, s13
	v_add_co_u32_e32 v27, vcc, s12, v33
	v_addc_co_u32_e32 v28, vcc, 0, v28, vcc
	v_mov_b32_e32 v30, s15
	v_add_co_u32_e32 v29, vcc, s14, v33
	v_addc_co_u32_e32 v30, vcc, 0, v30, vcc
	;; [unrolled: 3-line block ×4, first 2 shown]
	v_add_co_u32_e32 v35, vcc, s7, v0
	v_addc_co_u32_e64 v36, s[2:3], 0, 0, vcc
	v_add_co_u32_e32 v37, vcc, s6, v0
	v_cmp_eq_f32_e64 s[0:1], s33, 1.0
	s_mov_b64 s[28:29], 0
	s_movk_i32 s36, 0x7fff
	v_addc_co_u32_e64 v38, s[2:3], 0, 0, vcc
	v_mov_b32_e32 v39, 0x7fc0
	s_branch .LBB10_4
.LBB10_3:                               ;   in Loop: Header=BB10_4 Depth=1
	s_or_b64 exec, exec, s[2:3]
	v_add_co_u32_e32 v17, vcc, s35, v17
	v_addc_co_u32_e32 v18, vcc, 0, v18, vcc
	v_add_co_u32_e32 v19, vcc, s35, v19
	v_addc_co_u32_e32 v20, vcc, 0, v20, vcc
	v_add_co_u32_e32 v21, vcc, s35, v21
	v_addc_co_u32_e32 v22, vcc, 0, v22, vcc
	v_add_co_u32_e32 v23, vcc, s35, v23
	v_addc_co_u32_e32 v24, vcc, 0, v24, vcc
	v_add_co_u32_e32 v1, vcc, s35, v1
	v_addc_co_u32_e32 v2, vcc, 0, v2, vcc
	v_add_co_u32_e32 v3, vcc, s35, v3
	v_addc_co_u32_e32 v4, vcc, 0, v4, vcc
	v_add_co_u32_e32 v5, vcc, s35, v5
	v_addc_co_u32_e32 v6, vcc, 0, v6, vcc
	v_add_co_u32_e32 v7, vcc, s35, v7
	v_addc_co_u32_e32 v8, vcc, 0, v8, vcc
	v_add_co_u32_e32 v9, vcc, s35, v9
	v_addc_co_u32_e32 v10, vcc, 0, v10, vcc
	v_add_co_u32_e32 v11, vcc, s35, v11
	v_addc_co_u32_e32 v12, vcc, 0, v12, vcc
	v_add_co_u32_e32 v13, vcc, s35, v13
	v_addc_co_u32_e32 v14, vcc, 0, v14, vcc
	v_add_co_u32_e32 v15, vcc, s35, v15
	v_addc_co_u32_e32 v16, vcc, 0, v16, vcc
	v_add_co_u32_e32 v27, vcc, s35, v27
	v_addc_co_u32_e32 v28, vcc, 0, v28, vcc
	v_add_co_u32_e32 v29, vcc, s35, v29
	v_addc_co_u32_e32 v30, vcc, 0, v30, vcc
	s_add_u32 s28, s28, s34
	v_add_co_u32_e32 v31, vcc, s35, v31
	v_mov_b32_e32 v41, s25
	s_addc_u32 s29, s29, 0
	v_addc_co_u32_e32 v32, vcc, 0, v32, vcc
	v_mov_b32_e32 v40, s24
	v_cmp_lt_i64_e32 vcc, s[28:29], v[40:41]
	v_add_co_u32_e64 v33, s[2:3], s35, v33
	v_addc_co_u32_e64 v34, s[2:3], 0, v34, s[2:3]
	s_cbranch_vccz .LBB10_28
.LBB10_4:                               ; =>This Inner Loop Header: Depth=1
	v_mov_b32_e32 v41, s29
	v_add_co_u32_e32 v40, vcc, s28, v0
	v_addc_co_u32_e32 v41, vcc, 0, v41, vcc
	v_cmp_gt_u64_e32 vcc, s[26:27], v[40:41]
	v_mov_b32_e32 v41, 0
	v_mov_b32_e32 v40, 0
	s_and_saveexec_b64 s[6:7], vcc
	s_cbranch_execz .LBB10_6
; %bb.5:                                ;   in Loop: Header=BB10_4 Depth=1
	v_mov_b32_e32 v43, s21
	v_add_co_u32_e64 v40, s[2:3], s20, v17
	v_addc_co_u32_e64 v41, s[2:3], v18, v43, s[2:3]
	v_add_co_u32_e64 v42, s[2:3], s20, v19
	v_addc_co_u32_e64 v43, s[2:3], v20, v43, s[2:3]
	global_load_ushort v44, v[42:43], off
	global_load_ushort v45, v[40:41], off
	s_waitcnt vmcnt(1)
	v_lshlrev_b32_e32 v41, 16, v44
	s_waitcnt vmcnt(0)
	v_lshlrev_b32_e32 v40, 16, v45
.LBB10_6:                               ;   in Loop: Header=BB10_4 Depth=1
	s_or_b64 exec, exec, s[6:7]
	v_mov_b32_e32 v42, 0
	v_mov_b32_e32 v43, 0
	s_and_saveexec_b64 s[6:7], vcc
	s_cbranch_execz .LBB10_8
; %bb.7:                                ;   in Loop: Header=BB10_4 Depth=1
	v_mov_b32_e32 v44, s21
	v_add_co_u32_e64 v43, s[2:3], s20, v21
	v_addc_co_u32_e64 v44, s[2:3], v22, v44, s[2:3]
	global_load_ushort v43, v[43:44], off
	s_waitcnt vmcnt(0)
	v_lshlrev_b32_e32 v43, 16, v43
.LBB10_8:                               ;   in Loop: Header=BB10_4 Depth=1
	s_or_b64 exec, exec, s[6:7]
	v_mov_b32_e32 v45, s29
	v_add_co_u32_e64 v44, s[2:3], s28, v25
	v_addc_co_u32_e64 v45, s[2:3], v26, v45, s[2:3]
	v_cmp_gt_u64_e64 s[2:3], s[26:27], v[44:45]
	v_mov_b32_e32 v44, 0
	s_and_saveexec_b64 s[8:9], s[2:3]
	s_cbranch_execz .LBB10_10
; %bb.9:                                ;   in Loop: Header=BB10_4 Depth=1
	v_mov_b32_e32 v42, s21
	v_add_co_u32_e64 v44, s[6:7], s20, v27
	v_addc_co_u32_e64 v45, s[6:7], v28, v42, s[6:7]
	v_add_co_u32_e64 v46, s[6:7], s20, v29
	v_addc_co_u32_e64 v47, s[6:7], v30, v42, s[6:7]
	global_load_ushort v42, v[46:47], off
	global_load_ushort v48, v[44:45], off
	s_waitcnt vmcnt(1)
	v_lshlrev_b32_e32 v42, 16, v42
	s_waitcnt vmcnt(0)
	v_lshlrev_b32_e32 v44, 16, v48
.LBB10_10:                              ;   in Loop: Header=BB10_4 Depth=1
	s_or_b64 exec, exec, s[8:9]
	v_mov_b32_e32 v45, 0
	v_mov_b32_e32 v46, 0
	s_and_saveexec_b64 s[8:9], s[2:3]
	s_cbranch_execz .LBB10_12
; %bb.11:                               ;   in Loop: Header=BB10_4 Depth=1
	v_mov_b32_e32 v47, s21
	v_add_co_u32_e64 v46, s[6:7], s20, v31
	v_addc_co_u32_e64 v47, s[6:7], v32, v47, s[6:7]
	global_load_ushort v46, v[46:47], off
	s_waitcnt vmcnt(0)
	v_lshlrev_b32_e32 v46, 16, v46
.LBB10_12:                              ;   in Loop: Header=BB10_4 Depth=1
	s_or_b64 exec, exec, s[8:9]
	v_mov_b32_e32 v48, s29
	v_add_co_u32_e64 v47, s[6:7], s28, v37
	v_addc_co_u32_e64 v48, s[6:7], v38, v48, s[6:7]
	v_cmp_gt_u64_e64 s[6:7], s[26:27], v[47:48]
	v_mov_b32_e32 v47, 0
	s_and_saveexec_b64 s[10:11], s[6:7]
	s_cbranch_execz .LBB10_14
; %bb.13:                               ;   in Loop: Header=BB10_4 Depth=1
	v_mov_b32_e32 v45, s21
	v_add_co_u32_e64 v47, s[8:9], s20, v9
	v_addc_co_u32_e64 v48, s[8:9], v10, v45, s[8:9]
	v_add_co_u32_e64 v49, s[8:9], s20, v11
	v_addc_co_u32_e64 v50, s[8:9], v12, v45, s[8:9]
	global_load_ushort v45, v[49:50], off
	global_load_ushort v51, v[47:48], off
	s_waitcnt vmcnt(1)
	v_lshlrev_b32_e32 v45, 16, v45
	s_waitcnt vmcnt(0)
	v_lshlrev_b32_e32 v47, 16, v51
.LBB10_14:                              ;   in Loop: Header=BB10_4 Depth=1
	s_or_b64 exec, exec, s[10:11]
	v_mov_b32_e32 v48, 0
	v_mov_b32_e32 v49, 0
	s_and_saveexec_b64 s[10:11], s[6:7]
	s_cbranch_execz .LBB10_16
; %bb.15:                               ;   in Loop: Header=BB10_4 Depth=1
	v_mov_b32_e32 v50, s21
	v_add_co_u32_e64 v49, s[8:9], s20, v13
	v_addc_co_u32_e64 v50, s[8:9], v14, v50, s[8:9]
	global_load_ushort v49, v[49:50], off
	s_waitcnt vmcnt(0)
	v_lshlrev_b32_e32 v49, 16, v49
.LBB10_16:                              ;   in Loop: Header=BB10_4 Depth=1
	s_or_b64 exec, exec, s[10:11]
	v_mov_b32_e32 v51, s29
	v_add_co_u32_e64 v50, s[8:9], s28, v35
	v_addc_co_u32_e64 v51, s[8:9], v36, v51, s[8:9]
	v_cmp_gt_u64_e64 s[8:9], s[26:27], v[50:51]
	v_mov_b32_e32 v50, 0
	s_and_saveexec_b64 s[30:31], s[8:9]
	s_cbranch_execnz .LBB10_22
; %bb.17:                               ;   in Loop: Header=BB10_4 Depth=1
	s_or_b64 exec, exec, s[30:31]
	v_mov_b32_e32 v51, 0
	s_and_saveexec_b64 s[30:31], s[8:9]
	s_cbranch_execnz .LBB10_23
.LBB10_18:                              ;   in Loop: Header=BB10_4 Depth=1
	s_or_b64 exec, exec, s[30:31]
	s_and_saveexec_b64 s[10:11], vcc
	s_cbranch_execnz .LBB10_24
.LBB10_19:                              ;   in Loop: Header=BB10_4 Depth=1
	s_or_b64 exec, exec, s[10:11]
	s_and_saveexec_b64 s[10:11], s[2:3]
	s_cbranch_execnz .LBB10_25
.LBB10_20:                              ;   in Loop: Header=BB10_4 Depth=1
	s_or_b64 exec, exec, s[10:11]
	s_and_saveexec_b64 s[2:3], s[6:7]
	s_cbranch_execnz .LBB10_26
.LBB10_21:                              ;   in Loop: Header=BB10_4 Depth=1
	s_or_b64 exec, exec, s[2:3]
	s_and_saveexec_b64 s[2:3], s[8:9]
	s_cbranch_execz .LBB10_3
	s_branch .LBB10_27
.LBB10_22:                              ;   in Loop: Header=BB10_4 Depth=1
	v_mov_b32_e32 v48, s21
	v_add_co_u32_e64 v50, s[10:11], s20, v1
	v_addc_co_u32_e64 v51, s[10:11], v2, v48, s[10:11]
	v_add_co_u32_e64 v52, s[10:11], s20, v3
	v_addc_co_u32_e64 v53, s[10:11], v4, v48, s[10:11]
	global_load_ushort v48, v[52:53], off
	global_load_ushort v54, v[50:51], off
	s_waitcnt vmcnt(1)
	v_lshlrev_b32_e32 v48, 16, v48
	s_waitcnt vmcnt(0)
	v_lshlrev_b32_e32 v50, 16, v54
	s_or_b64 exec, exec, s[30:31]
	v_mov_b32_e32 v51, 0
	s_and_saveexec_b64 s[30:31], s[8:9]
	s_cbranch_execz .LBB10_18
.LBB10_23:                              ;   in Loop: Header=BB10_4 Depth=1
	v_mov_b32_e32 v52, s21
	v_add_co_u32_e64 v51, s[10:11], s20, v5
	v_addc_co_u32_e64 v52, s[10:11], v6, v52, s[10:11]
	global_load_ushort v51, v[51:52], off
	s_waitcnt vmcnt(0)
	v_lshlrev_b32_e32 v51, 16, v51
	s_or_b64 exec, exec, s[30:31]
	s_and_saveexec_b64 s[10:11], vcc
	s_cbranch_execz .LBB10_19
.LBB10_24:                              ;   in Loop: Header=BB10_4 Depth=1
	v_fma_f32 v52, v41, v43, v40
	v_mul_f32_e32 v41, v41, v43
	v_fmac_f32_e32 v40, s33, v41
	v_cndmask_b32_e64 v40, v40, v52, s[0:1]
	v_bfe_u32 v41, v40, 16, 1
	v_add3_u32 v41, v40, v41, s36
	v_cmp_o_f32_e32 vcc, v40, v40
	v_cndmask_b32_sdwa v43, v39, v41, vcc dst_sel:DWORD dst_unused:UNUSED_PAD src0_sel:DWORD src1_sel:WORD_1
	v_mov_b32_e32 v41, s21
	v_add_co_u32_e32 v40, vcc, s20, v23
	v_addc_co_u32_e32 v41, vcc, v24, v41, vcc
	global_store_short v[40:41], v43, off
	s_or_b64 exec, exec, s[10:11]
	s_and_saveexec_b64 s[10:11], s[2:3]
	s_cbranch_execz .LBB10_20
.LBB10_25:                              ;   in Loop: Header=BB10_4 Depth=1
	v_mul_f32_e32 v41, v42, v46
	v_fma_f32 v40, v42, v46, v44
	v_fmac_f32_e32 v44, s33, v41
	v_cndmask_b32_e64 v42, v44, v40, s[0:1]
	v_bfe_u32 v40, v42, 16, 1
	v_add3_u32 v43, v42, v40, s36
	v_mov_b32_e32 v41, s21
	v_add_co_u32_e32 v40, vcc, s20, v33
	v_addc_co_u32_e32 v41, vcc, v34, v41, vcc
	v_cmp_o_f32_e32 vcc, v42, v42
	v_cndmask_b32_sdwa v42, v39, v43, vcc dst_sel:DWORD dst_unused:UNUSED_PAD src0_sel:DWORD src1_sel:WORD_1
	global_store_short v[40:41], v42, off
	s_or_b64 exec, exec, s[10:11]
	s_and_saveexec_b64 s[2:3], s[6:7]
	s_cbranch_execz .LBB10_21
.LBB10_26:                              ;   in Loop: Header=BB10_4 Depth=1
	v_mul_f32_e32 v41, v45, v49
	v_fma_f32 v40, v45, v49, v47
	v_fmac_f32_e32 v47, s33, v41
	v_cndmask_b32_e64 v42, v47, v40, s[0:1]
	v_bfe_u32 v40, v42, 16, 1
	v_add3_u32 v43, v42, v40, s36
	v_mov_b32_e32 v41, s21
	v_add_co_u32_e32 v40, vcc, s20, v15
	v_addc_co_u32_e32 v41, vcc, v16, v41, vcc
	v_cmp_o_f32_e32 vcc, v42, v42
	v_cndmask_b32_sdwa v42, v39, v43, vcc dst_sel:DWORD dst_unused:UNUSED_PAD src0_sel:DWORD src1_sel:WORD_1
	global_store_short v[40:41], v42, off
	s_or_b64 exec, exec, s[2:3]
	s_and_saveexec_b64 s[2:3], s[8:9]
	s_cbranch_execz .LBB10_3
.LBB10_27:                              ;   in Loop: Header=BB10_4 Depth=1
	v_mul_f32_e32 v41, v48, v51
	v_fma_f32 v40, v48, v51, v50
	v_fmac_f32_e32 v50, s33, v41
	v_cndmask_b32_e64 v42, v50, v40, s[0:1]
	v_bfe_u32 v40, v42, 16, 1
	v_add3_u32 v43, v42, v40, s36
	v_mov_b32_e32 v41, s21
	v_add_co_u32_e32 v40, vcc, s20, v7
	v_addc_co_u32_e32 v41, vcc, v8, v41, vcc
	v_cmp_o_f32_e32 vcc, v42, v42
	v_cndmask_b32_sdwa v42, v39, v43, vcc dst_sel:DWORD dst_unused:UNUSED_PAD src0_sel:DWORD src1_sel:WORD_1
	global_store_short v[40:41], v42, off
	s_branch .LBB10_3
.LBB10_28:
	s_mov_b64 s[0:1], 0
.LBB10_29:
	s_andn2_b64 vcc, exec, s[0:1]
	s_cbranch_vccnz .LBB10_33
; %bb.30:
	v_mov_b32_e32 v1, 0x10000
	v_mov_b32_e32 v2, 0
	v_cmp_lt_i64_e32 vcc, s[22:23], v[1:2]
	v_mov_b32_e32 v2, 0
	s_and_b64 s[0:1], vcc, exec
	s_cselect_b32 s7, s23, 0
	s_cselect_b32 s6, s22, 0x10000
	v_lshlrev_b32_e32 v1, 2, v0
	v_cmp_gt_i64_e32 vcc, s[6:7], v[1:2]
	s_and_saveexec_b64 s[0:1], vcc
	s_cbranch_execz .LBB10_33
; %bb.31:
	s_load_dword s0, s[4:5], 0xbfc
	v_mov_b32_e32 v1, v2
	v_lshlrev_b32_e32 v2, 3, v0
	v_mov_b32_e32 v3, s21
	v_cmp_eq_f32_e64 vcc, s33, 1.0
	s_waitcnt lgkmcnt(0)
	s_and_b32 s10, s0, 0xffff
	v_add_co_u32_e64 v2, s[0:1], s20, v2
	v_addc_co_u32_e64 v3, s[0:1], 0, v3, s[0:1]
	s_lshl_b32 s11, s10, 3
	s_mov_b64 s[8:9], 0
	v_mov_b32_e32 v4, s13
	v_mov_b32_e32 v5, s15
	;; [unrolled: 1-line block ×3, first 2 shown]
	s_movk_i32 s13, 0x7fff
	v_mov_b32_e32 v7, 0x7fc0
	v_mov_b32_e32 v8, 0x7fc00000
	;; [unrolled: 1-line block ×3, first 2 shown]
.LBB10_32:                              ; =>This Inner Loop Header: Depth=1
	v_add_co_u32_e64 v10, s[0:1], s12, v2
	v_addc_co_u32_e64 v11, s[0:1], v4, v3, s[0:1]
	v_add_co_u32_e64 v12, s[0:1], s14, v2
	v_addc_co_u32_e64 v13, s[0:1], v5, v3, s[0:1]
	;; [unrolled: 2-line block ×3, first 2 shown]
	global_load_dwordx2 v[16:17], v[12:13], off
	global_load_dwordx2 v[18:19], v[14:15], off
	;; [unrolled: 1-line block ×3, first 2 shown]
	v_add_co_u32_e64 v10, s[0:1], s18, v2
	v_addc_co_u32_e64 v11, s[0:1], v9, v3, s[0:1]
	v_add_co_u32_e64 v0, s[0:1], s10, v0
	v_addc_co_u32_e64 v1, s[0:1], 0, v1, s[0:1]
	v_add_co_u32_e64 v2, s[0:1], s11, v2
	v_lshlrev_b64 v[12:13], 2, v[0:1]
	v_addc_co_u32_e64 v3, s[0:1], 0, v3, s[0:1]
	v_cmp_le_i64_e64 s[0:1], s[6:7], v[12:13]
	s_or_b64 s[8:9], s[0:1], s[8:9]
	s_waitcnt vmcnt(2)
	v_lshlrev_b32_e32 v13, 16, v16
	s_waitcnt vmcnt(1)
	v_lshlrev_b32_e32 v14, 16, v18
	;; [unrolled: 2-line block ×3, first 2 shown]
	v_and_b32_e32 v15, 0xffff0000, v20
	v_and_b32_e32 v22, 0xffff0000, v16
	;; [unrolled: 1-line block ×3, first 2 shown]
	v_alignbit_b32 v20, v21, v20, 16
	v_alignbit_b32 v16, v17, v16, 16
	;; [unrolled: 1-line block ×3, first 2 shown]
	v_and_b32_e32 v21, 0xffff0000, v21
	v_and_b32_e32 v17, 0xffff0000, v17
	;; [unrolled: 1-line block ×3, first 2 shown]
	v_fma_f32 v24, v13, v14, v12
	v_mul_f32_e32 v13, v13, v14
	v_fma_f32 v14, v22, v23, v15
	v_mul_f32_e32 v22, v22, v23
	v_and_b32_e32 v20, 0xffff0000, v20
	v_and_b32_e32 v16, 0xffff0000, v16
	;; [unrolled: 1-line block ×3, first 2 shown]
	v_fma_f32 v23, v17, v19, v21
	v_mul_f32_e32 v17, v17, v19
	v_fmac_f32_e32 v12, s33, v13
	v_fmac_f32_e32 v15, s33, v22
	v_fma_f32 v13, v16, v18, v20
	v_mul_f32_e32 v16, v16, v18
	v_fmac_f32_e32 v21, s33, v17
	v_cndmask_b32_e32 v12, v12, v24, vcc
	v_cndmask_b32_e32 v14, v15, v14, vcc
	v_fmac_f32_e32 v20, s33, v16
	v_cndmask_b32_e32 v15, v21, v23, vcc
	v_bfe_u32 v16, v12, 16, 1
	v_bfe_u32 v17, v14, 16, 1
	v_cndmask_b32_e32 v13, v20, v13, vcc
	v_bfe_u32 v18, v15, 16, 1
	v_add3_u32 v16, v12, v16, s13
	v_add3_u32 v17, v14, v17, s13
	v_bfe_u32 v19, v13, 16, 1
	v_add3_u32 v18, v15, v18, s13
	v_lshrrev_b32_e32 v16, 16, v16
	v_and_b32_e32 v17, 0xffff0000, v17
	v_cmp_o_f32_e64 s[0:1], v14, v14
	v_add3_u32 v14, v13, v19, s13
	v_cmp_o_f32_e64 s[4:5], v12, v12
	v_and_b32_e32 v18, 0xffff0000, v18
	v_cmp_o_f32_e64 s[2:3], v15, v15
	v_cndmask_b32_e64 v12, v7, v16, s[4:5]
	v_cndmask_b32_e64 v15, v8, v17, s[0:1]
	v_lshrrev_b32_e32 v14, 16, v14
	v_cmp_o_f32_e64 s[0:1], v13, v13
	v_cndmask_b32_e64 v16, v8, v18, s[2:3]
	v_cndmask_b32_e64 v13, v7, v14, s[0:1]
	v_or_b32_e32 v12, v12, v15
	v_or3_b32 v13, 0, v13, v16
	v_or3_b32 v12, v12, 0, 0
	global_store_dwordx2 v[10:11], v[12:13], off
	s_andn2_b64 exec, exec, s[8:9]
	s_cbranch_execnz .LBB10_32
.LBB10_33:
	s_endpgm
	.section	.rodata,"a",@progbits
	.p2align	6, 0x0
	.amdhsa_kernel _ZN2at6native12_GLOBAL__N_125multi_tensor_apply_kernelINS1_18TensorListMetadataILi4EEENS1_24PointwiseOpScalarFunctorIN3c108BFloat16ELi4ELi3ELi3EEEJSt10multipliesIfEfEEEvT_T0_DpT1_
		.amdhsa_group_segment_fixed_size 0
		.amdhsa_private_segment_fixed_size 0
		.amdhsa_kernarg_size 3312
		.amdhsa_user_sgpr_count 6
		.amdhsa_user_sgpr_private_segment_buffer 1
		.amdhsa_user_sgpr_dispatch_ptr 0
		.amdhsa_user_sgpr_queue_ptr 0
		.amdhsa_user_sgpr_kernarg_segment_ptr 1
		.amdhsa_user_sgpr_dispatch_id 0
		.amdhsa_user_sgpr_flat_scratch_init 0
		.amdhsa_user_sgpr_private_segment_size 0
		.amdhsa_uses_dynamic_stack 0
		.amdhsa_system_sgpr_private_segment_wavefront_offset 0
		.amdhsa_system_sgpr_workgroup_id_x 1
		.amdhsa_system_sgpr_workgroup_id_y 0
		.amdhsa_system_sgpr_workgroup_id_z 0
		.amdhsa_system_sgpr_workgroup_info 0
		.amdhsa_system_vgpr_workitem_id 0
		.amdhsa_next_free_vgpr 55
		.amdhsa_next_free_sgpr 37
		.amdhsa_reserve_vcc 1
		.amdhsa_reserve_flat_scratch 0
		.amdhsa_float_round_mode_32 0
		.amdhsa_float_round_mode_16_64 0
		.amdhsa_float_denorm_mode_32 3
		.amdhsa_float_denorm_mode_16_64 3
		.amdhsa_dx10_clamp 1
		.amdhsa_ieee_mode 1
		.amdhsa_fp16_overflow 0
		.amdhsa_exception_fp_ieee_invalid_op 0
		.amdhsa_exception_fp_denorm_src 0
		.amdhsa_exception_fp_ieee_div_zero 0
		.amdhsa_exception_fp_ieee_overflow 0
		.amdhsa_exception_fp_ieee_underflow 0
		.amdhsa_exception_fp_ieee_inexact 0
		.amdhsa_exception_int_div_zero 0
	.end_amdhsa_kernel
	.section	.text._ZN2at6native12_GLOBAL__N_125multi_tensor_apply_kernelINS1_18TensorListMetadataILi4EEENS1_24PointwiseOpScalarFunctorIN3c108BFloat16ELi4ELi3ELi3EEEJSt10multipliesIfEfEEEvT_T0_DpT1_,"axG",@progbits,_ZN2at6native12_GLOBAL__N_125multi_tensor_apply_kernelINS1_18TensorListMetadataILi4EEENS1_24PointwiseOpScalarFunctorIN3c108BFloat16ELi4ELi3ELi3EEEJSt10multipliesIfEfEEEvT_T0_DpT1_,comdat
.Lfunc_end10:
	.size	_ZN2at6native12_GLOBAL__N_125multi_tensor_apply_kernelINS1_18TensorListMetadataILi4EEENS1_24PointwiseOpScalarFunctorIN3c108BFloat16ELi4ELi3ELi3EEEJSt10multipliesIfEfEEEvT_T0_DpT1_, .Lfunc_end10-_ZN2at6native12_GLOBAL__N_125multi_tensor_apply_kernelINS1_18TensorListMetadataILi4EEENS1_24PointwiseOpScalarFunctorIN3c108BFloat16ELi4ELi3ELi3EEEJSt10multipliesIfEfEEEvT_T0_DpT1_
                                        ; -- End function
	.set _ZN2at6native12_GLOBAL__N_125multi_tensor_apply_kernelINS1_18TensorListMetadataILi4EEENS1_24PointwiseOpScalarFunctorIN3c108BFloat16ELi4ELi3ELi3EEEJSt10multipliesIfEfEEEvT_T0_DpT1_.num_vgpr, 55
	.set _ZN2at6native12_GLOBAL__N_125multi_tensor_apply_kernelINS1_18TensorListMetadataILi4EEENS1_24PointwiseOpScalarFunctorIN3c108BFloat16ELi4ELi3ELi3EEEJSt10multipliesIfEfEEEvT_T0_DpT1_.num_agpr, 0
	.set _ZN2at6native12_GLOBAL__N_125multi_tensor_apply_kernelINS1_18TensorListMetadataILi4EEENS1_24PointwiseOpScalarFunctorIN3c108BFloat16ELi4ELi3ELi3EEEJSt10multipliesIfEfEEEvT_T0_DpT1_.numbered_sgpr, 37
	.set _ZN2at6native12_GLOBAL__N_125multi_tensor_apply_kernelINS1_18TensorListMetadataILi4EEENS1_24PointwiseOpScalarFunctorIN3c108BFloat16ELi4ELi3ELi3EEEJSt10multipliesIfEfEEEvT_T0_DpT1_.num_named_barrier, 0
	.set _ZN2at6native12_GLOBAL__N_125multi_tensor_apply_kernelINS1_18TensorListMetadataILi4EEENS1_24PointwiseOpScalarFunctorIN3c108BFloat16ELi4ELi3ELi3EEEJSt10multipliesIfEfEEEvT_T0_DpT1_.private_seg_size, 0
	.set _ZN2at6native12_GLOBAL__N_125multi_tensor_apply_kernelINS1_18TensorListMetadataILi4EEENS1_24PointwiseOpScalarFunctorIN3c108BFloat16ELi4ELi3ELi3EEEJSt10multipliesIfEfEEEvT_T0_DpT1_.uses_vcc, 1
	.set _ZN2at6native12_GLOBAL__N_125multi_tensor_apply_kernelINS1_18TensorListMetadataILi4EEENS1_24PointwiseOpScalarFunctorIN3c108BFloat16ELi4ELi3ELi3EEEJSt10multipliesIfEfEEEvT_T0_DpT1_.uses_flat_scratch, 0
	.set _ZN2at6native12_GLOBAL__N_125multi_tensor_apply_kernelINS1_18TensorListMetadataILi4EEENS1_24PointwiseOpScalarFunctorIN3c108BFloat16ELi4ELi3ELi3EEEJSt10multipliesIfEfEEEvT_T0_DpT1_.has_dyn_sized_stack, 0
	.set _ZN2at6native12_GLOBAL__N_125multi_tensor_apply_kernelINS1_18TensorListMetadataILi4EEENS1_24PointwiseOpScalarFunctorIN3c108BFloat16ELi4ELi3ELi3EEEJSt10multipliesIfEfEEEvT_T0_DpT1_.has_recursion, 0
	.set _ZN2at6native12_GLOBAL__N_125multi_tensor_apply_kernelINS1_18TensorListMetadataILi4EEENS1_24PointwiseOpScalarFunctorIN3c108BFloat16ELi4ELi3ELi3EEEJSt10multipliesIfEfEEEvT_T0_DpT1_.has_indirect_call, 0
	.section	.AMDGPU.csdata,"",@progbits
; Kernel info:
; codeLenInByte = 2536
; TotalNumSgprs: 41
; NumVgprs: 55
; ScratchSize: 0
; MemoryBound: 0
; FloatMode: 240
; IeeeMode: 1
; LDSByteSize: 0 bytes/workgroup (compile time only)
; SGPRBlocks: 5
; VGPRBlocks: 13
; NumSGPRsForWavesPerEU: 41
; NumVGPRsForWavesPerEU: 55
; Occupancy: 4
; WaveLimiterHint : 0
; COMPUTE_PGM_RSRC2:SCRATCH_EN: 0
; COMPUTE_PGM_RSRC2:USER_SGPR: 6
; COMPUTE_PGM_RSRC2:TRAP_HANDLER: 0
; COMPUTE_PGM_RSRC2:TGID_X_EN: 1
; COMPUTE_PGM_RSRC2:TGID_Y_EN: 0
; COMPUTE_PGM_RSRC2:TGID_Z_EN: 0
; COMPUTE_PGM_RSRC2:TIDIG_COMP_CNT: 0
	.section	.text._ZN2at6native12_GLOBAL__N_125multi_tensor_apply_kernelINS1_18TensorListMetadataILi4EEENS1_32PointwiseOpScalar0dTensorFunctorIhLi4ELi2ELi3EEEJSt10multipliesIhEhEEEvT_T0_DpT1_,"axG",@progbits,_ZN2at6native12_GLOBAL__N_125multi_tensor_apply_kernelINS1_18TensorListMetadataILi4EEENS1_32PointwiseOpScalar0dTensorFunctorIhLi4ELi2ELi3EEEJSt10multipliesIhEhEEEvT_T0_DpT1_,comdat
	.globl	_ZN2at6native12_GLOBAL__N_125multi_tensor_apply_kernelINS1_18TensorListMetadataILi4EEENS1_32PointwiseOpScalar0dTensorFunctorIhLi4ELi2ELi3EEEJSt10multipliesIhEhEEEvT_T0_DpT1_ ; -- Begin function _ZN2at6native12_GLOBAL__N_125multi_tensor_apply_kernelINS1_18TensorListMetadataILi4EEENS1_32PointwiseOpScalar0dTensorFunctorIhLi4ELi2ELi3EEEJSt10multipliesIhEhEEEvT_T0_DpT1_
	.p2align	8
	.type	_ZN2at6native12_GLOBAL__N_125multi_tensor_apply_kernelINS1_18TensorListMetadataILi4EEENS1_32PointwiseOpScalar0dTensorFunctorIhLi4ELi2ELi3EEEJSt10multipliesIhEhEEEvT_T0_DpT1_,@function
_ZN2at6native12_GLOBAL__N_125multi_tensor_apply_kernelINS1_18TensorListMetadataILi4EEENS1_32PointwiseOpScalar0dTensorFunctorIhLi4ELi2ELi3EEEJSt10multipliesIhEhEEEvT_T0_DpT1_: ; @_ZN2at6native12_GLOBAL__N_125multi_tensor_apply_kernelINS1_18TensorListMetadataILi4EEENS1_32PointwiseOpScalar0dTensorFunctorIhLi4ELi2ELi3EEEJSt10multipliesIhEhEEEvT_T0_DpT1_
; %bb.0:
	v_mov_b32_e32 v1, s6
	global_load_ubyte v1, v1, s[4:5] offset:1440
	s_add_u32 s0, s4, s6
	s_addc_u32 s1, s5, 0
	s_mul_hi_u32 s2, s6, 3
	s_mul_i32 s6, s6, 3
	s_add_u32 s0, s0, s6
	s_addc_u32 s1, s1, s2
	s_load_dword s0, s[0:1], 0x6e0
	v_mov_b32_e32 v3, 0
	s_mov_b32 s15, 0
	s_waitcnt vmcnt(0)
	v_readfirstlane_b32 s1, v1
	s_lshl_b32 s12, s1, 3
	s_load_dwordx2 s[2:3], s[4:5], s12 offset:0x120
	s_load_dwordx2 s[8:9], s[4:5], s12 offset:0x240
	;; [unrolled: 1-line block ×4, first 2 shown]
	s_waitcnt lgkmcnt(0)
	s_ashr_i32 s1, s0, 31
	global_load_ubyte v4, v3, s[2:3]
	s_load_dword s18, s[4:5], 0xbe8
	s_load_dwordx2 s[16:17], s[4:5], s12 offset:0x480
	s_lshl_b64 s[12:13], s[0:1], 16
	s_add_u32 s0, s10, s12
	s_addc_u32 s1, s11, s13
	s_add_u32 s2, s2, s12
	s_and_b32 s14, s2, 3
	s_cmp_lg_u64 s[14:15], 0
	s_cselect_b64 s[2:3], -1, 0
	s_add_u32 s14, s8, s12
	s_or_b32 s14, s6, s14
	s_and_b32 s14, s14, 3
	s_cmp_lg_u32 s14, 0
	s_cselect_b64 s[20:21], -1, 0
	s_or_b64 s[20:21], s[20:21], s[2:3]
	s_waitcnt lgkmcnt(0)
	s_sub_u32 s2, s16, s12
	s_subb_u32 s3, s17, s13
	s_or_b64 s[0:1], s[16:17], s[0:1]
	s_and_b32 s14, s0, 3
	s_cmp_lg_u64 s[14:15], 0
	s_cselect_b64 s[0:1], -1, 0
	s_or_b64 s[0:1], s[20:21], s[0:1]
	s_andn2_b64 vcc, exec, s[0:1]
	s_mov_b64 s[0:1], -1
	s_cbranch_vccz .LBB11_5
; %bb.1:
	v_mov_b32_e32 v1, 0x10000
	v_mov_b32_e32 v2, 0
	v_cmp_lt_i64_e32 vcc, s[2:3], v[1:2]
	v_lshlrev_b32_e32 v2, 2, v0
	s_and_b64 s[0:1], vcc, exec
	s_cselect_b32 s1, s3, 0
	s_cselect_b32 s0, s2, 0x10000
	v_cmp_gt_i64_e32 vcc, s[0:1], v[2:3]
	s_and_saveexec_b64 s[14:15], vcc
	s_cbranch_execz .LBB11_4
; %bb.2:
	s_load_dword s16, s[4:5], 0xbfc
	s_lshr_b32 s17, s18, 16
	v_mov_b32_e32 v1, v3
	s_waitcnt vmcnt(0)
	v_mul_lo_u32 v3, v4, s17
	v_mov_b32_e32 v6, s13
	s_waitcnt lgkmcnt(0)
	s_and_b32 s19, s16, 0xffff
	v_add_co_u32_e32 v5, vcc, s12, v2
	v_mov_b32_e32 v2, v1
	v_addc_co_u32_e32 v6, vcc, 0, v6, vcc
	s_lshl_b32 s20, s19, 2
	s_mov_b64 s[16:17], 0
	v_mov_b32_e32 v7, s11
	v_mov_b32_e32 v8, s9
	s_mov_b32 s21, 0x6050400
	v_mov_b32_e32 v9, s7
	v_mov_b32_e32 v1, v0
.LBB11_3:                               ; =>This Inner Loop Header: Depth=1
	v_add_co_u32_e32 v10, vcc, s10, v5
	v_addc_co_u32_e32 v11, vcc, v7, v6, vcc
	v_add_co_u32_e32 v12, vcc, s8, v5
	v_addc_co_u32_e32 v13, vcc, v8, v6, vcc
	global_load_dword v14, v[10:11], off
	global_load_dword v15, v[12:13], off
	v_add_co_u32_e32 v10, vcc, s6, v5
	v_addc_co_u32_e32 v11, vcc, v9, v6, vcc
	v_add_co_u32_e32 v1, vcc, s19, v1
	v_addc_co_u32_e32 v2, vcc, 0, v2, vcc
	v_add_co_u32_e32 v5, vcc, s20, v5
	v_lshlrev_b64 v[12:13], 2, v[1:2]
	v_addc_co_u32_e32 v6, vcc, 0, v6, vcc
	v_cmp_le_i64_e32 vcc, s[0:1], v[12:13]
	s_or_b64 s[16:17], vcc, s[16:17]
	s_waitcnt vmcnt(1)
	v_lshrrev_b32_e32 v13, 8, v14
	s_waitcnt vmcnt(0)
	v_lshrrev_b32_e32 v16, 8, v15
	v_lshrrev_b32_e32 v17, 16, v14
	;; [unrolled: 1-line block ×3, first 2 shown]
	v_mad_legacy_u16 v12, v3, v15, v14
	v_lshrrev_b32_e32 v14, 24, v14
	v_lshrrev_b32_e32 v15, 24, v15
	v_mad_legacy_u16 v13, v3, v16, v13
	v_mad_legacy_u16 v16, v3, v18, v17
	;; [unrolled: 1-line block ×3, first 2 shown]
	v_and_b32_e32 v13, 0xff, v13
	v_and_b32_e32 v15, 0xff, v16
	v_lshlrev_b32_e32 v14, 24, v14
	v_perm_b32 v12, v13, v12, s21
	v_lshlrev_b32_e32 v13, 16, v15
	v_or3_b32 v12, v12, v13, v14
	global_store_dword v[10:11], v12, off
	s_andn2_b64 exec, exec, s[16:17]
	s_cbranch_execnz .LBB11_3
.LBB11_4:
	s_or_b64 exec, exec, s[14:15]
	s_mov_b64 s[0:1], 0
.LBB11_5:
	s_andn2_b64 vcc, exec, s[0:1]
	s_cbranch_vccnz .LBB11_25
; %bb.6:
	v_cmp_lt_i64_e64 s[0:1], s[2:3], 1
	s_and_b64 vcc, exec, s[0:1]
	s_cbranch_vccnz .LBB11_25
; %bb.7:
	v_mov_b32_e32 v1, 0x10000
	s_load_dword s4, s[4:5], 0xbfc
	v_mov_b32_e32 v2, 0
	v_cmp_lt_i64_e32 vcc, s[2:3], v[1:2]
	v_mov_b32_e32 v3, s11
	s_and_b64 s[0:1], vcc, exec
	v_cmp_lt_u64_e32 vcc, s[2:3], v[1:2]
	s_cselect_b32 s1, s3, 0
	s_cselect_b32 s0, s2, 0x10000
	s_lshr_b32 s15, s18, 16
	s_waitcnt lgkmcnt(0)
	s_and_b32 s16, s4, 0xffff
	s_and_b64 s[4:5], vcc, exec
	v_mov_b32_e32 v1, s13
	v_add_co_u32_e32 v2, vcc, s12, v0
	s_cselect_b32 s3, s3, 0
	s_cselect_b32 s2, s2, 0x10000
	s_lshl_b32 s17, s16, 1
	s_mul_i32 s18, s16, 3
	s_lshl_b32 s14, s16, 2
	v_addc_co_u32_e32 v1, vcc, 0, v1, vcc
	v_add_co_u32_e32 v9, vcc, s10, v2
	s_add_u32 s4, s12, s18
	v_addc_co_u32_e32 v10, vcc, v3, v1, vcc
	s_addc_u32 s5, s13, 0
	v_mov_b32_e32 v3, s5
	v_add_co_u32_e32 v5, vcc, s4, v0
	v_addc_co_u32_e32 v3, vcc, 0, v3, vcc
	v_mov_b32_e32 v6, s11
	v_add_co_u32_e32 v11, vcc, s10, v5
	v_addc_co_u32_e32 v12, vcc, v6, v3, vcc
	;; [unrolled: 3-line block ×3, first 2 shown]
	v_mov_b32_e32 v6, s7
	v_add_co_u32_e32 v15, vcc, s6, v5
	s_add_u32 s4, s12, s17
	v_addc_co_u32_e32 v16, vcc, v6, v3, vcc
	s_addc_u32 s5, s13, 0
	v_mov_b32_e32 v3, s5
	v_add_co_u32_e32 v5, vcc, s4, v0
	v_addc_co_u32_e32 v3, vcc, 0, v3, vcc
	v_mov_b32_e32 v6, s11
	v_add_co_u32_e32 v17, vcc, s10, v5
	v_addc_co_u32_e32 v18, vcc, v6, v3, vcc
	;; [unrolled: 3-line block ×6, first 2 shown]
	v_add_co_u32_e32 v2, vcc, s16, v2
	v_addc_co_u32_e32 v1, vcc, 0, v1, vcc
	v_mov_b32_e32 v3, s11
	v_add_co_u32_e32 v27, vcc, s10, v2
	v_addc_co_u32_e32 v28, vcc, v3, v1, vcc
	v_mov_b32_e32 v3, s9
	;; [unrolled: 3-line block ×3, first 2 shown]
	v_add_co_u32_e32 v31, vcc, s6, v2
	v_addc_co_u32_e32 v32, vcc, v3, v1, vcc
	s_waitcnt vmcnt(0)
	v_mul_lo_u32 v33, v4, s15
	v_add_co_u32_e32 v34, vcc, s18, v0
	v_addc_co_u32_e64 v35, s[6:7], 0, 0, vcc
	v_add_co_u32_e32 v36, vcc, s17, v0
	v_addc_co_u32_e64 v37, s[6:7], 0, 0, vcc
	v_add_co_u32_e32 v38, vcc, s16, v0
	s_mov_b64 s[4:5], 0
	v_addc_co_u32_e64 v39, s[6:7], 0, 0, vcc
	s_branch .LBB11_9
.LBB11_8:                               ;   in Loop: Header=BB11_9 Depth=1
	s_or_b64 exec, exec, s[6:7]
	s_add_u32 s4, s4, s14
	v_mov_b32_e32 v2, s1
	s_addc_u32 s5, s5, 0
	v_mov_b32_e32 v1, s0
	v_cmp_ge_i64_e32 vcc, s[4:5], v[1:2]
	s_cbranch_vccnz .LBB11_25
.LBB11_9:                               ; =>This Inner Loop Header: Depth=1
	v_mov_b32_e32 v2, s5
	v_add_co_u32_e32 v1, vcc, s4, v0
	v_addc_co_u32_e32 v2, vcc, 0, v2, vcc
	v_cmp_gt_i64_e32 vcc, s[0:1], v[1:2]
	s_waitcnt vmcnt(0)
	v_mov_b32_e32 v40, 0
	v_mov_b32_e32 v41, 0
	s_and_saveexec_b64 s[6:7], vcc
	s_cbranch_execz .LBB11_11
; %bb.10:                               ;   in Loop: Header=BB11_9 Depth=1
	v_mov_b32_e32 v6, s5
	v_add_co_u32_e32 v3, vcc, s4, v9
	v_addc_co_u32_e32 v4, vcc, v10, v6, vcc
	v_add_co_u32_e32 v5, vcc, s4, v23
	v_addc_co_u32_e32 v6, vcc, v24, v6, vcc
	global_load_ubyte v41, v[3:4], off
	global_load_ubyte v40, v[5:6], off
.LBB11_11:                              ;   in Loop: Header=BB11_9 Depth=1
	s_or_b64 exec, exec, s[6:7]
	v_mov_b32_e32 v4, s5
	v_add_co_u32_e32 v3, vcc, s4, v38
	v_addc_co_u32_e32 v4, vcc, v39, v4, vcc
	v_cmp_gt_i64_e32 vcc, s[0:1], v[3:4]
	s_and_saveexec_b64 s[6:7], vcc
	s_cbranch_execz .LBB11_13
; %bb.12:                               ;   in Loop: Header=BB11_9 Depth=1
	v_mov_b32_e32 v8, s5
	v_add_co_u32_e32 v5, vcc, s4, v29
	v_addc_co_u32_e32 v6, vcc, v30, v8, vcc
	v_add_co_u32_e32 v7, vcc, s4, v27
	v_addc_co_u32_e32 v8, vcc, v28, v8, vcc
	global_load_ubyte v42, v[7:8], off
	global_load_ubyte v43, v[5:6], off
	s_waitcnt vmcnt(1)
	v_lshl_or_b32 v41, v42, 8, v41
	s_waitcnt vmcnt(0)
	v_lshl_or_b32 v40, v43, 8, v40
.LBB11_13:                              ;   in Loop: Header=BB11_9 Depth=1
	s_or_b64 exec, exec, s[6:7]
	v_mov_b32_e32 v6, s5
	v_add_co_u32_e32 v5, vcc, s4, v36
	v_addc_co_u32_e32 v6, vcc, v37, v6, vcc
	v_cmp_gt_i64_e32 vcc, s[0:1], v[5:6]
	s_and_saveexec_b64 s[6:7], vcc
	s_cbranch_execz .LBB11_15
; %bb.14:                               ;   in Loop: Header=BB11_9 Depth=1
	v_mov_b32_e32 v43, s5
	v_add_co_u32_e32 v7, vcc, s4, v19
	v_addc_co_u32_e32 v8, vcc, v20, v43, vcc
	v_add_co_u32_e32 v42, vcc, s4, v17
	v_addc_co_u32_e32 v43, vcc, v18, v43, vcc
	global_load_ubyte v44, v[42:43], off
	global_load_ubyte v45, v[7:8], off
	s_waitcnt vmcnt(1)
	v_lshl_or_b32 v41, v44, 16, v41
	s_waitcnt vmcnt(0)
	v_lshl_or_b32 v40, v45, 16, v40
.LBB11_15:                              ;   in Loop: Header=BB11_9 Depth=1
	s_or_b64 exec, exec, s[6:7]
	v_mov_b32_e32 v8, s5
	v_add_co_u32_e32 v7, vcc, s4, v34
	v_addc_co_u32_e32 v8, vcc, v35, v8, vcc
	v_cmp_gt_i64_e32 vcc, s[0:1], v[7:8]
	s_and_saveexec_b64 s[6:7], vcc
	s_cbranch_execnz .LBB11_20
; %bb.16:                               ;   in Loop: Header=BB11_9 Depth=1
	s_or_b64 exec, exec, s[6:7]
	v_cmp_gt_u64_e32 vcc, s[2:3], v[1:2]
	s_and_saveexec_b64 s[6:7], vcc
	s_cbranch_execnz .LBB11_21
.LBB11_17:                              ;   in Loop: Header=BB11_9 Depth=1
	s_or_b64 exec, exec, s[6:7]
	v_cmp_gt_u64_e32 vcc, s[2:3], v[3:4]
	s_and_saveexec_b64 s[6:7], vcc
	s_cbranch_execnz .LBB11_22
.LBB11_18:                              ;   in Loop: Header=BB11_9 Depth=1
	s_or_b64 exec, exec, s[6:7]
	v_cmp_gt_u64_e32 vcc, s[2:3], v[5:6]
	s_and_saveexec_b64 s[6:7], vcc
	s_cbranch_execnz .LBB11_23
.LBB11_19:                              ;   in Loop: Header=BB11_9 Depth=1
	s_or_b64 exec, exec, s[6:7]
	v_cmp_gt_u64_e32 vcc, s[2:3], v[7:8]
	s_and_saveexec_b64 s[6:7], vcc
	s_cbranch_execz .LBB11_8
	s_branch .LBB11_24
.LBB11_20:                              ;   in Loop: Header=BB11_9 Depth=1
	v_mov_b32_e32 v45, s5
	v_add_co_u32_e32 v42, vcc, s4, v13
	v_addc_co_u32_e32 v43, vcc, v14, v45, vcc
	v_add_co_u32_e32 v44, vcc, s4, v11
	v_addc_co_u32_e32 v45, vcc, v12, v45, vcc
	global_load_ubyte v46, v[44:45], off
	global_load_ubyte v47, v[42:43], off
	s_waitcnt vmcnt(1)
	v_lshl_or_b32 v41, v46, 24, v41
	s_waitcnt vmcnt(0)
	v_lshl_or_b32 v40, v47, 24, v40
	s_or_b64 exec, exec, s[6:7]
	v_cmp_gt_u64_e32 vcc, s[2:3], v[1:2]
	s_and_saveexec_b64 s[6:7], vcc
	s_cbranch_execz .LBB11_17
.LBB11_21:                              ;   in Loop: Header=BB11_9 Depth=1
	v_mov_b32_e32 v2, s5
	v_add_co_u32_e32 v1, vcc, s4, v25
	s_waitcnt vmcnt(0)
	v_mad_legacy_u16 v42, v33, v40, v41
	v_addc_co_u32_e32 v2, vcc, v26, v2, vcc
	global_store_byte v[1:2], v42, off
	s_or_b64 exec, exec, s[6:7]
	v_cmp_gt_u64_e32 vcc, s[2:3], v[3:4]
	s_and_saveexec_b64 s[6:7], vcc
	s_cbranch_execz .LBB11_18
.LBB11_22:                              ;   in Loop: Header=BB11_9 Depth=1
	s_waitcnt vmcnt(1)
	v_lshrrev_b32_e32 v1, 8, v41
	s_waitcnt vmcnt(0)
	v_lshrrev_b32_e32 v2, 8, v40
	v_mad_legacy_u16 v3, v33, v2, v1
	v_mov_b32_e32 v2, s5
	v_add_co_u32_e32 v1, vcc, s4, v31
	v_addc_co_u32_e32 v2, vcc, v32, v2, vcc
	global_store_byte v[1:2], v3, off
	s_or_b64 exec, exec, s[6:7]
	v_cmp_gt_u64_e32 vcc, s[2:3], v[5:6]
	s_and_saveexec_b64 s[6:7], vcc
	s_cbranch_execz .LBB11_19
.LBB11_23:                              ;   in Loop: Header=BB11_9 Depth=1
	s_waitcnt vmcnt(1)
	v_lshrrev_b32_e32 v1, 16, v41
	s_waitcnt vmcnt(0)
	v_lshrrev_b32_e32 v2, 16, v40
	v_mad_legacy_u16 v3, v33, v2, v1
	v_mov_b32_e32 v2, s5
	v_add_co_u32_e32 v1, vcc, s4, v21
	v_addc_co_u32_e32 v2, vcc, v22, v2, vcc
	global_store_byte v[1:2], v3, off
	s_or_b64 exec, exec, s[6:7]
	v_cmp_gt_u64_e32 vcc, s[2:3], v[7:8]
	s_and_saveexec_b64 s[6:7], vcc
	s_cbranch_execz .LBB11_8
.LBB11_24:                              ;   in Loop: Header=BB11_9 Depth=1
	s_waitcnt vmcnt(1)
	v_lshrrev_b32_e32 v1, 24, v41
	s_waitcnt vmcnt(0)
	v_lshrrev_b32_e32 v2, 24, v40
	v_mad_legacy_u16 v3, v33, v2, v1
	v_mov_b32_e32 v2, s5
	v_add_co_u32_e32 v1, vcc, s4, v15
	v_addc_co_u32_e32 v2, vcc, v16, v2, vcc
	global_store_byte v[1:2], v3, off
	s_branch .LBB11_8
.LBB11_25:
	s_endpgm
	.section	.rodata,"a",@progbits
	.p2align	6, 0x0
	.amdhsa_kernel _ZN2at6native12_GLOBAL__N_125multi_tensor_apply_kernelINS1_18TensorListMetadataILi4EEENS1_32PointwiseOpScalar0dTensorFunctorIhLi4ELi2ELi3EEEJSt10multipliesIhEhEEEvT_T0_DpT1_
		.amdhsa_group_segment_fixed_size 0
		.amdhsa_private_segment_fixed_size 0
		.amdhsa_kernarg_size 3312
		.amdhsa_user_sgpr_count 6
		.amdhsa_user_sgpr_private_segment_buffer 1
		.amdhsa_user_sgpr_dispatch_ptr 0
		.amdhsa_user_sgpr_queue_ptr 0
		.amdhsa_user_sgpr_kernarg_segment_ptr 1
		.amdhsa_user_sgpr_dispatch_id 0
		.amdhsa_user_sgpr_flat_scratch_init 0
		.amdhsa_user_sgpr_private_segment_size 0
		.amdhsa_uses_dynamic_stack 0
		.amdhsa_system_sgpr_private_segment_wavefront_offset 0
		.amdhsa_system_sgpr_workgroup_id_x 1
		.amdhsa_system_sgpr_workgroup_id_y 0
		.amdhsa_system_sgpr_workgroup_id_z 0
		.amdhsa_system_sgpr_workgroup_info 0
		.amdhsa_system_vgpr_workitem_id 0
		.amdhsa_next_free_vgpr 48
		.amdhsa_next_free_sgpr 22
		.amdhsa_reserve_vcc 1
		.amdhsa_reserve_flat_scratch 0
		.amdhsa_float_round_mode_32 0
		.amdhsa_float_round_mode_16_64 0
		.amdhsa_float_denorm_mode_32 3
		.amdhsa_float_denorm_mode_16_64 3
		.amdhsa_dx10_clamp 1
		.amdhsa_ieee_mode 1
		.amdhsa_fp16_overflow 0
		.amdhsa_exception_fp_ieee_invalid_op 0
		.amdhsa_exception_fp_denorm_src 0
		.amdhsa_exception_fp_ieee_div_zero 0
		.amdhsa_exception_fp_ieee_overflow 0
		.amdhsa_exception_fp_ieee_underflow 0
		.amdhsa_exception_fp_ieee_inexact 0
		.amdhsa_exception_int_div_zero 0
	.end_amdhsa_kernel
	.section	.text._ZN2at6native12_GLOBAL__N_125multi_tensor_apply_kernelINS1_18TensorListMetadataILi4EEENS1_32PointwiseOpScalar0dTensorFunctorIhLi4ELi2ELi3EEEJSt10multipliesIhEhEEEvT_T0_DpT1_,"axG",@progbits,_ZN2at6native12_GLOBAL__N_125multi_tensor_apply_kernelINS1_18TensorListMetadataILi4EEENS1_32PointwiseOpScalar0dTensorFunctorIhLi4ELi2ELi3EEEJSt10multipliesIhEhEEEvT_T0_DpT1_,comdat
.Lfunc_end11:
	.size	_ZN2at6native12_GLOBAL__N_125multi_tensor_apply_kernelINS1_18TensorListMetadataILi4EEENS1_32PointwiseOpScalar0dTensorFunctorIhLi4ELi2ELi3EEEJSt10multipliesIhEhEEEvT_T0_DpT1_, .Lfunc_end11-_ZN2at6native12_GLOBAL__N_125multi_tensor_apply_kernelINS1_18TensorListMetadataILi4EEENS1_32PointwiseOpScalar0dTensorFunctorIhLi4ELi2ELi3EEEJSt10multipliesIhEhEEEvT_T0_DpT1_
                                        ; -- End function
	.set _ZN2at6native12_GLOBAL__N_125multi_tensor_apply_kernelINS1_18TensorListMetadataILi4EEENS1_32PointwiseOpScalar0dTensorFunctorIhLi4ELi2ELi3EEEJSt10multipliesIhEhEEEvT_T0_DpT1_.num_vgpr, 48
	.set _ZN2at6native12_GLOBAL__N_125multi_tensor_apply_kernelINS1_18TensorListMetadataILi4EEENS1_32PointwiseOpScalar0dTensorFunctorIhLi4ELi2ELi3EEEJSt10multipliesIhEhEEEvT_T0_DpT1_.num_agpr, 0
	.set _ZN2at6native12_GLOBAL__N_125multi_tensor_apply_kernelINS1_18TensorListMetadataILi4EEENS1_32PointwiseOpScalar0dTensorFunctorIhLi4ELi2ELi3EEEJSt10multipliesIhEhEEEvT_T0_DpT1_.numbered_sgpr, 22
	.set _ZN2at6native12_GLOBAL__N_125multi_tensor_apply_kernelINS1_18TensorListMetadataILi4EEENS1_32PointwiseOpScalar0dTensorFunctorIhLi4ELi2ELi3EEEJSt10multipliesIhEhEEEvT_T0_DpT1_.num_named_barrier, 0
	.set _ZN2at6native12_GLOBAL__N_125multi_tensor_apply_kernelINS1_18TensorListMetadataILi4EEENS1_32PointwiseOpScalar0dTensorFunctorIhLi4ELi2ELi3EEEJSt10multipliesIhEhEEEvT_T0_DpT1_.private_seg_size, 0
	.set _ZN2at6native12_GLOBAL__N_125multi_tensor_apply_kernelINS1_18TensorListMetadataILi4EEENS1_32PointwiseOpScalar0dTensorFunctorIhLi4ELi2ELi3EEEJSt10multipliesIhEhEEEvT_T0_DpT1_.uses_vcc, 1
	.set _ZN2at6native12_GLOBAL__N_125multi_tensor_apply_kernelINS1_18TensorListMetadataILi4EEENS1_32PointwiseOpScalar0dTensorFunctorIhLi4ELi2ELi3EEEJSt10multipliesIhEhEEEvT_T0_DpT1_.uses_flat_scratch, 0
	.set _ZN2at6native12_GLOBAL__N_125multi_tensor_apply_kernelINS1_18TensorListMetadataILi4EEENS1_32PointwiseOpScalar0dTensorFunctorIhLi4ELi2ELi3EEEJSt10multipliesIhEhEEEvT_T0_DpT1_.has_dyn_sized_stack, 0
	.set _ZN2at6native12_GLOBAL__N_125multi_tensor_apply_kernelINS1_18TensorListMetadataILi4EEENS1_32PointwiseOpScalar0dTensorFunctorIhLi4ELi2ELi3EEEJSt10multipliesIhEhEEEvT_T0_DpT1_.has_recursion, 0
	.set _ZN2at6native12_GLOBAL__N_125multi_tensor_apply_kernelINS1_18TensorListMetadataILi4EEENS1_32PointwiseOpScalar0dTensorFunctorIhLi4ELi2ELi3EEEJSt10multipliesIhEhEEEvT_T0_DpT1_.has_indirect_call, 0
	.section	.AMDGPU.csdata,"",@progbits
; Kernel info:
; codeLenInByte = 1600
; TotalNumSgprs: 26
; NumVgprs: 48
; ScratchSize: 0
; MemoryBound: 0
; FloatMode: 240
; IeeeMode: 1
; LDSByteSize: 0 bytes/workgroup (compile time only)
; SGPRBlocks: 3
; VGPRBlocks: 11
; NumSGPRsForWavesPerEU: 26
; NumVGPRsForWavesPerEU: 48
; Occupancy: 5
; WaveLimiterHint : 0
; COMPUTE_PGM_RSRC2:SCRATCH_EN: 0
; COMPUTE_PGM_RSRC2:USER_SGPR: 6
; COMPUTE_PGM_RSRC2:TRAP_HANDLER: 0
; COMPUTE_PGM_RSRC2:TGID_X_EN: 1
; COMPUTE_PGM_RSRC2:TGID_Y_EN: 0
; COMPUTE_PGM_RSRC2:TGID_Z_EN: 0
; COMPUTE_PGM_RSRC2:TIDIG_COMP_CNT: 0
	.section	.text._ZN2at6native12_GLOBAL__N_125multi_tensor_apply_kernelINS1_18TensorListMetadataILi4EEENS1_32PointwiseOpScalar0dTensorFunctorIaLi4ELi2ELi3EEEJSt10multipliesIaEaEEEvT_T0_DpT1_,"axG",@progbits,_ZN2at6native12_GLOBAL__N_125multi_tensor_apply_kernelINS1_18TensorListMetadataILi4EEENS1_32PointwiseOpScalar0dTensorFunctorIaLi4ELi2ELi3EEEJSt10multipliesIaEaEEEvT_T0_DpT1_,comdat
	.globl	_ZN2at6native12_GLOBAL__N_125multi_tensor_apply_kernelINS1_18TensorListMetadataILi4EEENS1_32PointwiseOpScalar0dTensorFunctorIaLi4ELi2ELi3EEEJSt10multipliesIaEaEEEvT_T0_DpT1_ ; -- Begin function _ZN2at6native12_GLOBAL__N_125multi_tensor_apply_kernelINS1_18TensorListMetadataILi4EEENS1_32PointwiseOpScalar0dTensorFunctorIaLi4ELi2ELi3EEEJSt10multipliesIaEaEEEvT_T0_DpT1_
	.p2align	8
	.type	_ZN2at6native12_GLOBAL__N_125multi_tensor_apply_kernelINS1_18TensorListMetadataILi4EEENS1_32PointwiseOpScalar0dTensorFunctorIaLi4ELi2ELi3EEEJSt10multipliesIaEaEEEvT_T0_DpT1_,@function
_ZN2at6native12_GLOBAL__N_125multi_tensor_apply_kernelINS1_18TensorListMetadataILi4EEENS1_32PointwiseOpScalar0dTensorFunctorIaLi4ELi2ELi3EEEJSt10multipliesIaEaEEEvT_T0_DpT1_: ; @_ZN2at6native12_GLOBAL__N_125multi_tensor_apply_kernelINS1_18TensorListMetadataILi4EEENS1_32PointwiseOpScalar0dTensorFunctorIaLi4ELi2ELi3EEEJSt10multipliesIaEaEEEvT_T0_DpT1_
; %bb.0:
	v_mov_b32_e32 v1, s6
	global_load_ubyte v1, v1, s[4:5] offset:1440
	s_add_u32 s0, s4, s6
	s_addc_u32 s1, s5, 0
	s_mul_hi_u32 s2, s6, 3
	s_mul_i32 s6, s6, 3
	s_add_u32 s0, s0, s6
	s_addc_u32 s1, s1, s2
	s_load_dword s0, s[0:1], 0x6e0
	v_mov_b32_e32 v3, 0
	s_mov_b32 s15, 0
	s_waitcnt vmcnt(0)
	v_readfirstlane_b32 s1, v1
	s_lshl_b32 s12, s1, 3
	s_load_dwordx2 s[2:3], s[4:5], s12 offset:0x120
	s_load_dwordx2 s[8:9], s[4:5], s12 offset:0x240
	;; [unrolled: 1-line block ×4, first 2 shown]
	s_waitcnt lgkmcnt(0)
	s_ashr_i32 s1, s0, 31
	global_load_ubyte v4, v3, s[2:3]
	s_load_dword s18, s[4:5], 0xbe8
	s_load_dwordx2 s[16:17], s[4:5], s12 offset:0x480
	s_lshl_b64 s[12:13], s[0:1], 16
	s_add_u32 s0, s10, s12
	s_addc_u32 s1, s11, s13
	s_add_u32 s2, s2, s12
	s_and_b32 s14, s2, 3
	s_cmp_lg_u64 s[14:15], 0
	s_cselect_b64 s[2:3], -1, 0
	s_add_u32 s14, s8, s12
	s_or_b32 s14, s6, s14
	s_and_b32 s14, s14, 3
	s_cmp_lg_u32 s14, 0
	s_cselect_b64 s[20:21], -1, 0
	s_or_b64 s[20:21], s[20:21], s[2:3]
	s_waitcnt lgkmcnt(0)
	s_sub_u32 s2, s16, s12
	s_subb_u32 s3, s17, s13
	s_or_b64 s[0:1], s[16:17], s[0:1]
	s_and_b32 s14, s0, 3
	s_cmp_lg_u64 s[14:15], 0
	s_cselect_b64 s[0:1], -1, 0
	s_or_b64 s[0:1], s[20:21], s[0:1]
	s_andn2_b64 vcc, exec, s[0:1]
	s_mov_b64 s[0:1], -1
	s_cbranch_vccz .LBB12_5
; %bb.1:
	v_mov_b32_e32 v1, 0x10000
	v_mov_b32_e32 v2, 0
	v_cmp_lt_i64_e32 vcc, s[2:3], v[1:2]
	v_lshlrev_b32_e32 v2, 2, v0
	s_and_b64 s[0:1], vcc, exec
	s_cselect_b32 s1, s3, 0
	s_cselect_b32 s0, s2, 0x10000
	v_cmp_gt_i64_e32 vcc, s[0:1], v[2:3]
	s_and_saveexec_b64 s[14:15], vcc
	s_cbranch_execz .LBB12_4
; %bb.2:
	s_load_dword s16, s[4:5], 0xbfc
	s_lshr_b32 s17, s18, 16
	v_mov_b32_e32 v1, v3
	s_waitcnt vmcnt(0)
	v_mul_lo_u32 v3, v4, s17
	v_mov_b32_e32 v6, s13
	s_waitcnt lgkmcnt(0)
	s_and_b32 s19, s16, 0xffff
	v_add_co_u32_e32 v5, vcc, s12, v2
	v_mov_b32_e32 v2, v1
	v_addc_co_u32_e32 v6, vcc, 0, v6, vcc
	s_lshl_b32 s20, s19, 2
	s_mov_b64 s[16:17], 0
	v_mov_b32_e32 v7, s11
	v_mov_b32_e32 v8, s9
	s_mov_b32 s21, 0x6050400
	v_mov_b32_e32 v9, s7
	v_mov_b32_e32 v1, v0
.LBB12_3:                               ; =>This Inner Loop Header: Depth=1
	v_add_co_u32_e32 v10, vcc, s10, v5
	v_addc_co_u32_e32 v11, vcc, v7, v6, vcc
	v_add_co_u32_e32 v12, vcc, s8, v5
	v_addc_co_u32_e32 v13, vcc, v8, v6, vcc
	global_load_dword v14, v[10:11], off
	global_load_dword v15, v[12:13], off
	v_add_co_u32_e32 v10, vcc, s6, v5
	v_addc_co_u32_e32 v11, vcc, v9, v6, vcc
	v_add_co_u32_e32 v1, vcc, s19, v1
	v_addc_co_u32_e32 v2, vcc, 0, v2, vcc
	v_add_co_u32_e32 v5, vcc, s20, v5
	v_lshlrev_b64 v[12:13], 2, v[1:2]
	v_addc_co_u32_e32 v6, vcc, 0, v6, vcc
	v_cmp_le_i64_e32 vcc, s[0:1], v[12:13]
	s_or_b64 s[16:17], vcc, s[16:17]
	s_waitcnt vmcnt(1)
	v_lshrrev_b32_e32 v13, 8, v14
	s_waitcnt vmcnt(0)
	v_lshrrev_b32_e32 v16, 8, v15
	v_lshrrev_b32_e32 v17, 16, v14
	v_lshrrev_b32_e32 v18, 16, v15
	v_mad_legacy_u16 v12, v3, v15, v14
	v_lshrrev_b32_e32 v14, 24, v14
	v_lshrrev_b32_e32 v15, 24, v15
	v_mad_legacy_u16 v13, v3, v16, v13
	v_mad_legacy_u16 v16, v3, v18, v17
	;; [unrolled: 1-line block ×3, first 2 shown]
	v_and_b32_e32 v13, 0xff, v13
	v_and_b32_e32 v15, 0xff, v16
	v_lshlrev_b32_e32 v14, 24, v14
	v_perm_b32 v12, v13, v12, s21
	v_lshlrev_b32_e32 v13, 16, v15
	v_or3_b32 v12, v12, v13, v14
	global_store_dword v[10:11], v12, off
	s_andn2_b64 exec, exec, s[16:17]
	s_cbranch_execnz .LBB12_3
.LBB12_4:
	s_or_b64 exec, exec, s[14:15]
	s_mov_b64 s[0:1], 0
.LBB12_5:
	s_andn2_b64 vcc, exec, s[0:1]
	s_cbranch_vccnz .LBB12_25
; %bb.6:
	v_cmp_lt_i64_e64 s[0:1], s[2:3], 1
	s_and_b64 vcc, exec, s[0:1]
	s_cbranch_vccnz .LBB12_25
; %bb.7:
	v_mov_b32_e32 v1, 0x10000
	s_load_dword s4, s[4:5], 0xbfc
	v_mov_b32_e32 v2, 0
	v_cmp_lt_i64_e32 vcc, s[2:3], v[1:2]
	v_mov_b32_e32 v3, s11
	s_and_b64 s[0:1], vcc, exec
	v_cmp_lt_u64_e32 vcc, s[2:3], v[1:2]
	s_cselect_b32 s1, s3, 0
	s_cselect_b32 s0, s2, 0x10000
	s_lshr_b32 s15, s18, 16
	s_waitcnt lgkmcnt(0)
	s_and_b32 s16, s4, 0xffff
	s_and_b64 s[4:5], vcc, exec
	v_mov_b32_e32 v1, s13
	v_add_co_u32_e32 v2, vcc, s12, v0
	s_cselect_b32 s3, s3, 0
	s_cselect_b32 s2, s2, 0x10000
	s_lshl_b32 s17, s16, 1
	s_mul_i32 s18, s16, 3
	s_lshl_b32 s14, s16, 2
	v_addc_co_u32_e32 v1, vcc, 0, v1, vcc
	v_add_co_u32_e32 v9, vcc, s10, v2
	s_add_u32 s4, s12, s18
	v_addc_co_u32_e32 v10, vcc, v3, v1, vcc
	s_addc_u32 s5, s13, 0
	v_mov_b32_e32 v3, s5
	v_add_co_u32_e32 v5, vcc, s4, v0
	v_addc_co_u32_e32 v3, vcc, 0, v3, vcc
	v_mov_b32_e32 v6, s11
	v_add_co_u32_e32 v11, vcc, s10, v5
	v_addc_co_u32_e32 v12, vcc, v6, v3, vcc
	;; [unrolled: 3-line block ×3, first 2 shown]
	v_mov_b32_e32 v6, s7
	v_add_co_u32_e32 v15, vcc, s6, v5
	s_add_u32 s4, s12, s17
	v_addc_co_u32_e32 v16, vcc, v6, v3, vcc
	s_addc_u32 s5, s13, 0
	v_mov_b32_e32 v3, s5
	v_add_co_u32_e32 v5, vcc, s4, v0
	v_addc_co_u32_e32 v3, vcc, 0, v3, vcc
	v_mov_b32_e32 v6, s11
	v_add_co_u32_e32 v17, vcc, s10, v5
	v_addc_co_u32_e32 v18, vcc, v6, v3, vcc
	v_mov_b32_e32 v6, s9
	v_add_co_u32_e32 v19, vcc, s8, v5
	v_addc_co_u32_e32 v20, vcc, v6, v3, vcc
	v_mov_b32_e32 v6, s7
	v_add_co_u32_e32 v21, vcc, s6, v5
	v_addc_co_u32_e32 v22, vcc, v6, v3, vcc
	v_mov_b32_e32 v3, s9
	v_add_co_u32_e32 v23, vcc, s8, v2
	v_addc_co_u32_e32 v24, vcc, v3, v1, vcc
	v_mov_b32_e32 v3, s7
	v_add_co_u32_e32 v25, vcc, s6, v2
	v_addc_co_u32_e32 v26, vcc, v3, v1, vcc
	v_add_co_u32_e32 v2, vcc, s16, v2
	v_addc_co_u32_e32 v1, vcc, 0, v1, vcc
	v_mov_b32_e32 v3, s11
	v_add_co_u32_e32 v27, vcc, s10, v2
	v_addc_co_u32_e32 v28, vcc, v3, v1, vcc
	v_mov_b32_e32 v3, s9
	;; [unrolled: 3-line block ×3, first 2 shown]
	v_add_co_u32_e32 v31, vcc, s6, v2
	v_addc_co_u32_e32 v32, vcc, v3, v1, vcc
	s_waitcnt vmcnt(0)
	v_mul_lo_u32 v33, v4, s15
	v_add_co_u32_e32 v34, vcc, s18, v0
	v_addc_co_u32_e64 v35, s[6:7], 0, 0, vcc
	v_add_co_u32_e32 v36, vcc, s17, v0
	v_addc_co_u32_e64 v37, s[6:7], 0, 0, vcc
	v_add_co_u32_e32 v38, vcc, s16, v0
	s_mov_b64 s[4:5], 0
	v_addc_co_u32_e64 v39, s[6:7], 0, 0, vcc
	s_branch .LBB12_9
.LBB12_8:                               ;   in Loop: Header=BB12_9 Depth=1
	s_or_b64 exec, exec, s[6:7]
	s_add_u32 s4, s4, s14
	v_mov_b32_e32 v2, s1
	s_addc_u32 s5, s5, 0
	v_mov_b32_e32 v1, s0
	v_cmp_ge_i64_e32 vcc, s[4:5], v[1:2]
	s_cbranch_vccnz .LBB12_25
.LBB12_9:                               ; =>This Inner Loop Header: Depth=1
	v_mov_b32_e32 v2, s5
	v_add_co_u32_e32 v1, vcc, s4, v0
	v_addc_co_u32_e32 v2, vcc, 0, v2, vcc
	v_cmp_gt_i64_e32 vcc, s[0:1], v[1:2]
	s_waitcnt vmcnt(0)
	v_mov_b32_e32 v40, 0
	v_mov_b32_e32 v41, 0
	s_and_saveexec_b64 s[6:7], vcc
	s_cbranch_execz .LBB12_11
; %bb.10:                               ;   in Loop: Header=BB12_9 Depth=1
	v_mov_b32_e32 v6, s5
	v_add_co_u32_e32 v3, vcc, s4, v9
	v_addc_co_u32_e32 v4, vcc, v10, v6, vcc
	v_add_co_u32_e32 v5, vcc, s4, v23
	v_addc_co_u32_e32 v6, vcc, v24, v6, vcc
	global_load_ubyte v41, v[3:4], off
	global_load_ubyte v40, v[5:6], off
.LBB12_11:                              ;   in Loop: Header=BB12_9 Depth=1
	s_or_b64 exec, exec, s[6:7]
	v_mov_b32_e32 v4, s5
	v_add_co_u32_e32 v3, vcc, s4, v38
	v_addc_co_u32_e32 v4, vcc, v39, v4, vcc
	v_cmp_gt_i64_e32 vcc, s[0:1], v[3:4]
	s_and_saveexec_b64 s[6:7], vcc
	s_cbranch_execz .LBB12_13
; %bb.12:                               ;   in Loop: Header=BB12_9 Depth=1
	v_mov_b32_e32 v8, s5
	v_add_co_u32_e32 v5, vcc, s4, v29
	v_addc_co_u32_e32 v6, vcc, v30, v8, vcc
	v_add_co_u32_e32 v7, vcc, s4, v27
	v_addc_co_u32_e32 v8, vcc, v28, v8, vcc
	global_load_ubyte v42, v[7:8], off
	global_load_ubyte v43, v[5:6], off
	s_waitcnt vmcnt(1)
	v_lshl_or_b32 v41, v42, 8, v41
	s_waitcnt vmcnt(0)
	v_lshl_or_b32 v40, v43, 8, v40
.LBB12_13:                              ;   in Loop: Header=BB12_9 Depth=1
	s_or_b64 exec, exec, s[6:7]
	v_mov_b32_e32 v6, s5
	v_add_co_u32_e32 v5, vcc, s4, v36
	v_addc_co_u32_e32 v6, vcc, v37, v6, vcc
	v_cmp_gt_i64_e32 vcc, s[0:1], v[5:6]
	s_and_saveexec_b64 s[6:7], vcc
	s_cbranch_execz .LBB12_15
; %bb.14:                               ;   in Loop: Header=BB12_9 Depth=1
	v_mov_b32_e32 v43, s5
	v_add_co_u32_e32 v7, vcc, s4, v19
	v_addc_co_u32_e32 v8, vcc, v20, v43, vcc
	v_add_co_u32_e32 v42, vcc, s4, v17
	v_addc_co_u32_e32 v43, vcc, v18, v43, vcc
	global_load_ubyte v44, v[42:43], off
	global_load_ubyte v45, v[7:8], off
	s_waitcnt vmcnt(1)
	v_lshl_or_b32 v41, v44, 16, v41
	s_waitcnt vmcnt(0)
	v_lshl_or_b32 v40, v45, 16, v40
.LBB12_15:                              ;   in Loop: Header=BB12_9 Depth=1
	s_or_b64 exec, exec, s[6:7]
	v_mov_b32_e32 v8, s5
	v_add_co_u32_e32 v7, vcc, s4, v34
	v_addc_co_u32_e32 v8, vcc, v35, v8, vcc
	v_cmp_gt_i64_e32 vcc, s[0:1], v[7:8]
	s_and_saveexec_b64 s[6:7], vcc
	s_cbranch_execnz .LBB12_20
; %bb.16:                               ;   in Loop: Header=BB12_9 Depth=1
	s_or_b64 exec, exec, s[6:7]
	v_cmp_gt_u64_e32 vcc, s[2:3], v[1:2]
	s_and_saveexec_b64 s[6:7], vcc
	s_cbranch_execnz .LBB12_21
.LBB12_17:                              ;   in Loop: Header=BB12_9 Depth=1
	s_or_b64 exec, exec, s[6:7]
	v_cmp_gt_u64_e32 vcc, s[2:3], v[3:4]
	s_and_saveexec_b64 s[6:7], vcc
	s_cbranch_execnz .LBB12_22
.LBB12_18:                              ;   in Loop: Header=BB12_9 Depth=1
	s_or_b64 exec, exec, s[6:7]
	v_cmp_gt_u64_e32 vcc, s[2:3], v[5:6]
	s_and_saveexec_b64 s[6:7], vcc
	s_cbranch_execnz .LBB12_23
.LBB12_19:                              ;   in Loop: Header=BB12_9 Depth=1
	s_or_b64 exec, exec, s[6:7]
	v_cmp_gt_u64_e32 vcc, s[2:3], v[7:8]
	s_and_saveexec_b64 s[6:7], vcc
	s_cbranch_execz .LBB12_8
	s_branch .LBB12_24
.LBB12_20:                              ;   in Loop: Header=BB12_9 Depth=1
	v_mov_b32_e32 v45, s5
	v_add_co_u32_e32 v42, vcc, s4, v13
	v_addc_co_u32_e32 v43, vcc, v14, v45, vcc
	v_add_co_u32_e32 v44, vcc, s4, v11
	v_addc_co_u32_e32 v45, vcc, v12, v45, vcc
	global_load_ubyte v46, v[44:45], off
	global_load_ubyte v47, v[42:43], off
	s_waitcnt vmcnt(1)
	v_lshl_or_b32 v41, v46, 24, v41
	s_waitcnt vmcnt(0)
	v_lshl_or_b32 v40, v47, 24, v40
	s_or_b64 exec, exec, s[6:7]
	v_cmp_gt_u64_e32 vcc, s[2:3], v[1:2]
	s_and_saveexec_b64 s[6:7], vcc
	s_cbranch_execz .LBB12_17
.LBB12_21:                              ;   in Loop: Header=BB12_9 Depth=1
	v_mov_b32_e32 v2, s5
	v_add_co_u32_e32 v1, vcc, s4, v25
	s_waitcnt vmcnt(0)
	v_mad_legacy_u16 v42, v33, v40, v41
	v_addc_co_u32_e32 v2, vcc, v26, v2, vcc
	global_store_byte v[1:2], v42, off
	s_or_b64 exec, exec, s[6:7]
	v_cmp_gt_u64_e32 vcc, s[2:3], v[3:4]
	s_and_saveexec_b64 s[6:7], vcc
	s_cbranch_execz .LBB12_18
.LBB12_22:                              ;   in Loop: Header=BB12_9 Depth=1
	s_waitcnt vmcnt(1)
	v_lshrrev_b32_e32 v1, 8, v41
	s_waitcnt vmcnt(0)
	v_lshrrev_b32_e32 v2, 8, v40
	v_mad_legacy_u16 v3, v33, v2, v1
	v_mov_b32_e32 v2, s5
	v_add_co_u32_e32 v1, vcc, s4, v31
	v_addc_co_u32_e32 v2, vcc, v32, v2, vcc
	global_store_byte v[1:2], v3, off
	s_or_b64 exec, exec, s[6:7]
	v_cmp_gt_u64_e32 vcc, s[2:3], v[5:6]
	s_and_saveexec_b64 s[6:7], vcc
	s_cbranch_execz .LBB12_19
.LBB12_23:                              ;   in Loop: Header=BB12_9 Depth=1
	s_waitcnt vmcnt(1)
	v_lshrrev_b32_e32 v1, 16, v41
	s_waitcnt vmcnt(0)
	v_lshrrev_b32_e32 v2, 16, v40
	v_mad_legacy_u16 v3, v33, v2, v1
	v_mov_b32_e32 v2, s5
	v_add_co_u32_e32 v1, vcc, s4, v21
	v_addc_co_u32_e32 v2, vcc, v22, v2, vcc
	global_store_byte v[1:2], v3, off
	s_or_b64 exec, exec, s[6:7]
	v_cmp_gt_u64_e32 vcc, s[2:3], v[7:8]
	s_and_saveexec_b64 s[6:7], vcc
	s_cbranch_execz .LBB12_8
.LBB12_24:                              ;   in Loop: Header=BB12_9 Depth=1
	s_waitcnt vmcnt(1)
	v_lshrrev_b32_e32 v1, 24, v41
	s_waitcnt vmcnt(0)
	v_lshrrev_b32_e32 v2, 24, v40
	v_mad_legacy_u16 v3, v33, v2, v1
	v_mov_b32_e32 v2, s5
	v_add_co_u32_e32 v1, vcc, s4, v15
	v_addc_co_u32_e32 v2, vcc, v16, v2, vcc
	global_store_byte v[1:2], v3, off
	s_branch .LBB12_8
.LBB12_25:
	s_endpgm
	.section	.rodata,"a",@progbits
	.p2align	6, 0x0
	.amdhsa_kernel _ZN2at6native12_GLOBAL__N_125multi_tensor_apply_kernelINS1_18TensorListMetadataILi4EEENS1_32PointwiseOpScalar0dTensorFunctorIaLi4ELi2ELi3EEEJSt10multipliesIaEaEEEvT_T0_DpT1_
		.amdhsa_group_segment_fixed_size 0
		.amdhsa_private_segment_fixed_size 0
		.amdhsa_kernarg_size 3312
		.amdhsa_user_sgpr_count 6
		.amdhsa_user_sgpr_private_segment_buffer 1
		.amdhsa_user_sgpr_dispatch_ptr 0
		.amdhsa_user_sgpr_queue_ptr 0
		.amdhsa_user_sgpr_kernarg_segment_ptr 1
		.amdhsa_user_sgpr_dispatch_id 0
		.amdhsa_user_sgpr_flat_scratch_init 0
		.amdhsa_user_sgpr_private_segment_size 0
		.amdhsa_uses_dynamic_stack 0
		.amdhsa_system_sgpr_private_segment_wavefront_offset 0
		.amdhsa_system_sgpr_workgroup_id_x 1
		.amdhsa_system_sgpr_workgroup_id_y 0
		.amdhsa_system_sgpr_workgroup_id_z 0
		.amdhsa_system_sgpr_workgroup_info 0
		.amdhsa_system_vgpr_workitem_id 0
		.amdhsa_next_free_vgpr 48
		.amdhsa_next_free_sgpr 22
		.amdhsa_reserve_vcc 1
		.amdhsa_reserve_flat_scratch 0
		.amdhsa_float_round_mode_32 0
		.amdhsa_float_round_mode_16_64 0
		.amdhsa_float_denorm_mode_32 3
		.amdhsa_float_denorm_mode_16_64 3
		.amdhsa_dx10_clamp 1
		.amdhsa_ieee_mode 1
		.amdhsa_fp16_overflow 0
		.amdhsa_exception_fp_ieee_invalid_op 0
		.amdhsa_exception_fp_denorm_src 0
		.amdhsa_exception_fp_ieee_div_zero 0
		.amdhsa_exception_fp_ieee_overflow 0
		.amdhsa_exception_fp_ieee_underflow 0
		.amdhsa_exception_fp_ieee_inexact 0
		.amdhsa_exception_int_div_zero 0
	.end_amdhsa_kernel
	.section	.text._ZN2at6native12_GLOBAL__N_125multi_tensor_apply_kernelINS1_18TensorListMetadataILi4EEENS1_32PointwiseOpScalar0dTensorFunctorIaLi4ELi2ELi3EEEJSt10multipliesIaEaEEEvT_T0_DpT1_,"axG",@progbits,_ZN2at6native12_GLOBAL__N_125multi_tensor_apply_kernelINS1_18TensorListMetadataILi4EEENS1_32PointwiseOpScalar0dTensorFunctorIaLi4ELi2ELi3EEEJSt10multipliesIaEaEEEvT_T0_DpT1_,comdat
.Lfunc_end12:
	.size	_ZN2at6native12_GLOBAL__N_125multi_tensor_apply_kernelINS1_18TensorListMetadataILi4EEENS1_32PointwiseOpScalar0dTensorFunctorIaLi4ELi2ELi3EEEJSt10multipliesIaEaEEEvT_T0_DpT1_, .Lfunc_end12-_ZN2at6native12_GLOBAL__N_125multi_tensor_apply_kernelINS1_18TensorListMetadataILi4EEENS1_32PointwiseOpScalar0dTensorFunctorIaLi4ELi2ELi3EEEJSt10multipliesIaEaEEEvT_T0_DpT1_
                                        ; -- End function
	.set _ZN2at6native12_GLOBAL__N_125multi_tensor_apply_kernelINS1_18TensorListMetadataILi4EEENS1_32PointwiseOpScalar0dTensorFunctorIaLi4ELi2ELi3EEEJSt10multipliesIaEaEEEvT_T0_DpT1_.num_vgpr, 48
	.set _ZN2at6native12_GLOBAL__N_125multi_tensor_apply_kernelINS1_18TensorListMetadataILi4EEENS1_32PointwiseOpScalar0dTensorFunctorIaLi4ELi2ELi3EEEJSt10multipliesIaEaEEEvT_T0_DpT1_.num_agpr, 0
	.set _ZN2at6native12_GLOBAL__N_125multi_tensor_apply_kernelINS1_18TensorListMetadataILi4EEENS1_32PointwiseOpScalar0dTensorFunctorIaLi4ELi2ELi3EEEJSt10multipliesIaEaEEEvT_T0_DpT1_.numbered_sgpr, 22
	.set _ZN2at6native12_GLOBAL__N_125multi_tensor_apply_kernelINS1_18TensorListMetadataILi4EEENS1_32PointwiseOpScalar0dTensorFunctorIaLi4ELi2ELi3EEEJSt10multipliesIaEaEEEvT_T0_DpT1_.num_named_barrier, 0
	.set _ZN2at6native12_GLOBAL__N_125multi_tensor_apply_kernelINS1_18TensorListMetadataILi4EEENS1_32PointwiseOpScalar0dTensorFunctorIaLi4ELi2ELi3EEEJSt10multipliesIaEaEEEvT_T0_DpT1_.private_seg_size, 0
	.set _ZN2at6native12_GLOBAL__N_125multi_tensor_apply_kernelINS1_18TensorListMetadataILi4EEENS1_32PointwiseOpScalar0dTensorFunctorIaLi4ELi2ELi3EEEJSt10multipliesIaEaEEEvT_T0_DpT1_.uses_vcc, 1
	.set _ZN2at6native12_GLOBAL__N_125multi_tensor_apply_kernelINS1_18TensorListMetadataILi4EEENS1_32PointwiseOpScalar0dTensorFunctorIaLi4ELi2ELi3EEEJSt10multipliesIaEaEEEvT_T0_DpT1_.uses_flat_scratch, 0
	.set _ZN2at6native12_GLOBAL__N_125multi_tensor_apply_kernelINS1_18TensorListMetadataILi4EEENS1_32PointwiseOpScalar0dTensorFunctorIaLi4ELi2ELi3EEEJSt10multipliesIaEaEEEvT_T0_DpT1_.has_dyn_sized_stack, 0
	.set _ZN2at6native12_GLOBAL__N_125multi_tensor_apply_kernelINS1_18TensorListMetadataILi4EEENS1_32PointwiseOpScalar0dTensorFunctorIaLi4ELi2ELi3EEEJSt10multipliesIaEaEEEvT_T0_DpT1_.has_recursion, 0
	.set _ZN2at6native12_GLOBAL__N_125multi_tensor_apply_kernelINS1_18TensorListMetadataILi4EEENS1_32PointwiseOpScalar0dTensorFunctorIaLi4ELi2ELi3EEEJSt10multipliesIaEaEEEvT_T0_DpT1_.has_indirect_call, 0
	.section	.AMDGPU.csdata,"",@progbits
; Kernel info:
; codeLenInByte = 1600
; TotalNumSgprs: 26
; NumVgprs: 48
; ScratchSize: 0
; MemoryBound: 0
; FloatMode: 240
; IeeeMode: 1
; LDSByteSize: 0 bytes/workgroup (compile time only)
; SGPRBlocks: 3
; VGPRBlocks: 11
; NumSGPRsForWavesPerEU: 26
; NumVGPRsForWavesPerEU: 48
; Occupancy: 5
; WaveLimiterHint : 0
; COMPUTE_PGM_RSRC2:SCRATCH_EN: 0
; COMPUTE_PGM_RSRC2:USER_SGPR: 6
; COMPUTE_PGM_RSRC2:TRAP_HANDLER: 0
; COMPUTE_PGM_RSRC2:TGID_X_EN: 1
; COMPUTE_PGM_RSRC2:TGID_Y_EN: 0
; COMPUTE_PGM_RSRC2:TGID_Z_EN: 0
; COMPUTE_PGM_RSRC2:TIDIG_COMP_CNT: 0
	.section	.text._ZN2at6native12_GLOBAL__N_125multi_tensor_apply_kernelINS1_18TensorListMetadataILi4EEENS1_32PointwiseOpScalar0dTensorFunctorIiLi4ELi2ELi3EEEJSt10multipliesIiEiEEEvT_T0_DpT1_,"axG",@progbits,_ZN2at6native12_GLOBAL__N_125multi_tensor_apply_kernelINS1_18TensorListMetadataILi4EEENS1_32PointwiseOpScalar0dTensorFunctorIiLi4ELi2ELi3EEEJSt10multipliesIiEiEEEvT_T0_DpT1_,comdat
	.globl	_ZN2at6native12_GLOBAL__N_125multi_tensor_apply_kernelINS1_18TensorListMetadataILi4EEENS1_32PointwiseOpScalar0dTensorFunctorIiLi4ELi2ELi3EEEJSt10multipliesIiEiEEEvT_T0_DpT1_ ; -- Begin function _ZN2at6native12_GLOBAL__N_125multi_tensor_apply_kernelINS1_18TensorListMetadataILi4EEENS1_32PointwiseOpScalar0dTensorFunctorIiLi4ELi2ELi3EEEJSt10multipliesIiEiEEEvT_T0_DpT1_
	.p2align	8
	.type	_ZN2at6native12_GLOBAL__N_125multi_tensor_apply_kernelINS1_18TensorListMetadataILi4EEENS1_32PointwiseOpScalar0dTensorFunctorIiLi4ELi2ELi3EEEJSt10multipliesIiEiEEEvT_T0_DpT1_,@function
_ZN2at6native12_GLOBAL__N_125multi_tensor_apply_kernelINS1_18TensorListMetadataILi4EEENS1_32PointwiseOpScalar0dTensorFunctorIiLi4ELi2ELi3EEEJSt10multipliesIiEiEEEvT_T0_DpT1_: ; @_ZN2at6native12_GLOBAL__N_125multi_tensor_apply_kernelINS1_18TensorListMetadataILi4EEENS1_32PointwiseOpScalar0dTensorFunctorIiLi4ELi2ELi3EEEJSt10multipliesIiEiEEEvT_T0_DpT1_
; %bb.0:
	v_mov_b32_e32 v1, s6
	global_load_ubyte v1, v1, s[4:5] offset:1440
	s_add_u32 s0, s4, s6
	s_mul_hi_u32 s1, s6, 3
	s_mul_i32 s6, s6, 3
	s_addc_u32 s2, s5, 0
	s_add_u32 s0, s0, s6
	s_addc_u32 s1, s2, s1
	s_load_dword s0, s[0:1], 0x6e0
	s_mov_b32 s13, 0
	s_mov_b32 s7, s13
	;; [unrolled: 1-line block ×3, first 2 shown]
	s_waitcnt lgkmcnt(0)
	s_ashr_i32 s1, s0, 31
	s_lshl_b64 s[8:9], s[0:1], 18
	s_waitcnt vmcnt(0)
	v_readfirstlane_b32 s2, v1
	s_lshl_b32 s6, s2, 3
	s_load_dwordx2 s[2:3], s[4:5], s6 offset:0x0
	s_load_dwordx2 s[10:11], s[4:5], s6 offset:0x120
	s_load_dword s24, s[4:5], 0xbec
	s_load_dwordx2 s[16:17], s[4:5], s6 offset:0x480
	s_load_dwordx2 s[18:19], s[4:5], s6 offset:0x240
	s_load_dwordx2 s[20:21], s[4:5], s6 offset:0x360
	s_waitcnt lgkmcnt(0)
	s_add_u32 s2, s2, s8
	s_addc_u32 s3, s3, s9
	s_add_u32 s6, s10, s8
	s_and_b32 s12, s2, 15
	s_and_b32 s6, s6, 15
	s_cmp_lg_u64 s[6:7], 0
	s_load_dword s25, s[10:11], 0x0
	s_cselect_b64 s[10:11], -1, 0
	s_add_u32 s6, s18, s8
	s_addc_u32 s7, s19, s9
	s_add_u32 s8, s20, s8
	s_addc_u32 s9, s21, s9
	s_or_b32 s14, s8, s6
	s_and_b32 s14, s14, 15
	s_cmp_lg_u32 s14, 0
	s_cselect_b64 s[18:19], -1, 0
	s_lshl_b64 s[0:1], s[0:1], 16
	s_or_b64 s[18:19], s[18:19], s[10:11]
	s_sub_u32 s10, s16, s0
	s_subb_u32 s11, s17, s1
	s_and_b32 s14, s16, 3
	s_or_b64 s[0:1], s[12:13], s[14:15]
	s_cmp_lg_u64 s[0:1], 0
	s_cselect_b64 s[0:1], -1, 0
	s_or_b64 s[0:1], s[18:19], s[0:1]
	s_andn2_b64 vcc, exec, s[0:1]
	s_mov_b64 s[0:1], -1
	s_cbranch_vccz .LBB13_5
; %bb.1:
	v_mov_b32_e32 v1, 0x10000
	v_mov_b32_e32 v2, 0
	v_cmp_lt_i64_e32 vcc, s[10:11], v[1:2]
	v_mov_b32_e32 v2, 0
	s_and_b64 s[0:1], vcc, exec
	s_cselect_b32 s13, s11, 0
	s_cselect_b32 s12, s10, 0x10000
	v_lshlrev_b32_e32 v1, 2, v0
	v_cmp_gt_i64_e32 vcc, s[12:13], v[1:2]
	s_and_saveexec_b64 s[14:15], vcc
	s_cbranch_execz .LBB13_4
; %bb.2:
	s_load_dword s0, s[4:5], 0xbfc
	v_mov_b32_e32 v1, v2
	v_mov_b32_e32 v2, v1
	s_waitcnt lgkmcnt(0)
	s_mul_i32 s26, s25, s24
	v_lshlrev_b32_e32 v3, 4, v0
	s_and_b32 s27, s0, 0xffff
	s_mov_b64 s[16:17], 0
	s_lshl_b32 s28, s27, 4
	s_mov_b64 s[18:19], s[6:7]
	s_mov_b64 s[20:21], s[2:3]
	;; [unrolled: 1-line block ×3, first 2 shown]
	v_mov_b32_e32 v1, v0
.LBB13_3:                               ; =>This Inner Loop Header: Depth=1
	v_mov_b32_e32 v4, s21
	v_add_co_u32_e64 v14, s[0:1], s20, v3
	v_mov_b32_e32 v5, s19
	v_add_co_u32_e32 v12, vcc, s18, v3
	v_addc_co_u32_e64 v15, s[0:1], 0, v4, s[0:1]
	v_addc_co_u32_e32 v13, vcc, 0, v5, vcc
	global_load_dwordx4 v[4:7], v[14:15], off
	global_load_dwordx4 v[8:11], v[12:13], off
	v_add_co_u32_e64 v1, s[0:1], s27, v1
	v_mov_b32_e32 v12, s23
	v_add_co_u32_e32 v16, vcc, s22, v3
	v_addc_co_u32_e64 v2, s[0:1], 0, v2, s[0:1]
	v_addc_co_u32_e32 v17, vcc, 0, v12, vcc
	v_lshlrev_b64 v[12:13], 2, v[1:2]
	s_add_u32 s22, s22, s28
	s_addc_u32 s23, s23, 0
	v_cmp_le_i64_e32 vcc, s[12:13], v[12:13]
	s_add_u32 s20, s20, s28
	s_addc_u32 s21, s21, 0
	s_add_u32 s18, s18, s28
	s_addc_u32 s19, s19, 0
	s_or_b64 s[16:17], vcc, s[16:17]
	s_waitcnt vmcnt(0)
	v_mad_u64_u32 v[12:13], s[0:1], v8, s26, v[4:5]
	v_mov_b32_e32 v4, v7
	v_mad_u64_u32 v[13:14], s[0:1], v9, s26, v[5:6]
	v_mad_u64_u32 v[4:5], s[0:1], v11, s26, v[4:5]
	;; [unrolled: 1-line block ×3, first 2 shown]
	v_mov_b32_e32 v15, v4
	global_store_dwordx4 v[16:17], v[12:15], off
	s_andn2_b64 exec, exec, s[16:17]
	s_cbranch_execnz .LBB13_3
.LBB13_4:
	s_or_b64 exec, exec, s[14:15]
	s_mov_b64 s[0:1], 0
.LBB13_5:
	s_andn2_b64 vcc, exec, s[0:1]
	s_cbranch_vccnz .LBB13_25
; %bb.6:
	v_cmp_lt_i64_e64 s[0:1], s[10:11], 1
	s_and_b64 vcc, exec, s[0:1]
	s_cbranch_vccnz .LBB13_25
; %bb.7:
	v_mov_b32_e32 v1, 0x10000
	s_load_dword s4, s[4:5], 0xbfc
	v_mov_b32_e32 v2, 0
	v_cmp_lt_i64_e32 vcc, s[10:11], v[1:2]
	s_waitcnt lgkmcnt(0)
	s_mul_i32 s15, s25, s24
	s_and_b64 s[0:1], vcc, exec
	v_cmp_lt_u64_e32 vcc, s[10:11], v[1:2]
	s_cselect_b32 s1, s11, 0
	s_cselect_b32 s0, s10, 0x10000
	s_and_b32 s14, s4, 0xffff
	s_and_b64 s[4:5], vcc, exec
	s_cselect_b32 s5, s11, 0
	s_cselect_b32 s4, s10, 0x10000
	s_lshl_b32 s16, s14, 1
	s_mul_i32 s17, s14, 3
	s_lshl_b32 s18, s14, 2
	s_mov_b64 s[10:11], 0
	s_branch .LBB13_9
.LBB13_8:                               ;   in Loop: Header=BB13_9 Depth=1
	s_or_b64 exec, exec, s[12:13]
	s_add_u32 s10, s10, s18
	v_mov_b32_e32 v2, s1
	s_addc_u32 s11, s11, 0
	v_mov_b32_e32 v1, s0
	v_cmp_ge_i64_e32 vcc, s[10:11], v[1:2]
	s_cbranch_vccnz .LBB13_25
.LBB13_9:                               ; =>This Inner Loop Header: Depth=1
	v_mov_b32_e32 v2, s11
	v_add_co_u32_e32 v1, vcc, s10, v0
	v_addc_co_u32_e32 v2, vcc, 0, v2, vcc
	v_cmp_gt_i64_e32 vcc, s[0:1], v[1:2]
	s_waitcnt vmcnt(0)
	v_mov_b32_e32 v13, 0
	v_mov_b32_e32 v3, 0
	s_and_saveexec_b64 s[12:13], vcc
	s_cbranch_execz .LBB13_11
; %bb.10:                               ;   in Loop: Header=BB13_9 Depth=1
	v_lshlrev_b64 v[3:4], 2, v[1:2]
	v_mov_b32_e32 v6, s3
	v_add_co_u32_e32 v5, vcc, s2, v3
	v_addc_co_u32_e32 v6, vcc, v6, v4, vcc
	v_mov_b32_e32 v8, s7
	v_add_co_u32_e32 v7, vcc, s6, v3
	v_addc_co_u32_e32 v8, vcc, v8, v4, vcc
	global_load_dword v3, v[5:6], off
	global_load_dword v13, v[7:8], off
.LBB13_11:                              ;   in Loop: Header=BB13_9 Depth=1
	s_or_b64 exec, exec, s[12:13]
	v_add_co_u32_e32 v4, vcc, s14, v1
	v_addc_co_u32_e32 v5, vcc, 0, v2, vcc
	v_cmp_gt_i64_e32 vcc, s[0:1], v[4:5]
	v_mov_b32_e32 v14, 0
	v_mov_b32_e32 v15, 0
	;; [unrolled: 1-line block ×3, first 2 shown]
	s_and_saveexec_b64 s[12:13], vcc
	s_cbranch_execz .LBB13_13
; %bb.12:                               ;   in Loop: Header=BB13_9 Depth=1
	v_lshlrev_b64 v[6:7], 2, v[4:5]
	v_mov_b32_e32 v8, s3
	v_add_co_u32_e32 v9, vcc, s2, v6
	v_addc_co_u32_e32 v10, vcc, v8, v7, vcc
	v_mov_b32_e32 v8, s7
	v_add_co_u32_e32 v6, vcc, s6, v6
	v_addc_co_u32_e32 v7, vcc, v8, v7, vcc
	global_load_dword v8, v[9:10], off
	global_load_dword v15, v[6:7], off
.LBB13_13:                              ;   in Loop: Header=BB13_9 Depth=1
	s_or_b64 exec, exec, s[12:13]
	v_add_co_u32_e32 v6, vcc, s16, v1
	v_addc_co_u32_e32 v7, vcc, 0, v2, vcc
	v_cmp_gt_i64_e32 vcc, s[0:1], v[6:7]
	v_mov_b32_e32 v11, 0
	s_and_saveexec_b64 s[12:13], vcc
	s_cbranch_execz .LBB13_15
; %bb.14:                               ;   in Loop: Header=BB13_9 Depth=1
	v_lshlrev_b64 v[9:10], 2, v[6:7]
	v_mov_b32_e32 v11, s3
	v_add_co_u32_e32 v16, vcc, s2, v9
	v_addc_co_u32_e32 v17, vcc, v11, v10, vcc
	v_mov_b32_e32 v11, s7
	v_add_co_u32_e32 v9, vcc, s6, v9
	v_addc_co_u32_e32 v10, vcc, v11, v10, vcc
	global_load_dword v11, v[16:17], off
	global_load_dword v14, v[9:10], off
.LBB13_15:                              ;   in Loop: Header=BB13_9 Depth=1
	s_or_b64 exec, exec, s[12:13]
	v_add_co_u32_e32 v9, vcc, s17, v1
	v_addc_co_u32_e32 v10, vcc, 0, v2, vcc
	v_cmp_gt_i64_e32 vcc, s[0:1], v[9:10]
	v_mov_b32_e32 v16, 0
	v_mov_b32_e32 v12, 0
	s_and_saveexec_b64 s[12:13], vcc
	s_cbranch_execnz .LBB13_20
; %bb.16:                               ;   in Loop: Header=BB13_9 Depth=1
	s_or_b64 exec, exec, s[12:13]
	v_cmp_gt_u64_e32 vcc, s[4:5], v[1:2]
	s_and_saveexec_b64 s[12:13], vcc
	s_cbranch_execnz .LBB13_21
.LBB13_17:                              ;   in Loop: Header=BB13_9 Depth=1
	s_or_b64 exec, exec, s[12:13]
	v_cmp_gt_u64_e32 vcc, s[4:5], v[4:5]
	s_and_saveexec_b64 s[12:13], vcc
	s_cbranch_execnz .LBB13_22
.LBB13_18:                              ;   in Loop: Header=BB13_9 Depth=1
	s_or_b64 exec, exec, s[12:13]
	v_cmp_gt_u64_e32 vcc, s[4:5], v[6:7]
	s_and_saveexec_b64 s[12:13], vcc
	s_cbranch_execnz .LBB13_23
.LBB13_19:                              ;   in Loop: Header=BB13_9 Depth=1
	s_or_b64 exec, exec, s[12:13]
	v_cmp_gt_u64_e32 vcc, s[4:5], v[9:10]
	s_and_saveexec_b64 s[12:13], vcc
	s_cbranch_execz .LBB13_8
	s_branch .LBB13_24
.LBB13_20:                              ;   in Loop: Header=BB13_9 Depth=1
	v_lshlrev_b64 v[16:17], 2, v[9:10]
	v_mov_b32_e32 v12, s3
	v_add_co_u32_e32 v18, vcc, s2, v16
	v_addc_co_u32_e32 v19, vcc, v12, v17, vcc
	v_mov_b32_e32 v12, s7
	v_add_co_u32_e32 v20, vcc, s6, v16
	v_addc_co_u32_e32 v21, vcc, v12, v17, vcc
	global_load_dword v12, v[18:19], off
	global_load_dword v16, v[20:21], off
	s_or_b64 exec, exec, s[12:13]
	v_cmp_gt_u64_e32 vcc, s[4:5], v[1:2]
	s_and_saveexec_b64 s[12:13], vcc
	s_cbranch_execz .LBB13_17
.LBB13_21:                              ;   in Loop: Header=BB13_9 Depth=1
	v_lshlrev_b64 v[1:2], 2, v[1:2]
	s_waitcnt vmcnt(0)
	v_mad_u64_u32 v[17:18], s[20:21], v13, s15, v[3:4]
	v_mov_b32_e32 v19, s9
	v_add_co_u32_e32 v1, vcc, s8, v1
	v_addc_co_u32_e32 v2, vcc, v19, v2, vcc
	global_store_dword v[1:2], v17, off
	s_or_b64 exec, exec, s[12:13]
	v_cmp_gt_u64_e32 vcc, s[4:5], v[4:5]
	s_and_saveexec_b64 s[12:13], vcc
	s_cbranch_execz .LBB13_18
.LBB13_22:                              ;   in Loop: Header=BB13_9 Depth=1
	s_waitcnt vmcnt(0)
	v_mad_u64_u32 v[1:2], s[20:21], v15, s15, v[8:9]
	v_lshlrev_b64 v[2:3], 2, v[4:5]
	v_mov_b32_e32 v4, s9
	v_add_co_u32_e32 v2, vcc, s8, v2
	v_addc_co_u32_e32 v3, vcc, v4, v3, vcc
	global_store_dword v[2:3], v1, off
	s_or_b64 exec, exec, s[12:13]
	v_cmp_gt_u64_e32 vcc, s[4:5], v[6:7]
	s_and_saveexec_b64 s[12:13], vcc
	s_cbranch_execz .LBB13_19
.LBB13_23:                              ;   in Loop: Header=BB13_9 Depth=1
	s_waitcnt vmcnt(0)
	v_mad_u64_u32 v[1:2], s[20:21], v14, s15, v[11:12]
	v_lshlrev_b64 v[2:3], 2, v[6:7]
	v_mov_b32_e32 v4, s9
	v_add_co_u32_e32 v2, vcc, s8, v2
	v_addc_co_u32_e32 v3, vcc, v4, v3, vcc
	global_store_dword v[2:3], v1, off
	s_or_b64 exec, exec, s[12:13]
	v_cmp_gt_u64_e32 vcc, s[4:5], v[9:10]
	s_and_saveexec_b64 s[12:13], vcc
	s_cbranch_execz .LBB13_8
.LBB13_24:                              ;   in Loop: Header=BB13_9 Depth=1
	s_waitcnt vmcnt(0)
	v_mad_u64_u32 v[1:2], s[20:21], v16, s15, v[12:13]
	v_lshlrev_b64 v[2:3], 2, v[9:10]
	v_mov_b32_e32 v4, s9
	v_add_co_u32_e32 v2, vcc, s8, v2
	v_addc_co_u32_e32 v3, vcc, v4, v3, vcc
	global_store_dword v[2:3], v1, off
	s_branch .LBB13_8
.LBB13_25:
	s_endpgm
	.section	.rodata,"a",@progbits
	.p2align	6, 0x0
	.amdhsa_kernel _ZN2at6native12_GLOBAL__N_125multi_tensor_apply_kernelINS1_18TensorListMetadataILi4EEENS1_32PointwiseOpScalar0dTensorFunctorIiLi4ELi2ELi3EEEJSt10multipliesIiEiEEEvT_T0_DpT1_
		.amdhsa_group_segment_fixed_size 0
		.amdhsa_private_segment_fixed_size 0
		.amdhsa_kernarg_size 3312
		.amdhsa_user_sgpr_count 6
		.amdhsa_user_sgpr_private_segment_buffer 1
		.amdhsa_user_sgpr_dispatch_ptr 0
		.amdhsa_user_sgpr_queue_ptr 0
		.amdhsa_user_sgpr_kernarg_segment_ptr 1
		.amdhsa_user_sgpr_dispatch_id 0
		.amdhsa_user_sgpr_flat_scratch_init 0
		.amdhsa_user_sgpr_private_segment_size 0
		.amdhsa_uses_dynamic_stack 0
		.amdhsa_system_sgpr_private_segment_wavefront_offset 0
		.amdhsa_system_sgpr_workgroup_id_x 1
		.amdhsa_system_sgpr_workgroup_id_y 0
		.amdhsa_system_sgpr_workgroup_id_z 0
		.amdhsa_system_sgpr_workgroup_info 0
		.amdhsa_system_vgpr_workitem_id 0
		.amdhsa_next_free_vgpr 22
		.amdhsa_next_free_sgpr 29
		.amdhsa_reserve_vcc 1
		.amdhsa_reserve_flat_scratch 0
		.amdhsa_float_round_mode_32 0
		.amdhsa_float_round_mode_16_64 0
		.amdhsa_float_denorm_mode_32 3
		.amdhsa_float_denorm_mode_16_64 3
		.amdhsa_dx10_clamp 1
		.amdhsa_ieee_mode 1
		.amdhsa_fp16_overflow 0
		.amdhsa_exception_fp_ieee_invalid_op 0
		.amdhsa_exception_fp_denorm_src 0
		.amdhsa_exception_fp_ieee_div_zero 0
		.amdhsa_exception_fp_ieee_overflow 0
		.amdhsa_exception_fp_ieee_underflow 0
		.amdhsa_exception_fp_ieee_inexact 0
		.amdhsa_exception_int_div_zero 0
	.end_amdhsa_kernel
	.section	.text._ZN2at6native12_GLOBAL__N_125multi_tensor_apply_kernelINS1_18TensorListMetadataILi4EEENS1_32PointwiseOpScalar0dTensorFunctorIiLi4ELi2ELi3EEEJSt10multipliesIiEiEEEvT_T0_DpT1_,"axG",@progbits,_ZN2at6native12_GLOBAL__N_125multi_tensor_apply_kernelINS1_18TensorListMetadataILi4EEENS1_32PointwiseOpScalar0dTensorFunctorIiLi4ELi2ELi3EEEJSt10multipliesIiEiEEEvT_T0_DpT1_,comdat
.Lfunc_end13:
	.size	_ZN2at6native12_GLOBAL__N_125multi_tensor_apply_kernelINS1_18TensorListMetadataILi4EEENS1_32PointwiseOpScalar0dTensorFunctorIiLi4ELi2ELi3EEEJSt10multipliesIiEiEEEvT_T0_DpT1_, .Lfunc_end13-_ZN2at6native12_GLOBAL__N_125multi_tensor_apply_kernelINS1_18TensorListMetadataILi4EEENS1_32PointwiseOpScalar0dTensorFunctorIiLi4ELi2ELi3EEEJSt10multipliesIiEiEEEvT_T0_DpT1_
                                        ; -- End function
	.set _ZN2at6native12_GLOBAL__N_125multi_tensor_apply_kernelINS1_18TensorListMetadataILi4EEENS1_32PointwiseOpScalar0dTensorFunctorIiLi4ELi2ELi3EEEJSt10multipliesIiEiEEEvT_T0_DpT1_.num_vgpr, 22
	.set _ZN2at6native12_GLOBAL__N_125multi_tensor_apply_kernelINS1_18TensorListMetadataILi4EEENS1_32PointwiseOpScalar0dTensorFunctorIiLi4ELi2ELi3EEEJSt10multipliesIiEiEEEvT_T0_DpT1_.num_agpr, 0
	.set _ZN2at6native12_GLOBAL__N_125multi_tensor_apply_kernelINS1_18TensorListMetadataILi4EEENS1_32PointwiseOpScalar0dTensorFunctorIiLi4ELi2ELi3EEEJSt10multipliesIiEiEEEvT_T0_DpT1_.numbered_sgpr, 29
	.set _ZN2at6native12_GLOBAL__N_125multi_tensor_apply_kernelINS1_18TensorListMetadataILi4EEENS1_32PointwiseOpScalar0dTensorFunctorIiLi4ELi2ELi3EEEJSt10multipliesIiEiEEEvT_T0_DpT1_.num_named_barrier, 0
	.set _ZN2at6native12_GLOBAL__N_125multi_tensor_apply_kernelINS1_18TensorListMetadataILi4EEENS1_32PointwiseOpScalar0dTensorFunctorIiLi4ELi2ELi3EEEJSt10multipliesIiEiEEEvT_T0_DpT1_.private_seg_size, 0
	.set _ZN2at6native12_GLOBAL__N_125multi_tensor_apply_kernelINS1_18TensorListMetadataILi4EEENS1_32PointwiseOpScalar0dTensorFunctorIiLi4ELi2ELi3EEEJSt10multipliesIiEiEEEvT_T0_DpT1_.uses_vcc, 1
	.set _ZN2at6native12_GLOBAL__N_125multi_tensor_apply_kernelINS1_18TensorListMetadataILi4EEENS1_32PointwiseOpScalar0dTensorFunctorIiLi4ELi2ELi3EEEJSt10multipliesIiEiEEEvT_T0_DpT1_.uses_flat_scratch, 0
	.set _ZN2at6native12_GLOBAL__N_125multi_tensor_apply_kernelINS1_18TensorListMetadataILi4EEENS1_32PointwiseOpScalar0dTensorFunctorIiLi4ELi2ELi3EEEJSt10multipliesIiEiEEEvT_T0_DpT1_.has_dyn_sized_stack, 0
	.set _ZN2at6native12_GLOBAL__N_125multi_tensor_apply_kernelINS1_18TensorListMetadataILi4EEENS1_32PointwiseOpScalar0dTensorFunctorIiLi4ELi2ELi3EEEJSt10multipliesIiEiEEEvT_T0_DpT1_.has_recursion, 0
	.set _ZN2at6native12_GLOBAL__N_125multi_tensor_apply_kernelINS1_18TensorListMetadataILi4EEENS1_32PointwiseOpScalar0dTensorFunctorIiLi4ELi2ELi3EEEJSt10multipliesIiEiEEEvT_T0_DpT1_.has_indirect_call, 0
	.section	.AMDGPU.csdata,"",@progbits
; Kernel info:
; codeLenInByte = 1316
; TotalNumSgprs: 33
; NumVgprs: 22
; ScratchSize: 0
; MemoryBound: 0
; FloatMode: 240
; IeeeMode: 1
; LDSByteSize: 0 bytes/workgroup (compile time only)
; SGPRBlocks: 4
; VGPRBlocks: 5
; NumSGPRsForWavesPerEU: 33
; NumVGPRsForWavesPerEU: 22
; Occupancy: 10
; WaveLimiterHint : 0
; COMPUTE_PGM_RSRC2:SCRATCH_EN: 0
; COMPUTE_PGM_RSRC2:USER_SGPR: 6
; COMPUTE_PGM_RSRC2:TRAP_HANDLER: 0
; COMPUTE_PGM_RSRC2:TGID_X_EN: 1
; COMPUTE_PGM_RSRC2:TGID_Y_EN: 0
; COMPUTE_PGM_RSRC2:TGID_Z_EN: 0
; COMPUTE_PGM_RSRC2:TIDIG_COMP_CNT: 0
	.section	.text._ZN2at6native12_GLOBAL__N_125multi_tensor_apply_kernelINS1_18TensorListMetadataILi4EEENS1_32PointwiseOpScalar0dTensorFunctorIlLi4ELi2ELi3EEEJSt10multipliesIlElEEEvT_T0_DpT1_,"axG",@progbits,_ZN2at6native12_GLOBAL__N_125multi_tensor_apply_kernelINS1_18TensorListMetadataILi4EEENS1_32PointwiseOpScalar0dTensorFunctorIlLi4ELi2ELi3EEEJSt10multipliesIlElEEEvT_T0_DpT1_,comdat
	.globl	_ZN2at6native12_GLOBAL__N_125multi_tensor_apply_kernelINS1_18TensorListMetadataILi4EEENS1_32PointwiseOpScalar0dTensorFunctorIlLi4ELi2ELi3EEEJSt10multipliesIlElEEEvT_T0_DpT1_ ; -- Begin function _ZN2at6native12_GLOBAL__N_125multi_tensor_apply_kernelINS1_18TensorListMetadataILi4EEENS1_32PointwiseOpScalar0dTensorFunctorIlLi4ELi2ELi3EEEJSt10multipliesIlElEEEvT_T0_DpT1_
	.p2align	8
	.type	_ZN2at6native12_GLOBAL__N_125multi_tensor_apply_kernelINS1_18TensorListMetadataILi4EEENS1_32PointwiseOpScalar0dTensorFunctorIlLi4ELi2ELi3EEEJSt10multipliesIlElEEEvT_T0_DpT1_,@function
_ZN2at6native12_GLOBAL__N_125multi_tensor_apply_kernelINS1_18TensorListMetadataILi4EEENS1_32PointwiseOpScalar0dTensorFunctorIlLi4ELi2ELi3EEEJSt10multipliesIlElEEEvT_T0_DpT1_: ; @_ZN2at6native12_GLOBAL__N_125multi_tensor_apply_kernelINS1_18TensorListMetadataILi4EEENS1_32PointwiseOpScalar0dTensorFunctorIlLi4ELi2ELi3EEEJSt10multipliesIlElEEEvT_T0_DpT1_
; %bb.0:
	v_mov_b32_e32 v1, s6
	global_load_ubyte v1, v1, s[4:5] offset:1440
	s_add_u32 s0, s4, s6
	s_mul_hi_u32 s1, s6, 3
	s_mul_i32 s6, s6, 3
	s_addc_u32 s2, s5, 0
	s_add_u32 s0, s0, s6
	s_addc_u32 s1, s2, s1
	s_load_dword s0, s[0:1], 0x6e0
	s_mov_b32 s17, 0
	s_mov_b32 s7, s17
	;; [unrolled: 1-line block ×3, first 2 shown]
	s_waitcnt lgkmcnt(0)
	s_ashr_i32 s1, s0, 31
	s_lshl_b64 s[8:9], s[0:1], 19
	s_waitcnt vmcnt(0)
	v_readfirstlane_b32 s2, v1
	s_lshl_b32 s6, s2, 3
	s_load_dwordx2 s[2:3], s[4:5], s6 offset:0x0
	s_load_dwordx2 s[14:15], s[4:5], s6 offset:0x120
	s_load_dwordx2 s[10:11], s[4:5], 0xbf0
	s_load_dwordx2 s[20:21], s[4:5], s6 offset:0x480
	s_load_dwordx2 s[22:23], s[4:5], s6 offset:0x240
	;; [unrolled: 1-line block ×3, first 2 shown]
	s_waitcnt lgkmcnt(0)
	s_add_u32 s2, s2, s8
	s_addc_u32 s3, s3, s9
	s_add_u32 s6, s14, s8
	s_and_b32 s16, s2, 31
	s_and_b32 s6, s6, 31
	s_cmp_lg_u64 s[6:7], 0
	s_load_dwordx2 s[12:13], s[14:15], 0x0
	s_cselect_b64 s[14:15], -1, 0
	s_add_u32 s6, s22, s8
	s_addc_u32 s7, s23, s9
	s_add_u32 s8, s24, s8
	s_addc_u32 s9, s25, s9
	s_or_b32 s18, s8, s6
	s_and_b32 s18, s18, 31
	s_cmp_lg_u32 s18, 0
	s_cselect_b64 s[22:23], -1, 0
	s_lshl_b64 s[0:1], s[0:1], 16
	s_or_b64 s[22:23], s[22:23], s[14:15]
	s_sub_u32 s14, s20, s0
	s_subb_u32 s15, s21, s1
	s_and_b32 s18, s20, 3
	s_or_b64 s[0:1], s[16:17], s[18:19]
	s_cmp_lg_u64 s[0:1], 0
	s_cselect_b64 s[0:1], -1, 0
	s_or_b64 s[0:1], s[22:23], s[0:1]
	s_andn2_b64 vcc, exec, s[0:1]
	s_mov_b64 s[0:1], -1
	s_cbranch_vccz .LBB14_5
; %bb.1:
	v_mov_b32_e32 v1, 0x10000
	v_mov_b32_e32 v2, 0
	v_cmp_lt_i64_e32 vcc, s[14:15], v[1:2]
	v_mov_b32_e32 v2, 0
	s_and_b64 s[0:1], vcc, exec
	s_cselect_b32 s17, s15, 0
	s_cselect_b32 s16, s14, 0x10000
	v_lshlrev_b32_e32 v1, 2, v0
	v_cmp_gt_i64_e32 vcc, s[16:17], v[1:2]
	s_and_saveexec_b64 s[18:19], vcc
	s_cbranch_execz .LBB14_4
; %bb.2:
	s_load_dword s20, s[4:5], 0xc04
	v_mov_b32_e32 v1, v2
	s_waitcnt lgkmcnt(0)
	s_mul_i32 s0, s12, s11
	s_mul_hi_u32 s1, s12, s10
	s_add_i32 s0, s1, s0
	s_mul_i32 s1, s13, s10
	s_and_b32 s30, s20, 0xffff
	v_mov_b32_e32 v2, v1
	s_add_i32 s28, s0, s1
	s_mul_i32 s29, s12, s10
	v_lshlrev_b32_e32 v3, 5, v0
	s_lshl_b32 s31, s30, 5
	s_mov_b64 s[20:21], 0
	s_mov_b64 s[22:23], s[6:7]
	;; [unrolled: 1-line block ×4, first 2 shown]
	v_mov_b32_e32 v1, v0
.LBB14_3:                               ; =>This Inner Loop Header: Depth=1
	v_mov_b32_e32 v5, s23
	v_add_co_u32_e32 v20, vcc, s22, v3
	v_mov_b32_e32 v4, s25
	v_add_co_u32_e64 v22, s[0:1], s24, v3
	v_addc_co_u32_e32 v21, vcc, 0, v5, vcc
	v_addc_co_u32_e64 v23, s[0:1], 0, v4, s[0:1]
	global_load_dwordx4 v[4:7], v[20:21], off
	global_load_dwordx4 v[8:11], v[22:23], off
	global_load_dwordx4 v[12:15], v[22:23], off offset:16
	global_load_dwordx4 v[16:19], v[20:21], off offset:16
	v_add_co_u32_e32 v1, vcc, s30, v1
	v_addc_co_u32_e32 v2, vcc, 0, v2, vcc
	v_add_co_u32_e32 v20, vcc, s26, v3
	s_add_u32 s26, s26, s31
	v_mov_b32_e32 v21, s27
	s_addc_u32 s27, s27, 0
	v_lshlrev_b64 v[22:23], 2, v[1:2]
	s_add_u32 s24, s24, s31
	v_addc_co_u32_e32 v21, vcc, 0, v21, vcc
	s_addc_u32 s25, s25, 0
	v_cmp_le_i64_e32 vcc, s[16:17], v[22:23]
	s_add_u32 s22, s22, s31
	s_addc_u32 s23, s23, 0
	s_or_b64 s[20:21], vcc, s[20:21]
	s_waitcnt vmcnt(3)
	v_mul_lo_u32 v5, v5, s29
	s_waitcnt vmcnt(2)
	v_mad_u64_u32 v[8:9], s[0:1], v4, s29, v[8:9]
	v_mad_u64_u32 v[10:11], s[0:1], v6, s29, v[10:11]
	v_mul_lo_u32 v4, v4, s28
	v_mul_lo_u32 v6, v6, s28
	;; [unrolled: 1-line block ×3, first 2 shown]
	s_waitcnt vmcnt(0)
	v_mad_u64_u32 v[12:13], s[0:1], v16, s29, v[12:13]
	v_mad_u64_u32 v[14:15], s[0:1], v18, s29, v[14:15]
	v_mul_lo_u32 v16, v16, s28
	v_mul_lo_u32 v17, v17, s29
	;; [unrolled: 1-line block ×4, first 2 shown]
	v_add3_u32 v9, v5, v9, v4
	v_add3_u32 v11, v7, v11, v6
	;; [unrolled: 1-line block ×4, first 2 shown]
	global_store_dwordx4 v[20:21], v[8:11], off
	global_store_dwordx4 v[20:21], v[12:15], off offset:16
	s_andn2_b64 exec, exec, s[20:21]
	s_cbranch_execnz .LBB14_3
.LBB14_4:
	s_or_b64 exec, exec, s[18:19]
	s_mov_b64 s[0:1], 0
.LBB14_5:
	s_andn2_b64 vcc, exec, s[0:1]
	s_cbranch_vccnz .LBB14_25
; %bb.6:
	v_cmp_lt_i64_e64 s[0:1], s[14:15], 1
	s_and_b64 vcc, exec, s[0:1]
	s_cbranch_vccnz .LBB14_25
; %bb.7:
	v_mov_b32_e32 v1, 0x10000
	s_load_dword s4, s[4:5], 0xc04
	v_mov_b32_e32 v2, 0
	v_cmp_lt_i64_e32 vcc, s[14:15], v[1:2]
	s_waitcnt lgkmcnt(0)
	s_mul_hi_u32 s5, s12, s10
	s_and_b64 s[0:1], vcc, exec
	s_cselect_b32 s1, s15, 0
	s_cselect_b32 s0, s14, 0x10000
	s_and_b32 s16, s4, 0xffff
	s_mul_i32 s4, s12, s11
	s_add_i32 s4, s5, s4
	s_mul_i32 s5, s13, s10
	v_cmp_lt_u64_e32 vcc, s[14:15], v[1:2]
	s_add_i32 s17, s4, s5
	s_and_b64 s[4:5], vcc, exec
	s_mul_i32 s18, s12, s10
	s_cselect_b32 s5, s15, 0
	s_cselect_b32 s4, s14, 0x10000
	s_lshl_b32 s14, s16, 1
	s_mul_i32 s15, s16, 3
	s_lshl_b32 s19, s16, 2
	s_mov_b64 s[10:11], 0
	s_branch .LBB14_9
.LBB14_8:                               ;   in Loop: Header=BB14_9 Depth=1
	s_or_b64 exec, exec, s[12:13]
	s_add_u32 s10, s10, s19
	v_mov_b32_e32 v2, s1
	s_addc_u32 s11, s11, 0
	v_mov_b32_e32 v1, s0
	v_cmp_ge_i64_e32 vcc, s[10:11], v[1:2]
	s_cbranch_vccnz .LBB14_25
.LBB14_9:                               ; =>This Inner Loop Header: Depth=1
	v_mov_b32_e32 v2, s11
	v_add_co_u32_e32 v1, vcc, s10, v0
	v_addc_co_u32_e32 v2, vcc, 0, v2, vcc
	v_cmp_gt_i64_e32 vcc, s[0:1], v[1:2]
	s_waitcnt vmcnt(0)
	v_mov_b32_e32 v3, 0
	v_mov_b32_e32 v7, 0
	;; [unrolled: 1-line block ×6, first 2 shown]
	s_and_saveexec_b64 s[12:13], vcc
	s_cbranch_execz .LBB14_11
; %bb.10:                               ;   in Loop: Header=BB14_9 Depth=1
	v_lshlrev_b64 v[5:6], 3, v[1:2]
	v_mov_b32_e32 v7, s3
	v_add_co_u32_e32 v9, vcc, s2, v5
	v_addc_co_u32_e32 v10, vcc, v7, v6, vcc
	v_mov_b32_e32 v7, s7
	v_add_co_u32_e32 v5, vcc, s6, v5
	v_addc_co_u32_e32 v6, vcc, v7, v6, vcc
	global_load_dwordx2 v[11:12], v[9:10], off
	global_load_dwordx2 v[7:8], v[5:6], off
.LBB14_11:                              ;   in Loop: Header=BB14_9 Depth=1
	s_or_b64 exec, exec, s[12:13]
	v_add_co_u32_e32 v5, vcc, s16, v1
	v_addc_co_u32_e32 v6, vcc, 0, v2, vcc
	v_cmp_gt_i64_e32 vcc, s[0:1], v[5:6]
	v_mov_b32_e32 v15, 0
	v_mov_b32_e32 v16, 0
	s_and_saveexec_b64 s[12:13], vcc
	s_cbranch_execz .LBB14_13
; %bb.12:                               ;   in Loop: Header=BB14_9 Depth=1
	v_lshlrev_b64 v[3:4], 3, v[5:6]
	v_mov_b32_e32 v10, s3
	v_add_co_u32_e32 v9, vcc, s2, v3
	v_addc_co_u32_e32 v10, vcc, v10, v4, vcc
	v_mov_b32_e32 v14, s7
	v_add_co_u32_e32 v13, vcc, s6, v3
	v_addc_co_u32_e32 v14, vcc, v14, v4, vcc
	global_load_dwordx2 v[15:16], v[9:10], off
	global_load_dwordx2 v[3:4], v[13:14], off
.LBB14_13:                              ;   in Loop: Header=BB14_9 Depth=1
	s_or_b64 exec, exec, s[12:13]
	v_add_co_u32_e32 v9, vcc, s14, v1
	v_addc_co_u32_e32 v10, vcc, 0, v2, vcc
	v_cmp_gt_i64_e32 vcc, s[0:1], v[9:10]
	v_mov_b32_e32 v13, 0
	v_mov_b32_e32 v19, 0
	v_mov_b32_e32 v21, 0
	v_mov_b32_e32 v14, 0
	v_mov_b32_e32 v20, 0
	v_mov_b32_e32 v22, 0
	s_and_saveexec_b64 s[12:13], vcc
	s_cbranch_execz .LBB14_15
; %bb.14:                               ;   in Loop: Header=BB14_9 Depth=1
	v_lshlrev_b64 v[17:18], 3, v[9:10]
	v_mov_b32_e32 v19, s3
	v_add_co_u32_e32 v23, vcc, s2, v17
	v_addc_co_u32_e32 v24, vcc, v19, v18, vcc
	v_mov_b32_e32 v19, s7
	v_add_co_u32_e32 v17, vcc, s6, v17
	v_addc_co_u32_e32 v18, vcc, v19, v18, vcc
	global_load_dwordx2 v[21:22], v[23:24], off
	global_load_dwordx2 v[19:20], v[17:18], off
.LBB14_15:                              ;   in Loop: Header=BB14_9 Depth=1
	s_or_b64 exec, exec, s[12:13]
	v_add_co_u32_e32 v17, vcc, s15, v1
	v_addc_co_u32_e32 v18, vcc, 0, v2, vcc
	v_cmp_gt_i64_e32 vcc, s[0:1], v[17:18]
	v_mov_b32_e32 v23, 0
	v_mov_b32_e32 v24, 0
	s_and_saveexec_b64 s[12:13], vcc
	s_cbranch_execnz .LBB14_20
; %bb.16:                               ;   in Loop: Header=BB14_9 Depth=1
	s_or_b64 exec, exec, s[12:13]
	v_cmp_gt_u64_e32 vcc, s[4:5], v[1:2]
	s_and_saveexec_b64 s[12:13], vcc
	s_cbranch_execnz .LBB14_21
.LBB14_17:                              ;   in Loop: Header=BB14_9 Depth=1
	s_or_b64 exec, exec, s[12:13]
	v_cmp_gt_u64_e32 vcc, s[4:5], v[5:6]
	s_and_saveexec_b64 s[12:13], vcc
	s_cbranch_execnz .LBB14_22
.LBB14_18:                              ;   in Loop: Header=BB14_9 Depth=1
	s_or_b64 exec, exec, s[12:13]
	v_cmp_gt_u64_e32 vcc, s[4:5], v[9:10]
	s_and_saveexec_b64 s[12:13], vcc
	s_cbranch_execnz .LBB14_23
.LBB14_19:                              ;   in Loop: Header=BB14_9 Depth=1
	s_or_b64 exec, exec, s[12:13]
	v_cmp_gt_u64_e32 vcc, s[4:5], v[17:18]
	s_and_saveexec_b64 s[12:13], vcc
	s_cbranch_execz .LBB14_8
	s_branch .LBB14_24
.LBB14_20:                              ;   in Loop: Header=BB14_9 Depth=1
	v_lshlrev_b64 v[13:14], 3, v[17:18]
	v_mov_b32_e32 v24, s3
	v_add_co_u32_e32 v23, vcc, s2, v13
	v_addc_co_u32_e32 v24, vcc, v24, v14, vcc
	v_mov_b32_e32 v25, s7
	v_add_co_u32_e32 v13, vcc, s6, v13
	v_addc_co_u32_e32 v14, vcc, v25, v14, vcc
	global_load_dwordx2 v[23:24], v[23:24], off
	s_nop 0
	global_load_dwordx2 v[13:14], v[13:14], off
	s_or_b64 exec, exec, s[12:13]
	v_cmp_gt_u64_e32 vcc, s[4:5], v[1:2]
	s_and_saveexec_b64 s[12:13], vcc
	s_cbranch_execz .LBB14_17
.LBB14_21:                              ;   in Loop: Header=BB14_9 Depth=1
	s_waitcnt vmcnt(0)
	v_mad_u64_u32 v[11:12], s[20:21], v7, s18, v[11:12]
	v_mul_lo_u32 v7, v7, s17
	v_mul_lo_u32 v8, v8, s18
	v_lshlrev_b64 v[1:2], 3, v[1:2]
	v_add_co_u32_e32 v1, vcc, s8, v1
	v_add3_u32 v12, v8, v12, v7
	v_mov_b32_e32 v7, s9
	v_addc_co_u32_e32 v2, vcc, v7, v2, vcc
	global_store_dwordx2 v[1:2], v[11:12], off
	s_or_b64 exec, exec, s[12:13]
	v_cmp_gt_u64_e32 vcc, s[4:5], v[5:6]
	s_and_saveexec_b64 s[12:13], vcc
	s_cbranch_execz .LBB14_18
.LBB14_22:                              ;   in Loop: Header=BB14_9 Depth=1
	s_waitcnt vmcnt(0)
	v_mad_u64_u32 v[1:2], s[20:21], v3, s18, v[15:16]
	v_mul_lo_u32 v3, v3, s17
	v_mul_lo_u32 v4, v4, s18
	v_add3_u32 v2, v4, v2, v3
	v_lshlrev_b64 v[3:4], 3, v[5:6]
	v_mov_b32_e32 v5, s9
	v_add_co_u32_e32 v3, vcc, s8, v3
	v_addc_co_u32_e32 v4, vcc, v5, v4, vcc
	global_store_dwordx2 v[3:4], v[1:2], off
	s_or_b64 exec, exec, s[12:13]
	v_cmp_gt_u64_e32 vcc, s[4:5], v[9:10]
	s_and_saveexec_b64 s[12:13], vcc
	s_cbranch_execz .LBB14_19
.LBB14_23:                              ;   in Loop: Header=BB14_9 Depth=1
	s_waitcnt vmcnt(0)
	v_mad_u64_u32 v[1:2], s[20:21], v19, s18, v[21:22]
	v_mul_lo_u32 v3, v19, s17
	v_mul_lo_u32 v4, v20, s18
	v_mov_b32_e32 v5, s9
	v_add3_u32 v2, v4, v2, v3
	v_lshlrev_b64 v[3:4], 3, v[9:10]
	v_add_co_u32_e32 v3, vcc, s8, v3
	v_addc_co_u32_e32 v4, vcc, v5, v4, vcc
	global_store_dwordx2 v[3:4], v[1:2], off
	s_or_b64 exec, exec, s[12:13]
	v_cmp_gt_u64_e32 vcc, s[4:5], v[17:18]
	s_and_saveexec_b64 s[12:13], vcc
	s_cbranch_execz .LBB14_8
.LBB14_24:                              ;   in Loop: Header=BB14_9 Depth=1
	s_waitcnt vmcnt(0)
	v_mad_u64_u32 v[1:2], s[20:21], v13, s18, v[23:24]
	v_mul_lo_u32 v3, v13, s17
	v_mul_lo_u32 v4, v14, s18
	v_mov_b32_e32 v5, s9
	v_add3_u32 v2, v4, v2, v3
	v_lshlrev_b64 v[3:4], 3, v[17:18]
	v_add_co_u32_e32 v3, vcc, s8, v3
	v_addc_co_u32_e32 v4, vcc, v5, v4, vcc
	global_store_dwordx2 v[3:4], v[1:2], off
	s_branch .LBB14_8
.LBB14_25:
	s_endpgm
	.section	.rodata,"a",@progbits
	.p2align	6, 0x0
	.amdhsa_kernel _ZN2at6native12_GLOBAL__N_125multi_tensor_apply_kernelINS1_18TensorListMetadataILi4EEENS1_32PointwiseOpScalar0dTensorFunctorIlLi4ELi2ELi3EEEJSt10multipliesIlElEEEvT_T0_DpT1_
		.amdhsa_group_segment_fixed_size 0
		.amdhsa_private_segment_fixed_size 0
		.amdhsa_kernarg_size 3320
		.amdhsa_user_sgpr_count 6
		.amdhsa_user_sgpr_private_segment_buffer 1
		.amdhsa_user_sgpr_dispatch_ptr 0
		.amdhsa_user_sgpr_queue_ptr 0
		.amdhsa_user_sgpr_kernarg_segment_ptr 1
		.amdhsa_user_sgpr_dispatch_id 0
		.amdhsa_user_sgpr_flat_scratch_init 0
		.amdhsa_user_sgpr_private_segment_size 0
		.amdhsa_uses_dynamic_stack 0
		.amdhsa_system_sgpr_private_segment_wavefront_offset 0
		.amdhsa_system_sgpr_workgroup_id_x 1
		.amdhsa_system_sgpr_workgroup_id_y 0
		.amdhsa_system_sgpr_workgroup_id_z 0
		.amdhsa_system_sgpr_workgroup_info 0
		.amdhsa_system_vgpr_workitem_id 0
		.amdhsa_next_free_vgpr 26
		.amdhsa_next_free_sgpr 32
		.amdhsa_reserve_vcc 1
		.amdhsa_reserve_flat_scratch 0
		.amdhsa_float_round_mode_32 0
		.amdhsa_float_round_mode_16_64 0
		.amdhsa_float_denorm_mode_32 3
		.amdhsa_float_denorm_mode_16_64 3
		.amdhsa_dx10_clamp 1
		.amdhsa_ieee_mode 1
		.amdhsa_fp16_overflow 0
		.amdhsa_exception_fp_ieee_invalid_op 0
		.amdhsa_exception_fp_denorm_src 0
		.amdhsa_exception_fp_ieee_div_zero 0
		.amdhsa_exception_fp_ieee_overflow 0
		.amdhsa_exception_fp_ieee_underflow 0
		.amdhsa_exception_fp_ieee_inexact 0
		.amdhsa_exception_int_div_zero 0
	.end_amdhsa_kernel
	.section	.text._ZN2at6native12_GLOBAL__N_125multi_tensor_apply_kernelINS1_18TensorListMetadataILi4EEENS1_32PointwiseOpScalar0dTensorFunctorIlLi4ELi2ELi3EEEJSt10multipliesIlElEEEvT_T0_DpT1_,"axG",@progbits,_ZN2at6native12_GLOBAL__N_125multi_tensor_apply_kernelINS1_18TensorListMetadataILi4EEENS1_32PointwiseOpScalar0dTensorFunctorIlLi4ELi2ELi3EEEJSt10multipliesIlElEEEvT_T0_DpT1_,comdat
.Lfunc_end14:
	.size	_ZN2at6native12_GLOBAL__N_125multi_tensor_apply_kernelINS1_18TensorListMetadataILi4EEENS1_32PointwiseOpScalar0dTensorFunctorIlLi4ELi2ELi3EEEJSt10multipliesIlElEEEvT_T0_DpT1_, .Lfunc_end14-_ZN2at6native12_GLOBAL__N_125multi_tensor_apply_kernelINS1_18TensorListMetadataILi4EEENS1_32PointwiseOpScalar0dTensorFunctorIlLi4ELi2ELi3EEEJSt10multipliesIlElEEEvT_T0_DpT1_
                                        ; -- End function
	.set _ZN2at6native12_GLOBAL__N_125multi_tensor_apply_kernelINS1_18TensorListMetadataILi4EEENS1_32PointwiseOpScalar0dTensorFunctorIlLi4ELi2ELi3EEEJSt10multipliesIlElEEEvT_T0_DpT1_.num_vgpr, 26
	.set _ZN2at6native12_GLOBAL__N_125multi_tensor_apply_kernelINS1_18TensorListMetadataILi4EEENS1_32PointwiseOpScalar0dTensorFunctorIlLi4ELi2ELi3EEEJSt10multipliesIlElEEEvT_T0_DpT1_.num_agpr, 0
	.set _ZN2at6native12_GLOBAL__N_125multi_tensor_apply_kernelINS1_18TensorListMetadataILi4EEENS1_32PointwiseOpScalar0dTensorFunctorIlLi4ELi2ELi3EEEJSt10multipliesIlElEEEvT_T0_DpT1_.numbered_sgpr, 32
	.set _ZN2at6native12_GLOBAL__N_125multi_tensor_apply_kernelINS1_18TensorListMetadataILi4EEENS1_32PointwiseOpScalar0dTensorFunctorIlLi4ELi2ELi3EEEJSt10multipliesIlElEEEvT_T0_DpT1_.num_named_barrier, 0
	.set _ZN2at6native12_GLOBAL__N_125multi_tensor_apply_kernelINS1_18TensorListMetadataILi4EEENS1_32PointwiseOpScalar0dTensorFunctorIlLi4ELi2ELi3EEEJSt10multipliesIlElEEEvT_T0_DpT1_.private_seg_size, 0
	.set _ZN2at6native12_GLOBAL__N_125multi_tensor_apply_kernelINS1_18TensorListMetadataILi4EEENS1_32PointwiseOpScalar0dTensorFunctorIlLi4ELi2ELi3EEEJSt10multipliesIlElEEEvT_T0_DpT1_.uses_vcc, 1
	.set _ZN2at6native12_GLOBAL__N_125multi_tensor_apply_kernelINS1_18TensorListMetadataILi4EEENS1_32PointwiseOpScalar0dTensorFunctorIlLi4ELi2ELi3EEEJSt10multipliesIlElEEEvT_T0_DpT1_.uses_flat_scratch, 0
	.set _ZN2at6native12_GLOBAL__N_125multi_tensor_apply_kernelINS1_18TensorListMetadataILi4EEENS1_32PointwiseOpScalar0dTensorFunctorIlLi4ELi2ELi3EEEJSt10multipliesIlElEEEvT_T0_DpT1_.has_dyn_sized_stack, 0
	.set _ZN2at6native12_GLOBAL__N_125multi_tensor_apply_kernelINS1_18TensorListMetadataILi4EEENS1_32PointwiseOpScalar0dTensorFunctorIlLi4ELi2ELi3EEEJSt10multipliesIlElEEEvT_T0_DpT1_.has_recursion, 0
	.set _ZN2at6native12_GLOBAL__N_125multi_tensor_apply_kernelINS1_18TensorListMetadataILi4EEENS1_32PointwiseOpScalar0dTensorFunctorIlLi4ELi2ELi3EEEJSt10multipliesIlElEEEvT_T0_DpT1_.has_indirect_call, 0
	.section	.AMDGPU.csdata,"",@progbits
; Kernel info:
; codeLenInByte = 1600
; TotalNumSgprs: 36
; NumVgprs: 26
; ScratchSize: 0
; MemoryBound: 0
; FloatMode: 240
; IeeeMode: 1
; LDSByteSize: 0 bytes/workgroup (compile time only)
; SGPRBlocks: 4
; VGPRBlocks: 6
; NumSGPRsForWavesPerEU: 36
; NumVGPRsForWavesPerEU: 26
; Occupancy: 9
; WaveLimiterHint : 0
; COMPUTE_PGM_RSRC2:SCRATCH_EN: 0
; COMPUTE_PGM_RSRC2:USER_SGPR: 6
; COMPUTE_PGM_RSRC2:TRAP_HANDLER: 0
; COMPUTE_PGM_RSRC2:TGID_X_EN: 1
; COMPUTE_PGM_RSRC2:TGID_Y_EN: 0
; COMPUTE_PGM_RSRC2:TGID_Z_EN: 0
; COMPUTE_PGM_RSRC2:TIDIG_COMP_CNT: 0
	.section	.text._ZN2at6native12_GLOBAL__N_125multi_tensor_apply_kernelINS1_18TensorListMetadataILi4EEENS1_32PointwiseOpScalar0dTensorFunctorIsLi4ELi2ELi3EEEJSt10multipliesIsEsEEEvT_T0_DpT1_,"axG",@progbits,_ZN2at6native12_GLOBAL__N_125multi_tensor_apply_kernelINS1_18TensorListMetadataILi4EEENS1_32PointwiseOpScalar0dTensorFunctorIsLi4ELi2ELi3EEEJSt10multipliesIsEsEEEvT_T0_DpT1_,comdat
	.globl	_ZN2at6native12_GLOBAL__N_125multi_tensor_apply_kernelINS1_18TensorListMetadataILi4EEENS1_32PointwiseOpScalar0dTensorFunctorIsLi4ELi2ELi3EEEJSt10multipliesIsEsEEEvT_T0_DpT1_ ; -- Begin function _ZN2at6native12_GLOBAL__N_125multi_tensor_apply_kernelINS1_18TensorListMetadataILi4EEENS1_32PointwiseOpScalar0dTensorFunctorIsLi4ELi2ELi3EEEJSt10multipliesIsEsEEEvT_T0_DpT1_
	.p2align	8
	.type	_ZN2at6native12_GLOBAL__N_125multi_tensor_apply_kernelINS1_18TensorListMetadataILi4EEENS1_32PointwiseOpScalar0dTensorFunctorIsLi4ELi2ELi3EEEJSt10multipliesIsEsEEEvT_T0_DpT1_,@function
_ZN2at6native12_GLOBAL__N_125multi_tensor_apply_kernelINS1_18TensorListMetadataILi4EEENS1_32PointwiseOpScalar0dTensorFunctorIsLi4ELi2ELi3EEEJSt10multipliesIsEsEEEvT_T0_DpT1_: ; @_ZN2at6native12_GLOBAL__N_125multi_tensor_apply_kernelINS1_18TensorListMetadataILi4EEENS1_32PointwiseOpScalar0dTensorFunctorIsLi4ELi2ELi3EEEJSt10multipliesIsEsEEEvT_T0_DpT1_
; %bb.0:
	v_mov_b32_e32 v1, s6
	global_load_ubyte v1, v1, s[4:5] offset:1440
	s_load_dword s0, s[4:5], 0xbe8
	s_mul_hi_u32 s3, s6, 3
	v_mov_b32_e32 v2, 0
	s_mov_b32 s25, 0
	s_waitcnt lgkmcnt(0)
	s_lshr_b32 s22, s0, 16
	s_add_u32 s0, s4, s6
	s_addc_u32 s1, s5, 0
	s_mul_i32 s6, s6, 3
	s_add_u32 s2, s0, s6
	s_addc_u32 s3, s1, s3
	s_waitcnt vmcnt(0)
	v_readfirstlane_b32 s0, v1
	s_lshl_b32 s13, s0, 3
	s_load_dwordx2 s[10:11], s[4:5], s13 offset:0x120
	s_load_dwordx2 s[0:1], s[4:5], s13 offset:0x240
	;; [unrolled: 1-line block ×3, first 2 shown]
	s_waitcnt lgkmcnt(0)
	global_load_ushort v3, v2, s[10:11]
	s_load_dword s12, s[2:3], 0x6e0
	s_load_dwordx2 s[8:9], s[4:5], s13 offset:0x0
	s_load_dwordx2 s[26:27], s[4:5], s13 offset:0x480
	s_mov_b32 s3, s25
	s_waitcnt lgkmcnt(0)
	s_ashr_i32 s13, s12, 31
	s_lshl_b64 s[14:15], s[12:13], 17
	s_add_u32 s16, s8, s14
	s_addc_u32 s17, s9, s15
	s_add_u32 s2, s10, s14
	s_and_b32 s24, s16, 7
	s_and_b32 s2, s2, 7
	s_cmp_lg_u64 s[2:3], 0
	s_cselect_b64 s[2:3], -1, 0
	s_add_u32 s18, s0, s14
	s_addc_u32 s19, s1, s15
	s_add_u32 s20, s6, s14
	s_addc_u32 s21, s7, s15
	s_or_b32 s10, s20, s18
	s_and_b32 s10, s10, 7
	s_cmp_lg_u32 s10, 0
	s_cselect_b64 s[10:11], -1, 0
	s_or_b64 s[10:11], s[10:11], s[2:3]
	s_lshl_b64 s[2:3], s[12:13], 16
	s_sub_u32 s2, s26, s2
	s_subb_u32 s3, s27, s3
	s_and_b32 s12, s26, 3
	s_mov_b32 s13, s25
	s_or_b64 s[12:13], s[24:25], s[12:13]
	s_cmp_lg_u64 s[12:13], 0
	s_cselect_b64 s[12:13], -1, 0
	s_or_b64 s[10:11], s[10:11], s[12:13]
	s_andn2_b64 vcc, exec, s[10:11]
	s_mov_b64 s[10:11], -1
	s_cbranch_vccz .LBB15_5
; %bb.1:
	v_mov_b32_e32 v4, 0x10000
	v_mov_b32_e32 v5, 0
	v_cmp_lt_i64_e32 vcc, s[2:3], v[4:5]
	v_lshlrev_b32_e32 v1, 2, v0
	s_and_b64 s[10:11], vcc, exec
	s_cselect_b32 s11, s3, 0
	s_cselect_b32 s10, s2, 0x10000
	v_cmp_gt_i64_e32 vcc, s[10:11], v[1:2]
	s_and_saveexec_b64 s[12:13], vcc
	s_cbranch_execz .LBB15_4
; %bb.2:
	s_load_dword s23, s[4:5], 0xbfc
	s_waitcnt vmcnt(0)
	v_mul_lo_u32 v4, v3, s22
	v_mov_b32_e32 v1, v2
	v_lshlrev_b32_e32 v2, 3, v0
	v_mov_b32_e32 v6, s15
	s_waitcnt lgkmcnt(0)
	s_and_b32 s23, s23, 0xffff
	v_add_co_u32_e32 v5, vcc, s14, v2
	v_mov_b32_e32 v2, v1
	v_addc_co_u32_e32 v6, vcc, 0, v6, vcc
	s_lshl_b32 s24, s23, 3
	s_mov_b64 s[14:15], 0
	v_mov_b32_e32 v7, s9
	v_mov_b32_e32 v8, s1
	;; [unrolled: 1-line block ×4, first 2 shown]
.LBB15_3:                               ; =>This Inner Loop Header: Depth=1
	v_add_co_u32_e32 v10, vcc, s8, v5
	v_addc_co_u32_e32 v11, vcc, v7, v6, vcc
	v_add_co_u32_e32 v12, vcc, s0, v5
	v_addc_co_u32_e32 v13, vcc, v8, v6, vcc
	global_load_dwordx2 v[14:15], v[12:13], off
	global_load_dwordx2 v[16:17], v[10:11], off
	v_add_co_u32_e32 v10, vcc, s6, v5
	v_addc_co_u32_e32 v11, vcc, v9, v6, vcc
	v_add_co_u32_e32 v1, vcc, s23, v1
	v_addc_co_u32_e32 v2, vcc, 0, v2, vcc
	v_add_co_u32_e32 v5, vcc, s24, v5
	v_lshlrev_b64 v[12:13], 2, v[1:2]
	v_addc_co_u32_e32 v6, vcc, 0, v6, vcc
	v_cmp_le_i64_e32 vcc, s[10:11], v[12:13]
	s_or_b64 s[14:15], vcc, s[14:15]
	s_waitcnt vmcnt(1)
	v_mul_lo_u16_e32 v12, v4, v14
	s_waitcnt vmcnt(0)
	v_lshrrev_b32_e32 v13, 16, v16
	v_lshrrev_b32_e32 v14, 16, v14
	v_mad_legacy_u16 v18, v4, v15, v17
	v_lshrrev_b32_e32 v17, 16, v17
	v_lshrrev_b32_e32 v15, 16, v15
	v_mad_legacy_u16 v13, v4, v14, v13
	v_add_u16_e32 v12, v12, v16
	v_mad_legacy_u16 v14, v4, v15, v17
	v_lshlrev_b32_e32 v13, 16, v13
	v_lshlrev_b32_e32 v14, 16, v14
	v_or_b32_e32 v12, v13, v12
	v_or3_b32 v13, 0, v18, v14
	v_or3_b32 v12, v12, 0, 0
	global_store_dwordx2 v[10:11], v[12:13], off
	s_andn2_b64 exec, exec, s[14:15]
	s_cbranch_execnz .LBB15_3
.LBB15_4:
	s_or_b64 exec, exec, s[12:13]
	s_mov_b64 s[10:11], 0
.LBB15_5:
	s_andn2_b64 vcc, exec, s[10:11]
	s_cbranch_vccnz .LBB15_25
; %bb.6:
	v_cmp_lt_i64_e64 s[0:1], s[2:3], 1
	s_and_b64 vcc, exec, s[0:1]
	s_cbranch_vccnz .LBB15_25
; %bb.7:
	v_mov_b32_e32 v1, 0x10000
	s_load_dword s4, s[4:5], 0xbfc
	v_mov_b32_e32 v2, 0
	v_cmp_lt_i64_e32 vcc, s[2:3], v[1:2]
	s_waitcnt vmcnt(0)
	v_mul_lo_u32 v13, v3, s22
	s_and_b64 s[0:1], vcc, exec
	v_cmp_lt_u64_e32 vcc, s[2:3], v[1:2]
	s_cselect_b32 s1, s3, 0
	s_cselect_b32 s0, s2, 0x10000
	s_waitcnt lgkmcnt(0)
	s_and_b32 s9, s4, 0xffff
	s_and_b64 s[4:5], vcc, exec
	s_mov_b32 s8, 0
	s_cselect_b32 s3, s3, 0
	s_cselect_b32 s2, s2, 0x10000
	s_lshl_b32 s10, s9, 1
	s_mul_i32 s11, s9, 3
	s_lshl_b32 s12, s9, 2
	s_mov_b64 s[4:5], 0
	s_branch .LBB15_9
.LBB15_8:                               ;   in Loop: Header=BB15_9 Depth=1
	s_or_b64 exec, exec, s[6:7]
	s_add_u32 s4, s4, s12
	v_mov_b32_e32 v2, s1
	s_addc_u32 s5, s5, 0
	v_mov_b32_e32 v1, s0
	v_cmp_ge_i64_e32 vcc, s[4:5], v[1:2]
	s_cbranch_vccnz .LBB15_25
.LBB15_9:                               ; =>This Inner Loop Header: Depth=1
	v_mov_b32_e32 v1, s5
	v_add_co_u32_e32 v5, vcc, s4, v0
	v_addc_co_u32_e32 v6, vcc, 0, v1, vcc
	v_cmp_gt_i64_e32 vcc, s[0:1], v[5:6]
	v_mov_b32_e32 v1, 0
	v_mov_b32_e32 v3, 0
	;; [unrolled: 1-line block ×4, first 2 shown]
	s_and_saveexec_b64 s[6:7], vcc
	s_cbranch_execz .LBB15_11
; %bb.10:                               ;   in Loop: Header=BB15_9 Depth=1
	v_lshlrev_b64 v[1:2], 1, v[5:6]
	v_mov_b32_e32 v4, s17
	v_add_co_u32_e32 v3, vcc, s16, v1
	v_addc_co_u32_e32 v4, vcc, v4, v2, vcc
	v_mov_b32_e32 v7, s19
	v_add_co_u32_e32 v1, vcc, s18, v1
	v_addc_co_u32_e32 v2, vcc, v7, v2, vcc
	global_load_ushort v7, v[3:4], off
	global_load_ushort v8, v[1:2], off
	v_mov_b32_e32 v4, s8
	v_mov_b32_e32 v2, s8
	s_waitcnt vmcnt(1)
	v_and_b32_e32 v3, 0xffff, v7
	s_waitcnt vmcnt(0)
	v_and_b32_e32 v1, 0xffff, v8
.LBB15_11:                              ;   in Loop: Header=BB15_9 Depth=1
	s_or_b64 exec, exec, s[6:7]
	v_add_co_u32_e32 v7, vcc, s9, v5
	v_addc_co_u32_e32 v8, vcc, 0, v6, vcc
	v_cmp_gt_i64_e32 vcc, s[0:1], v[7:8]
	s_and_saveexec_b64 s[6:7], vcc
	s_cbranch_execz .LBB15_13
; %bb.12:                               ;   in Loop: Header=BB15_9 Depth=1
	v_lshlrev_b64 v[9:10], 1, v[7:8]
	v_mov_b32_e32 v12, s19
	v_add_co_u32_e32 v11, vcc, s18, v9
	v_addc_co_u32_e32 v12, vcc, v12, v10, vcc
	v_mov_b32_e32 v14, s17
	v_add_co_u32_e32 v9, vcc, s16, v9
	v_addc_co_u32_e32 v10, vcc, v14, v10, vcc
	global_load_ushort v14, v[9:10], off
	global_load_ushort v15, v[11:12], off
	s_waitcnt vmcnt(1)
	v_lshl_or_b32 v3, v14, 16, v3
	s_waitcnt vmcnt(0)
	v_lshl_or_b32 v1, v15, 16, v1
.LBB15_13:                              ;   in Loop: Header=BB15_9 Depth=1
	s_or_b64 exec, exec, s[6:7]
	v_add_co_u32_e32 v9, vcc, s10, v5
	v_addc_co_u32_e32 v10, vcc, 0, v6, vcc
	v_cmp_gt_i64_e32 vcc, s[0:1], v[9:10]
	s_and_saveexec_b64 s[6:7], vcc
	s_cbranch_execz .LBB15_15
; %bb.14:                               ;   in Loop: Header=BB15_9 Depth=1
	v_lshlrev_b64 v[11:12], 1, v[9:10]
	v_mov_b32_e32 v15, s19
	v_add_co_u32_e32 v14, vcc, s18, v11
	v_addc_co_u32_e32 v15, vcc, v15, v12, vcc
	v_mov_b32_e32 v16, s17
	v_add_co_u32_e32 v11, vcc, s16, v11
	v_addc_co_u32_e32 v12, vcc, v16, v12, vcc
	global_load_ushort v16, v[11:12], off
	global_load_ushort v17, v[14:15], off
	s_waitcnt vmcnt(1)
	v_or_b32_e32 v4, v16, v4
	s_waitcnt vmcnt(0)
	v_or_b32_e32 v2, v17, v2
.LBB15_15:                              ;   in Loop: Header=BB15_9 Depth=1
	s_or_b64 exec, exec, s[6:7]
	v_add_co_u32_e32 v11, vcc, s11, v5
	v_addc_co_u32_e32 v12, vcc, 0, v6, vcc
	v_cmp_gt_i64_e32 vcc, s[0:1], v[11:12]
	s_and_saveexec_b64 s[6:7], vcc
	s_cbranch_execnz .LBB15_20
; %bb.16:                               ;   in Loop: Header=BB15_9 Depth=1
	s_or_b64 exec, exec, s[6:7]
	v_cmp_gt_u64_e32 vcc, s[2:3], v[5:6]
	s_and_saveexec_b64 s[6:7], vcc
	s_cbranch_execnz .LBB15_21
.LBB15_17:                              ;   in Loop: Header=BB15_9 Depth=1
	s_or_b64 exec, exec, s[6:7]
	v_cmp_gt_u64_e32 vcc, s[2:3], v[7:8]
	s_and_saveexec_b64 s[6:7], vcc
	s_cbranch_execnz .LBB15_22
.LBB15_18:                              ;   in Loop: Header=BB15_9 Depth=1
	s_or_b64 exec, exec, s[6:7]
	v_cmp_gt_u64_e32 vcc, s[2:3], v[9:10]
	s_and_saveexec_b64 s[6:7], vcc
	s_cbranch_execnz .LBB15_23
.LBB15_19:                              ;   in Loop: Header=BB15_9 Depth=1
	s_or_b64 exec, exec, s[6:7]
	v_cmp_gt_u64_e32 vcc, s[2:3], v[11:12]
	s_and_saveexec_b64 s[6:7], vcc
	s_cbranch_execz .LBB15_8
	s_branch .LBB15_24
.LBB15_20:                              ;   in Loop: Header=BB15_9 Depth=1
	v_lshlrev_b64 v[14:15], 1, v[11:12]
	v_mov_b32_e32 v17, s19
	v_add_co_u32_e32 v16, vcc, s18, v14
	v_addc_co_u32_e32 v17, vcc, v17, v15, vcc
	v_mov_b32_e32 v18, s17
	v_add_co_u32_e32 v14, vcc, s16, v14
	v_addc_co_u32_e32 v15, vcc, v18, v15, vcc
	global_load_ushort v18, v[14:15], off
	global_load_ushort v19, v[16:17], off
	s_waitcnt vmcnt(1)
	v_lshlrev_b32_e32 v14, 16, v18
	s_waitcnt vmcnt(0)
	v_lshlrev_b32_e32 v15, 16, v19
	v_or_b32_e32 v4, v14, v4
	v_or_b32_e32 v2, v15, v2
	s_or_b64 exec, exec, s[6:7]
	v_cmp_gt_u64_e32 vcc, s[2:3], v[5:6]
	s_and_saveexec_b64 s[6:7], vcc
	s_cbranch_execz .LBB15_17
.LBB15_21:                              ;   in Loop: Header=BB15_9 Depth=1
	v_lshlrev_b64 v[5:6], 1, v[5:6]
	v_mov_b32_e32 v15, s21
	v_add_co_u32_e32 v5, vcc, s20, v5
	v_mad_legacy_u16 v14, v13, v1, v3
	v_addc_co_u32_e32 v6, vcc, v15, v6, vcc
	global_store_short v[5:6], v14, off
	s_or_b64 exec, exec, s[6:7]
	v_cmp_gt_u64_e32 vcc, s[2:3], v[7:8]
	s_and_saveexec_b64 s[6:7], vcc
	s_cbranch_execz .LBB15_18
.LBB15_22:                              ;   in Loop: Header=BB15_9 Depth=1
	v_lshlrev_b64 v[5:6], 1, v[7:8]
	v_lshrrev_b32_e32 v3, 16, v3
	v_lshrrev_b32_e32 v1, 16, v1
	v_mad_legacy_u16 v1, v13, v1, v3
	v_mov_b32_e32 v3, s21
	v_add_co_u32_e32 v5, vcc, s20, v5
	v_addc_co_u32_e32 v6, vcc, v3, v6, vcc
	global_store_short v[5:6], v1, off
	s_or_b64 exec, exec, s[6:7]
	v_cmp_gt_u64_e32 vcc, s[2:3], v[9:10]
	s_and_saveexec_b64 s[6:7], vcc
	s_cbranch_execz .LBB15_19
.LBB15_23:                              ;   in Loop: Header=BB15_9 Depth=1
	v_lshlrev_b64 v[5:6], 1, v[9:10]
	v_mov_b32_e32 v3, s21
	v_add_co_u32_e32 v5, vcc, s20, v5
	v_mad_legacy_u16 v1, v13, v2, v4
	v_addc_co_u32_e32 v6, vcc, v3, v6, vcc
	global_store_short v[5:6], v1, off
	s_or_b64 exec, exec, s[6:7]
	v_cmp_gt_u64_e32 vcc, s[2:3], v[11:12]
	s_and_saveexec_b64 s[6:7], vcc
	s_cbranch_execz .LBB15_8
.LBB15_24:                              ;   in Loop: Header=BB15_9 Depth=1
	v_lshrrev_b32_e32 v1, 16, v4
	v_lshrrev_b32_e32 v2, 16, v2
	v_mad_legacy_u16 v3, v13, v2, v1
	v_lshlrev_b64 v[1:2], 1, v[11:12]
	v_mov_b32_e32 v4, s21
	v_add_co_u32_e32 v1, vcc, s20, v1
	v_addc_co_u32_e32 v2, vcc, v4, v2, vcc
	global_store_short v[1:2], v3, off
	s_branch .LBB15_8
.LBB15_25:
	s_endpgm
	.section	.rodata,"a",@progbits
	.p2align	6, 0x0
	.amdhsa_kernel _ZN2at6native12_GLOBAL__N_125multi_tensor_apply_kernelINS1_18TensorListMetadataILi4EEENS1_32PointwiseOpScalar0dTensorFunctorIsLi4ELi2ELi3EEEJSt10multipliesIsEsEEEvT_T0_DpT1_
		.amdhsa_group_segment_fixed_size 0
		.amdhsa_private_segment_fixed_size 0
		.amdhsa_kernarg_size 3312
		.amdhsa_user_sgpr_count 6
		.amdhsa_user_sgpr_private_segment_buffer 1
		.amdhsa_user_sgpr_dispatch_ptr 0
		.amdhsa_user_sgpr_queue_ptr 0
		.amdhsa_user_sgpr_kernarg_segment_ptr 1
		.amdhsa_user_sgpr_dispatch_id 0
		.amdhsa_user_sgpr_flat_scratch_init 0
		.amdhsa_user_sgpr_private_segment_size 0
		.amdhsa_uses_dynamic_stack 0
		.amdhsa_system_sgpr_private_segment_wavefront_offset 0
		.amdhsa_system_sgpr_workgroup_id_x 1
		.amdhsa_system_sgpr_workgroup_id_y 0
		.amdhsa_system_sgpr_workgroup_id_z 0
		.amdhsa_system_sgpr_workgroup_info 0
		.amdhsa_system_vgpr_workitem_id 0
		.amdhsa_next_free_vgpr 20
		.amdhsa_next_free_sgpr 28
		.amdhsa_reserve_vcc 1
		.amdhsa_reserve_flat_scratch 0
		.amdhsa_float_round_mode_32 0
		.amdhsa_float_round_mode_16_64 0
		.amdhsa_float_denorm_mode_32 3
		.amdhsa_float_denorm_mode_16_64 3
		.amdhsa_dx10_clamp 1
		.amdhsa_ieee_mode 1
		.amdhsa_fp16_overflow 0
		.amdhsa_exception_fp_ieee_invalid_op 0
		.amdhsa_exception_fp_denorm_src 0
		.amdhsa_exception_fp_ieee_div_zero 0
		.amdhsa_exception_fp_ieee_overflow 0
		.amdhsa_exception_fp_ieee_underflow 0
		.amdhsa_exception_fp_ieee_inexact 0
		.amdhsa_exception_int_div_zero 0
	.end_amdhsa_kernel
	.section	.text._ZN2at6native12_GLOBAL__N_125multi_tensor_apply_kernelINS1_18TensorListMetadataILi4EEENS1_32PointwiseOpScalar0dTensorFunctorIsLi4ELi2ELi3EEEJSt10multipliesIsEsEEEvT_T0_DpT1_,"axG",@progbits,_ZN2at6native12_GLOBAL__N_125multi_tensor_apply_kernelINS1_18TensorListMetadataILi4EEENS1_32PointwiseOpScalar0dTensorFunctorIsLi4ELi2ELi3EEEJSt10multipliesIsEsEEEvT_T0_DpT1_,comdat
.Lfunc_end15:
	.size	_ZN2at6native12_GLOBAL__N_125multi_tensor_apply_kernelINS1_18TensorListMetadataILi4EEENS1_32PointwiseOpScalar0dTensorFunctorIsLi4ELi2ELi3EEEJSt10multipliesIsEsEEEvT_T0_DpT1_, .Lfunc_end15-_ZN2at6native12_GLOBAL__N_125multi_tensor_apply_kernelINS1_18TensorListMetadataILi4EEENS1_32PointwiseOpScalar0dTensorFunctorIsLi4ELi2ELi3EEEJSt10multipliesIsEsEEEvT_T0_DpT1_
                                        ; -- End function
	.set _ZN2at6native12_GLOBAL__N_125multi_tensor_apply_kernelINS1_18TensorListMetadataILi4EEENS1_32PointwiseOpScalar0dTensorFunctorIsLi4ELi2ELi3EEEJSt10multipliesIsEsEEEvT_T0_DpT1_.num_vgpr, 20
	.set _ZN2at6native12_GLOBAL__N_125multi_tensor_apply_kernelINS1_18TensorListMetadataILi4EEENS1_32PointwiseOpScalar0dTensorFunctorIsLi4ELi2ELi3EEEJSt10multipliesIsEsEEEvT_T0_DpT1_.num_agpr, 0
	.set _ZN2at6native12_GLOBAL__N_125multi_tensor_apply_kernelINS1_18TensorListMetadataILi4EEENS1_32PointwiseOpScalar0dTensorFunctorIsLi4ELi2ELi3EEEJSt10multipliesIsEsEEEvT_T0_DpT1_.numbered_sgpr, 28
	.set _ZN2at6native12_GLOBAL__N_125multi_tensor_apply_kernelINS1_18TensorListMetadataILi4EEENS1_32PointwiseOpScalar0dTensorFunctorIsLi4ELi2ELi3EEEJSt10multipliesIsEsEEEvT_T0_DpT1_.num_named_barrier, 0
	.set _ZN2at6native12_GLOBAL__N_125multi_tensor_apply_kernelINS1_18TensorListMetadataILi4EEENS1_32PointwiseOpScalar0dTensorFunctorIsLi4ELi2ELi3EEEJSt10multipliesIsEsEEEvT_T0_DpT1_.private_seg_size, 0
	.set _ZN2at6native12_GLOBAL__N_125multi_tensor_apply_kernelINS1_18TensorListMetadataILi4EEENS1_32PointwiseOpScalar0dTensorFunctorIsLi4ELi2ELi3EEEJSt10multipliesIsEsEEEvT_T0_DpT1_.uses_vcc, 1
	.set _ZN2at6native12_GLOBAL__N_125multi_tensor_apply_kernelINS1_18TensorListMetadataILi4EEENS1_32PointwiseOpScalar0dTensorFunctorIsLi4ELi2ELi3EEEJSt10multipliesIsEsEEEvT_T0_DpT1_.uses_flat_scratch, 0
	.set _ZN2at6native12_GLOBAL__N_125multi_tensor_apply_kernelINS1_18TensorListMetadataILi4EEENS1_32PointwiseOpScalar0dTensorFunctorIsLi4ELi2ELi3EEEJSt10multipliesIsEsEEEvT_T0_DpT1_.has_dyn_sized_stack, 0
	.set _ZN2at6native12_GLOBAL__N_125multi_tensor_apply_kernelINS1_18TensorListMetadataILi4EEENS1_32PointwiseOpScalar0dTensorFunctorIsLi4ELi2ELi3EEEJSt10multipliesIsEsEEEvT_T0_DpT1_.has_recursion, 0
	.set _ZN2at6native12_GLOBAL__N_125multi_tensor_apply_kernelINS1_18TensorListMetadataILi4EEENS1_32PointwiseOpScalar0dTensorFunctorIsLi4ELi2ELi3EEEJSt10multipliesIsEsEEEvT_T0_DpT1_.has_indirect_call, 0
	.section	.AMDGPU.csdata,"",@progbits
; Kernel info:
; codeLenInByte = 1428
; TotalNumSgprs: 32
; NumVgprs: 20
; ScratchSize: 0
; MemoryBound: 0
; FloatMode: 240
; IeeeMode: 1
; LDSByteSize: 0 bytes/workgroup (compile time only)
; SGPRBlocks: 3
; VGPRBlocks: 4
; NumSGPRsForWavesPerEU: 32
; NumVGPRsForWavesPerEU: 20
; Occupancy: 10
; WaveLimiterHint : 0
; COMPUTE_PGM_RSRC2:SCRATCH_EN: 0
; COMPUTE_PGM_RSRC2:USER_SGPR: 6
; COMPUTE_PGM_RSRC2:TRAP_HANDLER: 0
; COMPUTE_PGM_RSRC2:TGID_X_EN: 1
; COMPUTE_PGM_RSRC2:TGID_Y_EN: 0
; COMPUTE_PGM_RSRC2:TGID_Z_EN: 0
; COMPUTE_PGM_RSRC2:TIDIG_COMP_CNT: 0
	.section	.text._ZN2at6native12_GLOBAL__N_125multi_tensor_apply_kernelINS1_18TensorListMetadataILi4EEENS1_32PointwiseOpScalar0dTensorFunctorIdLi4ELi2ELi3EEEJSt10multipliesIdEdEEEvT_T0_DpT1_,"axG",@progbits,_ZN2at6native12_GLOBAL__N_125multi_tensor_apply_kernelINS1_18TensorListMetadataILi4EEENS1_32PointwiseOpScalar0dTensorFunctorIdLi4ELi2ELi3EEEJSt10multipliesIdEdEEEvT_T0_DpT1_,comdat
	.globl	_ZN2at6native12_GLOBAL__N_125multi_tensor_apply_kernelINS1_18TensorListMetadataILi4EEENS1_32PointwiseOpScalar0dTensorFunctorIdLi4ELi2ELi3EEEJSt10multipliesIdEdEEEvT_T0_DpT1_ ; -- Begin function _ZN2at6native12_GLOBAL__N_125multi_tensor_apply_kernelINS1_18TensorListMetadataILi4EEENS1_32PointwiseOpScalar0dTensorFunctorIdLi4ELi2ELi3EEEJSt10multipliesIdEdEEEvT_T0_DpT1_
	.p2align	8
	.type	_ZN2at6native12_GLOBAL__N_125multi_tensor_apply_kernelINS1_18TensorListMetadataILi4EEENS1_32PointwiseOpScalar0dTensorFunctorIdLi4ELi2ELi3EEEJSt10multipliesIdEdEEEvT_T0_DpT1_,@function
_ZN2at6native12_GLOBAL__N_125multi_tensor_apply_kernelINS1_18TensorListMetadataILi4EEENS1_32PointwiseOpScalar0dTensorFunctorIdLi4ELi2ELi3EEEJSt10multipliesIdEdEEEvT_T0_DpT1_: ; @_ZN2at6native12_GLOBAL__N_125multi_tensor_apply_kernelINS1_18TensorListMetadataILi4EEENS1_32PointwiseOpScalar0dTensorFunctorIdLi4ELi2ELi3EEEJSt10multipliesIdEdEEEvT_T0_DpT1_
; %bb.0:
	v_mov_b32_e32 v1, s6
	global_load_ubyte v1, v1, s[4:5] offset:1440
	s_add_u32 s0, s4, s6
	s_mul_hi_u32 s1, s6, 3
	s_mul_i32 s6, s6, 3
	s_addc_u32 s2, s5, 0
	s_add_u32 s0, s0, s6
	s_addc_u32 s1, s2, s1
	s_load_dword s0, s[0:1], 0x6e0
	s_mov_b32 s15, 0
	s_mov_b32 s11, s15
	s_mov_b32 s19, s15
	s_waitcnt lgkmcnt(0)
	s_ashr_i32 s1, s0, 31
	s_lshl_b64 s[12:13], s[0:1], 19
	s_waitcnt vmcnt(0)
	v_readfirstlane_b32 s2, v1
	s_lshl_b32 s8, s2, 3
	s_load_dwordx2 s[6:7], s[4:5], s8 offset:0x0
	s_load_dwordx2 s[16:17], s[4:5], s8 offset:0x120
	s_load_dwordx2 s[2:3], s[4:5], 0xbf0
	s_load_dwordx2 s[20:21], s[4:5], s8 offset:0x480
	s_load_dwordx2 s[22:23], s[4:5], s8 offset:0x240
	;; [unrolled: 1-line block ×3, first 2 shown]
	s_waitcnt lgkmcnt(0)
	s_add_u32 s6, s6, s12
	s_addc_u32 s7, s7, s13
	s_add_u32 s10, s16, s12
	s_and_b32 s14, s6, 31
	s_and_b32 s10, s10, 31
	s_cmp_lg_u64 s[10:11], 0
	s_load_dwordx2 s[8:9], s[16:17], 0x0
	s_cselect_b64 s[16:17], -1, 0
	s_add_u32 s10, s22, s12
	s_addc_u32 s11, s23, s13
	s_add_u32 s12, s24, s12
	s_addc_u32 s13, s25, s13
	s_or_b32 s18, s12, s10
	s_and_b32 s18, s18, 31
	s_cmp_lg_u32 s18, 0
	s_cselect_b64 s[22:23], -1, 0
	s_lshl_b64 s[0:1], s[0:1], 16
	s_or_b64 s[22:23], s[22:23], s[16:17]
	s_sub_u32 s16, s20, s0
	s_subb_u32 s17, s21, s1
	s_and_b32 s18, s20, 3
	s_or_b64 s[0:1], s[14:15], s[18:19]
	s_cmp_lg_u64 s[0:1], 0
	s_cselect_b64 s[0:1], -1, 0
	s_or_b64 s[0:1], s[22:23], s[0:1]
	s_andn2_b64 vcc, exec, s[0:1]
	s_mov_b64 s[0:1], -1
	s_cbranch_vccz .LBB16_21
; %bb.1:
	v_mov_b32_e32 v1, 0x10000
	v_mov_b32_e32 v2, 0
	v_cmp_lt_i64_e32 vcc, s[16:17], v[1:2]
	v_mov_b32_e32 v2, 0
	s_and_b64 s[0:1], vcc, exec
	s_cselect_b32 s15, s17, 0
	s_cselect_b32 s14, s16, 0x10000
	v_lshlrev_b32_e32 v1, 2, v0
	v_cmp_gt_i64_e32 vcc, s[14:15], v[1:2]
	s_and_saveexec_b64 s[18:19], vcc
	s_cbranch_execz .LBB16_20
; %bb.2:
	v_cmp_neq_f64_e64 s[20:21], s[2:3], 1.0
	s_load_dword s0, s[4:5], 0xc04
	v_mov_b32_e32 v1, v2
	v_mov_b32_e32 v20, v1
	v_lshlrev_b32_e32 v21, 5, v0
	s_mov_b64 s[22:23], 0
	s_waitcnt lgkmcnt(0)
	s_and_b32 s33, s0, 0xffff
	s_lshl_b32 s34, s33, 5
	s_mov_b64 s[24:25], s[10:11]
	s_mov_b64 s[26:27], s[6:7]
	s_mov_b64 s[28:29], s[12:13]
	v_mov_b32_e32 v19, v0
	s_branch .LBB16_4
.LBB16_3:                               ;   in Loop: Header=BB16_4 Depth=1
	v_mov_b32_e32 v2, s29
	v_add_co_u32_e32 v1, vcc, s28, v21
	v_addc_co_u32_e32 v2, vcc, 0, v2, vcc
	v_add_co_u32_e32 v19, vcc, s33, v19
	s_add_u32 s28, s28, s34
	v_addc_co_u32_e32 v20, vcc, 0, v20, vcc
	s_addc_u32 s29, s29, 0
	v_lshlrev_b64 v[3:4], 2, v[19:20]
	s_add_u32 s26, s26, s34
	s_addc_u32 s27, s27, 0
	s_add_u32 s24, s24, s34
	v_cmp_le_i64_e32 vcc, s[14:15], v[3:4]
	s_addc_u32 s25, s25, 0
	s_or_b64 s[22:23], vcc, s[22:23]
	global_store_dwordx4 v[1:2], v[9:12], off
	s_waitcnt vmcnt(1)
	global_store_dwordx4 v[1:2], v[13:16], off offset:16
	s_andn2_b64 exec, exec, s[22:23]
	s_cbranch_execz .LBB16_20
.LBB16_4:                               ; =>This Inner Loop Header: Depth=1
	v_mov_b32_e32 v1, s27
	v_add_co_u32_e32 v5, vcc, s26, v21
	v_addc_co_u32_e32 v6, vcc, 0, v1, vcc
	global_load_dwordx4 v[1:4], v[5:6], off offset:16
	global_load_dwordx4 v[11:14], v[5:6], off
	v_mov_b32_e32 v5, s25
	v_add_co_u32_e32 v9, vcc, s24, v21
	v_addc_co_u32_e32 v10, vcc, 0, v5, vcc
	global_load_dwordx4 v[5:8], v[9:10], off offset:16
	global_load_dwordx4 v[15:18], v[9:10], off
	s_and_b64 vcc, exec, s[20:21]
	s_cbranch_vccz .LBB16_15
; %bb.5:                                ;   in Loop: Header=BB16_4 Depth=1
	s_waitcnt vmcnt(0)
	v_mul_f64 v[9:10], s[8:9], v[15:16]
	v_fma_f64 v[9:10], s[2:3], v[9:10], v[11:12]
	s_cbranch_execnz .LBB16_7
.LBB16_6:                               ;   in Loop: Header=BB16_4 Depth=1
	s_waitcnt vmcnt(0)
	v_fma_f64 v[9:10], s[8:9], v[15:16], v[11:12]
.LBB16_7:                               ;   in Loop: Header=BB16_4 Depth=1
	s_waitcnt vmcnt(2)
	v_cndmask_b32_e64 v11, 0, 1, s[20:21]
	v_cmp_ne_u32_e64 s[0:1], 1, v11
	s_andn2_b64 vcc, exec, s[20:21]
	s_cbranch_vccnz .LBB16_16
; %bb.8:                                ;   in Loop: Header=BB16_4 Depth=1
	s_waitcnt vmcnt(0)
	v_mul_f64 v[11:12], s[8:9], v[17:18]
	v_fma_f64 v[11:12], s[2:3], v[11:12], v[13:14]
	s_cbranch_execnz .LBB16_10
.LBB16_9:                               ;   in Loop: Header=BB16_4 Depth=1
	s_waitcnt vmcnt(0)
	v_fma_f64 v[11:12], s[8:9], v[17:18], v[13:14]
.LBB16_10:                              ;   in Loop: Header=BB16_4 Depth=1
	s_and_b64 vcc, exec, s[0:1]
	s_cbranch_vccnz .LBB16_17
; %bb.11:                               ;   in Loop: Header=BB16_4 Depth=1
	s_waitcnt vmcnt(1)
	v_mul_f64 v[13:14], s[8:9], v[5:6]
	v_fma_f64 v[13:14], s[2:3], v[13:14], v[1:2]
	s_cbranch_execnz .LBB16_13
.LBB16_12:                              ;   in Loop: Header=BB16_4 Depth=1
	s_waitcnt vmcnt(1)
	v_fma_f64 v[13:14], s[8:9], v[5:6], v[1:2]
.LBB16_13:                              ;   in Loop: Header=BB16_4 Depth=1
	s_and_b64 vcc, exec, s[0:1]
	s_cbranch_vccnz .LBB16_18
; %bb.14:                               ;   in Loop: Header=BB16_4 Depth=1
	s_waitcnt vmcnt(1)
	v_mul_f64 v[1:2], s[8:9], v[7:8]
	s_waitcnt vmcnt(0)
	v_fma_f64 v[15:16], s[2:3], v[1:2], v[3:4]
	s_cbranch_execnz .LBB16_3
	s_branch .LBB16_19
.LBB16_15:                              ;   in Loop: Header=BB16_4 Depth=1
                                        ; implicit-def: $vgpr9_vgpr10
	s_branch .LBB16_6
.LBB16_16:                              ;   in Loop: Header=BB16_4 Depth=1
	s_branch .LBB16_9
.LBB16_17:                              ;   in Loop: Header=BB16_4 Depth=1
                                        ; implicit-def: $vgpr13_vgpr14
	s_branch .LBB16_12
.LBB16_18:                              ;   in Loop: Header=BB16_4 Depth=1
.LBB16_19:                              ;   in Loop: Header=BB16_4 Depth=1
	s_waitcnt vmcnt(0)
	v_fma_f64 v[15:16], s[8:9], v[7:8], v[3:4]
	s_branch .LBB16_3
.LBB16_20:
	s_or_b64 exec, exec, s[18:19]
	s_mov_b64 s[0:1], 0
.LBB16_21:
	s_andn2_b64 vcc, exec, s[0:1]
	s_cbranch_vccnz .LBB16_57
; %bb.22:
	v_cmp_lt_i64_e64 s[0:1], s[16:17], 1
	s_and_b64 vcc, exec, s[0:1]
	s_cbranch_vccnz .LBB16_57
; %bb.23:
	v_mov_b32_e32 v1, 0x10000
	s_load_dword s14, s[4:5], 0xc04
	v_mov_b32_e32 v2, 0
	v_cmp_lt_i64_e32 vcc, s[16:17], v[1:2]
	s_mov_b64 s[18:19], 0
	s_and_b64 s[0:1], vcc, exec
	s_cselect_b32 s5, s17, 0
	s_cselect_b32 s4, s16, 0x10000
	s_waitcnt lgkmcnt(0)
	s_and_b32 s22, s14, 0xffff
	v_cmp_neq_f64_e64 s[14:15], s[2:3], 1.0
	v_cmp_lt_u64_e32 vcc, s[16:17], v[1:2]
	s_mul_i32 s24, s22, 3
	s_and_b64 s[0:1], vcc, exec
	s_cselect_b32 s17, s17, 0
	s_cselect_b32 s16, s16, 0x10000
	s_lshl_b32 s23, s22, 1
	s_lshl_b32 s25, s22, 2
	s_branch .LBB16_25
.LBB16_24:                              ;   in Loop: Header=BB16_25 Depth=1
	s_or_b64 exec, exec, s[0:1]
	s_add_u32 s18, s18, s25
	v_mov_b32_e32 v1, s4
	s_addc_u32 s19, s19, 0
	v_mov_b32_e32 v2, s5
	v_cmp_ge_i64_e32 vcc, s[18:19], v[1:2]
	s_cbranch_vccnz .LBB16_57
.LBB16_25:                              ; =>This Inner Loop Header: Depth=1
	v_mov_b32_e32 v2, s19
	v_add_co_u32_e32 v1, vcc, s18, v0
	v_addc_co_u32_e32 v2, vcc, 0, v2, vcc
	v_cmp_gt_i64_e32 vcc, s[4:5], v[1:2]
	v_mov_b32_e32 v9, 0
	v_mov_b32_e32 v13, 0
	;; [unrolled: 1-line block ×6, first 2 shown]
	s_and_saveexec_b64 s[0:1], vcc
	s_cbranch_execz .LBB16_27
; %bb.26:                               ;   in Loop: Header=BB16_25 Depth=1
	v_lshlrev_b64 v[3:4], 3, v[1:2]
	v_mov_b32_e32 v6, s7
	v_add_co_u32_e32 v5, vcc, s6, v3
	v_addc_co_u32_e32 v6, vcc, v6, v4, vcc
	v_mov_b32_e32 v7, s11
	v_add_co_u32_e32 v3, vcc, s10, v3
	v_addc_co_u32_e32 v4, vcc, v7, v4, vcc
	global_load_dwordx2 v[15:16], v[5:6], off
	global_load_dwordx2 v[13:14], v[3:4], off
.LBB16_27:                              ;   in Loop: Header=BB16_25 Depth=1
	s_or_b64 exec, exec, s[0:1]
	v_add_co_u32_e32 v3, vcc, s22, v1
	v_addc_co_u32_e32 v4, vcc, 0, v2, vcc
	v_cmp_gt_i64_e32 vcc, s[4:5], v[3:4]
	v_mov_b32_e32 v17, 0
	v_mov_b32_e32 v18, 0
	s_and_saveexec_b64 s[0:1], vcc
	s_cbranch_execz .LBB16_29
; %bb.28:                               ;   in Loop: Header=BB16_25 Depth=1
	v_lshlrev_b64 v[5:6], 3, v[3:4]
	v_mov_b32_e32 v8, s7
	v_add_co_u32_e32 v7, vcc, s6, v5
	v_addc_co_u32_e32 v8, vcc, v8, v6, vcc
	v_mov_b32_e32 v9, s11
	v_add_co_u32_e32 v5, vcc, s10, v5
	v_addc_co_u32_e32 v6, vcc, v9, v6, vcc
	global_load_dwordx2 v[17:18], v[7:8], off
	global_load_dwordx2 v[9:10], v[5:6], off
.LBB16_29:                              ;   in Loop: Header=BB16_25 Depth=1
	s_or_b64 exec, exec, s[0:1]
	v_add_co_u32_e32 v5, vcc, s23, v1
	v_addc_co_u32_e32 v6, vcc, 0, v2, vcc
	v_cmp_gt_i64_e32 vcc, s[4:5], v[5:6]
	v_mov_b32_e32 v11, 0
	v_mov_b32_e32 v19, 0
	;; [unrolled: 1-line block ×6, first 2 shown]
	s_and_saveexec_b64 s[0:1], vcc
	s_cbranch_execz .LBB16_31
; %bb.30:                               ;   in Loop: Header=BB16_25 Depth=1
	v_lshlrev_b64 v[7:8], 3, v[5:6]
	v_mov_b32_e32 v19, s7
	v_add_co_u32_e32 v23, vcc, s6, v7
	v_addc_co_u32_e32 v24, vcc, v19, v8, vcc
	v_mov_b32_e32 v19, s11
	v_add_co_u32_e32 v7, vcc, s10, v7
	v_addc_co_u32_e32 v8, vcc, v19, v8, vcc
	global_load_dwordx2 v[21:22], v[23:24], off
	global_load_dwordx2 v[19:20], v[7:8], off
.LBB16_31:                              ;   in Loop: Header=BB16_25 Depth=1
	s_or_b64 exec, exec, s[0:1]
	v_add_co_u32_e32 v7, vcc, s24, v1
	v_addc_co_u32_e32 v8, vcc, 0, v2, vcc
	v_cmp_gt_i64_e32 vcc, s[4:5], v[7:8]
	v_mov_b32_e32 v23, 0
	v_mov_b32_e32 v24, 0
	s_and_saveexec_b64 s[0:1], vcc
	s_cbranch_execz .LBB16_33
; %bb.32:                               ;   in Loop: Header=BB16_25 Depth=1
	v_lshlrev_b64 v[11:12], 3, v[7:8]
	v_mov_b32_e32 v23, s7
	v_add_co_u32_e32 v25, vcc, s6, v11
	v_addc_co_u32_e32 v26, vcc, v23, v12, vcc
	v_mov_b32_e32 v23, s11
	v_add_co_u32_e32 v27, vcc, s10, v11
	v_addc_co_u32_e32 v28, vcc, v23, v12, vcc
	global_load_dwordx2 v[23:24], v[25:26], off
	global_load_dwordx2 v[11:12], v[27:28], off
.LBB16_33:                              ;   in Loop: Header=BB16_25 Depth=1
	s_or_b64 exec, exec, s[0:1]
	s_and_b64 vcc, exec, s[14:15]
	s_cbranch_vccz .LBB16_53
; %bb.34:                               ;   in Loop: Header=BB16_25 Depth=1
	s_waitcnt vmcnt(0)
	v_mul_f64 v[25:26], s[8:9], v[13:14]
	v_fma_f64 v[25:26], s[2:3], v[25:26], v[15:16]
	s_cbranch_execnz .LBB16_36
.LBB16_35:                              ;   in Loop: Header=BB16_25 Depth=1
	s_waitcnt vmcnt(0)
	v_fma_f64 v[25:26], s[8:9], v[13:14], v[15:16]
.LBB16_36:                              ;   in Loop: Header=BB16_25 Depth=1
	s_waitcnt vmcnt(0)
	v_cndmask_b32_e64 v13, 0, 1, s[14:15]
	v_cmp_ne_u32_e64 s[0:1], 1, v13
	s_andn2_b64 vcc, exec, s[14:15]
	s_cbranch_vccnz .LBB16_54
; %bb.37:                               ;   in Loop: Header=BB16_25 Depth=1
	v_mul_f64 v[13:14], s[8:9], v[9:10]
	v_fma_f64 v[13:14], s[2:3], v[13:14], v[17:18]
	s_cbranch_execnz .LBB16_39
.LBB16_38:                              ;   in Loop: Header=BB16_25 Depth=1
	v_fma_f64 v[13:14], s[8:9], v[9:10], v[17:18]
.LBB16_39:                              ;   in Loop: Header=BB16_25 Depth=1
	s_and_b64 vcc, exec, s[0:1]
	s_cbranch_vccnz .LBB16_55
; %bb.40:                               ;   in Loop: Header=BB16_25 Depth=1
	v_mul_f64 v[9:10], s[8:9], v[19:20]
	v_fma_f64 v[9:10], s[2:3], v[9:10], v[21:22]
	s_cbranch_execnz .LBB16_42
.LBB16_41:                              ;   in Loop: Header=BB16_25 Depth=1
	v_fma_f64 v[9:10], s[8:9], v[19:20], v[21:22]
.LBB16_42:                              ;   in Loop: Header=BB16_25 Depth=1
	s_and_b64 vcc, exec, s[0:1]
	s_cbranch_vccnz .LBB16_56
; %bb.43:                               ;   in Loop: Header=BB16_25 Depth=1
	v_mul_f64 v[15:16], s[8:9], v[11:12]
	v_fma_f64 v[15:16], s[2:3], v[15:16], v[23:24]
	s_cbranch_execnz .LBB16_45
.LBB16_44:                              ;   in Loop: Header=BB16_25 Depth=1
	v_fma_f64 v[15:16], s[8:9], v[11:12], v[23:24]
.LBB16_45:                              ;   in Loop: Header=BB16_25 Depth=1
	v_cmp_gt_u64_e32 vcc, s[16:17], v[1:2]
	s_and_saveexec_b64 s[0:1], vcc
	s_xor_b64 s[0:1], exec, s[0:1]
	s_cbranch_execz .LBB16_47
; %bb.46:                               ;   in Loop: Header=BB16_25 Depth=1
	v_lshlrev_b64 v[1:2], 3, v[1:2]
	v_mov_b32_e32 v11, s13
	v_add_co_u32_e32 v1, vcc, s12, v1
	v_addc_co_u32_e32 v2, vcc, v11, v2, vcc
	global_store_dwordx2 v[1:2], v[25:26], off
.LBB16_47:                              ;   in Loop: Header=BB16_25 Depth=1
	s_or_b64 exec, exec, s[0:1]
	v_cmp_gt_u64_e32 vcc, s[16:17], v[3:4]
	s_and_saveexec_b64 s[0:1], vcc
	s_cbranch_execnz .LBB16_50
; %bb.48:                               ;   in Loop: Header=BB16_25 Depth=1
	s_or_b64 exec, exec, s[0:1]
	v_cmp_gt_u64_e32 vcc, s[16:17], v[5:6]
	s_and_saveexec_b64 s[0:1], vcc
	s_cbranch_execnz .LBB16_51
.LBB16_49:                              ;   in Loop: Header=BB16_25 Depth=1
	s_or_b64 exec, exec, s[0:1]
	v_cmp_gt_u64_e32 vcc, s[16:17], v[7:8]
	s_and_saveexec_b64 s[0:1], vcc
	s_cbranch_execz .LBB16_24
	s_branch .LBB16_52
.LBB16_50:                              ;   in Loop: Header=BB16_25 Depth=1
	v_lshlrev_b64 v[1:2], 3, v[3:4]
	v_mov_b32_e32 v3, s13
	v_add_co_u32_e32 v1, vcc, s12, v1
	v_addc_co_u32_e32 v2, vcc, v3, v2, vcc
	global_store_dwordx2 v[1:2], v[13:14], off
	s_or_b64 exec, exec, s[0:1]
	v_cmp_gt_u64_e32 vcc, s[16:17], v[5:6]
	s_and_saveexec_b64 s[0:1], vcc
	s_cbranch_execz .LBB16_49
.LBB16_51:                              ;   in Loop: Header=BB16_25 Depth=1
	v_lshlrev_b64 v[1:2], 3, v[5:6]
	v_mov_b32_e32 v3, s13
	v_add_co_u32_e32 v1, vcc, s12, v1
	v_addc_co_u32_e32 v2, vcc, v3, v2, vcc
	global_store_dwordx2 v[1:2], v[9:10], off
	s_or_b64 exec, exec, s[0:1]
	v_cmp_gt_u64_e32 vcc, s[16:17], v[7:8]
	s_and_saveexec_b64 s[0:1], vcc
	s_cbranch_execz .LBB16_24
.LBB16_52:                              ;   in Loop: Header=BB16_25 Depth=1
	v_lshlrev_b64 v[1:2], 3, v[7:8]
	v_mov_b32_e32 v3, s13
	v_add_co_u32_e32 v1, vcc, s12, v1
	v_addc_co_u32_e32 v2, vcc, v3, v2, vcc
	global_store_dwordx2 v[1:2], v[15:16], off
	s_branch .LBB16_24
.LBB16_53:                              ;   in Loop: Header=BB16_25 Depth=1
                                        ; implicit-def: $vgpr25_vgpr26
	s_branch .LBB16_35
.LBB16_54:                              ;   in Loop: Header=BB16_25 Depth=1
                                        ; implicit-def: $vgpr13_vgpr14
	s_branch .LBB16_38
.LBB16_55:                              ;   in Loop: Header=BB16_25 Depth=1
                                        ; implicit-def: $vgpr9_vgpr10
	s_branch .LBB16_41
.LBB16_56:                              ;   in Loop: Header=BB16_25 Depth=1
                                        ; implicit-def: $vgpr15_vgpr16
	s_branch .LBB16_44
.LBB16_57:
	s_endpgm
	.section	.rodata,"a",@progbits
	.p2align	6, 0x0
	.amdhsa_kernel _ZN2at6native12_GLOBAL__N_125multi_tensor_apply_kernelINS1_18TensorListMetadataILi4EEENS1_32PointwiseOpScalar0dTensorFunctorIdLi4ELi2ELi3EEEJSt10multipliesIdEdEEEvT_T0_DpT1_
		.amdhsa_group_segment_fixed_size 0
		.amdhsa_private_segment_fixed_size 0
		.amdhsa_kernarg_size 3320
		.amdhsa_user_sgpr_count 6
		.amdhsa_user_sgpr_private_segment_buffer 1
		.amdhsa_user_sgpr_dispatch_ptr 0
		.amdhsa_user_sgpr_queue_ptr 0
		.amdhsa_user_sgpr_kernarg_segment_ptr 1
		.amdhsa_user_sgpr_dispatch_id 0
		.amdhsa_user_sgpr_flat_scratch_init 0
		.amdhsa_user_sgpr_private_segment_size 0
		.amdhsa_uses_dynamic_stack 0
		.amdhsa_system_sgpr_private_segment_wavefront_offset 0
		.amdhsa_system_sgpr_workgroup_id_x 1
		.amdhsa_system_sgpr_workgroup_id_y 0
		.amdhsa_system_sgpr_workgroup_id_z 0
		.amdhsa_system_sgpr_workgroup_info 0
		.amdhsa_system_vgpr_workitem_id 0
		.amdhsa_next_free_vgpr 29
		.amdhsa_next_free_sgpr 35
		.amdhsa_reserve_vcc 1
		.amdhsa_reserve_flat_scratch 0
		.amdhsa_float_round_mode_32 0
		.amdhsa_float_round_mode_16_64 0
		.amdhsa_float_denorm_mode_32 3
		.amdhsa_float_denorm_mode_16_64 3
		.amdhsa_dx10_clamp 1
		.amdhsa_ieee_mode 1
		.amdhsa_fp16_overflow 0
		.amdhsa_exception_fp_ieee_invalid_op 0
		.amdhsa_exception_fp_denorm_src 0
		.amdhsa_exception_fp_ieee_div_zero 0
		.amdhsa_exception_fp_ieee_overflow 0
		.amdhsa_exception_fp_ieee_underflow 0
		.amdhsa_exception_fp_ieee_inexact 0
		.amdhsa_exception_int_div_zero 0
	.end_amdhsa_kernel
	.section	.text._ZN2at6native12_GLOBAL__N_125multi_tensor_apply_kernelINS1_18TensorListMetadataILi4EEENS1_32PointwiseOpScalar0dTensorFunctorIdLi4ELi2ELi3EEEJSt10multipliesIdEdEEEvT_T0_DpT1_,"axG",@progbits,_ZN2at6native12_GLOBAL__N_125multi_tensor_apply_kernelINS1_18TensorListMetadataILi4EEENS1_32PointwiseOpScalar0dTensorFunctorIdLi4ELi2ELi3EEEJSt10multipliesIdEdEEEvT_T0_DpT1_,comdat
.Lfunc_end16:
	.size	_ZN2at6native12_GLOBAL__N_125multi_tensor_apply_kernelINS1_18TensorListMetadataILi4EEENS1_32PointwiseOpScalar0dTensorFunctorIdLi4ELi2ELi3EEEJSt10multipliesIdEdEEEvT_T0_DpT1_, .Lfunc_end16-_ZN2at6native12_GLOBAL__N_125multi_tensor_apply_kernelINS1_18TensorListMetadataILi4EEENS1_32PointwiseOpScalar0dTensorFunctorIdLi4ELi2ELi3EEEJSt10multipliesIdEdEEEvT_T0_DpT1_
                                        ; -- End function
	.set _ZN2at6native12_GLOBAL__N_125multi_tensor_apply_kernelINS1_18TensorListMetadataILi4EEENS1_32PointwiseOpScalar0dTensorFunctorIdLi4ELi2ELi3EEEJSt10multipliesIdEdEEEvT_T0_DpT1_.num_vgpr, 29
	.set _ZN2at6native12_GLOBAL__N_125multi_tensor_apply_kernelINS1_18TensorListMetadataILi4EEENS1_32PointwiseOpScalar0dTensorFunctorIdLi4ELi2ELi3EEEJSt10multipliesIdEdEEEvT_T0_DpT1_.num_agpr, 0
	.set _ZN2at6native12_GLOBAL__N_125multi_tensor_apply_kernelINS1_18TensorListMetadataILi4EEENS1_32PointwiseOpScalar0dTensorFunctorIdLi4ELi2ELi3EEEJSt10multipliesIdEdEEEvT_T0_DpT1_.numbered_sgpr, 35
	.set _ZN2at6native12_GLOBAL__N_125multi_tensor_apply_kernelINS1_18TensorListMetadataILi4EEENS1_32PointwiseOpScalar0dTensorFunctorIdLi4ELi2ELi3EEEJSt10multipliesIdEdEEEvT_T0_DpT1_.num_named_barrier, 0
	.set _ZN2at6native12_GLOBAL__N_125multi_tensor_apply_kernelINS1_18TensorListMetadataILi4EEENS1_32PointwiseOpScalar0dTensorFunctorIdLi4ELi2ELi3EEEJSt10multipliesIdEdEEEvT_T0_DpT1_.private_seg_size, 0
	.set _ZN2at6native12_GLOBAL__N_125multi_tensor_apply_kernelINS1_18TensorListMetadataILi4EEENS1_32PointwiseOpScalar0dTensorFunctorIdLi4ELi2ELi3EEEJSt10multipliesIdEdEEEvT_T0_DpT1_.uses_vcc, 1
	.set _ZN2at6native12_GLOBAL__N_125multi_tensor_apply_kernelINS1_18TensorListMetadataILi4EEENS1_32PointwiseOpScalar0dTensorFunctorIdLi4ELi2ELi3EEEJSt10multipliesIdEdEEEvT_T0_DpT1_.uses_flat_scratch, 0
	.set _ZN2at6native12_GLOBAL__N_125multi_tensor_apply_kernelINS1_18TensorListMetadataILi4EEENS1_32PointwiseOpScalar0dTensorFunctorIdLi4ELi2ELi3EEEJSt10multipliesIdEdEEEvT_T0_DpT1_.has_dyn_sized_stack, 0
	.set _ZN2at6native12_GLOBAL__N_125multi_tensor_apply_kernelINS1_18TensorListMetadataILi4EEENS1_32PointwiseOpScalar0dTensorFunctorIdLi4ELi2ELi3EEEJSt10multipliesIdEdEEEvT_T0_DpT1_.has_recursion, 0
	.set _ZN2at6native12_GLOBAL__N_125multi_tensor_apply_kernelINS1_18TensorListMetadataILi4EEENS1_32PointwiseOpScalar0dTensorFunctorIdLi4ELi2ELi3EEEJSt10multipliesIdEdEEEvT_T0_DpT1_.has_indirect_call, 0
	.section	.AMDGPU.csdata,"",@progbits
; Kernel info:
; codeLenInByte = 1656
; TotalNumSgprs: 39
; NumVgprs: 29
; ScratchSize: 0
; MemoryBound: 1
; FloatMode: 240
; IeeeMode: 1
; LDSByteSize: 0 bytes/workgroup (compile time only)
; SGPRBlocks: 4
; VGPRBlocks: 7
; NumSGPRsForWavesPerEU: 39
; NumVGPRsForWavesPerEU: 29
; Occupancy: 8
; WaveLimiterHint : 0
; COMPUTE_PGM_RSRC2:SCRATCH_EN: 0
; COMPUTE_PGM_RSRC2:USER_SGPR: 6
; COMPUTE_PGM_RSRC2:TRAP_HANDLER: 0
; COMPUTE_PGM_RSRC2:TGID_X_EN: 1
; COMPUTE_PGM_RSRC2:TGID_Y_EN: 0
; COMPUTE_PGM_RSRC2:TGID_Z_EN: 0
; COMPUTE_PGM_RSRC2:TIDIG_COMP_CNT: 0
	.section	.text._ZN2at6native12_GLOBAL__N_125multi_tensor_apply_kernelINS1_18TensorListMetadataILi4EEENS1_32PointwiseOpScalar0dTensorFunctorIfLi4ELi2ELi3EEEJSt10multipliesIfEfEEEvT_T0_DpT1_,"axG",@progbits,_ZN2at6native12_GLOBAL__N_125multi_tensor_apply_kernelINS1_18TensorListMetadataILi4EEENS1_32PointwiseOpScalar0dTensorFunctorIfLi4ELi2ELi3EEEJSt10multipliesIfEfEEEvT_T0_DpT1_,comdat
	.globl	_ZN2at6native12_GLOBAL__N_125multi_tensor_apply_kernelINS1_18TensorListMetadataILi4EEENS1_32PointwiseOpScalar0dTensorFunctorIfLi4ELi2ELi3EEEJSt10multipliesIfEfEEEvT_T0_DpT1_ ; -- Begin function _ZN2at6native12_GLOBAL__N_125multi_tensor_apply_kernelINS1_18TensorListMetadataILi4EEENS1_32PointwiseOpScalar0dTensorFunctorIfLi4ELi2ELi3EEEJSt10multipliesIfEfEEEvT_T0_DpT1_
	.p2align	8
	.type	_ZN2at6native12_GLOBAL__N_125multi_tensor_apply_kernelINS1_18TensorListMetadataILi4EEENS1_32PointwiseOpScalar0dTensorFunctorIfLi4ELi2ELi3EEEJSt10multipliesIfEfEEEvT_T0_DpT1_,@function
_ZN2at6native12_GLOBAL__N_125multi_tensor_apply_kernelINS1_18TensorListMetadataILi4EEENS1_32PointwiseOpScalar0dTensorFunctorIfLi4ELi2ELi3EEEJSt10multipliesIfEfEEEvT_T0_DpT1_: ; @_ZN2at6native12_GLOBAL__N_125multi_tensor_apply_kernelINS1_18TensorListMetadataILi4EEENS1_32PointwiseOpScalar0dTensorFunctorIfLi4ELi2ELi3EEEJSt10multipliesIfEfEEEvT_T0_DpT1_
; %bb.0:
	v_mov_b32_e32 v1, s6
	global_load_ubyte v1, v1, s[4:5] offset:1440
	s_add_u32 s0, s4, s6
	s_mul_hi_u32 s1, s6, 3
	s_mul_i32 s6, s6, 3
	s_addc_u32 s2, s5, 0
	s_add_u32 s0, s0, s6
	s_addc_u32 s1, s2, s1
	s_load_dword s0, s[0:1], 0x6e0
	s_mov_b32 s3, 0
	s_mov_b32 s9, s3
	;; [unrolled: 1-line block ×3, first 2 shown]
	s_waitcnt lgkmcnt(0)
	s_ashr_i32 s1, s0, 31
	s_lshl_b64 s[10:11], s[0:1], 18
	s_waitcnt vmcnt(0)
	v_readfirstlane_b32 s2, v1
	s_lshl_b32 s2, s2, 3
	s_load_dwordx2 s[6:7], s[4:5], s2 offset:0x0
	s_load_dwordx2 s[12:13], s[4:5], s2 offset:0x120
	s_load_dword s26, s[4:5], 0xbec
	s_load_dwordx2 s[16:17], s[4:5], s2 offset:0x480
	s_load_dwordx2 s[18:19], s[4:5], s2 offset:0x240
	;; [unrolled: 1-line block ×3, first 2 shown]
	s_waitcnt lgkmcnt(0)
	s_add_u32 s6, s6, s10
	s_addc_u32 s7, s7, s11
	s_add_u32 s8, s12, s10
	s_and_b32 s2, s6, 15
	s_and_b32 s8, s8, 15
	s_cmp_lg_u64 s[8:9], 0
	s_load_dword s27, s[12:13], 0x0
	s_cselect_b64 s[12:13], -1, 0
	s_add_u32 s8, s18, s10
	s_addc_u32 s9, s19, s11
	s_add_u32 s10, s20, s10
	s_addc_u32 s11, s21, s11
	s_or_b32 s14, s10, s8
	s_and_b32 s14, s14, 15
	s_cmp_lg_u32 s14, 0
	s_cselect_b64 s[18:19], -1, 0
	s_lshl_b64 s[0:1], s[0:1], 16
	s_or_b64 s[18:19], s[18:19], s[12:13]
	s_sub_u32 s12, s16, s0
	s_subb_u32 s13, s17, s1
	s_and_b32 s14, s16, 3
	s_or_b64 s[0:1], s[2:3], s[14:15]
	s_cmp_lg_u64 s[0:1], 0
	s_cselect_b64 s[0:1], -1, 0
	s_or_b64 s[0:1], s[18:19], s[0:1]
	s_andn2_b64 vcc, exec, s[0:1]
	s_mov_b64 s[0:1], -1
	s_cbranch_vccz .LBB17_5
; %bb.1:
	v_mov_b32_e32 v1, 0x10000
	v_mov_b32_e32 v2, 0
	v_cmp_lt_i64_e32 vcc, s[12:13], v[1:2]
	v_mov_b32_e32 v2, 0
	s_and_b64 s[0:1], vcc, exec
	s_cselect_b32 s15, s13, 0
	s_cselect_b32 s14, s12, 0x10000
	v_lshlrev_b32_e32 v1, 2, v0
	v_cmp_gt_i64_e32 vcc, s[14:15], v[1:2]
	s_and_saveexec_b64 s[16:17], vcc
	s_cbranch_execz .LBB17_4
; %bb.2:
	s_load_dword s0, s[4:5], 0xbfc
	v_mov_b32_e32 v1, v2
	v_mov_b32_e32 v2, v1
	v_cmp_eq_f32_e64 vcc, s26, 1.0
	v_lshlrev_b32_e32 v3, 4, v0
	s_waitcnt lgkmcnt(0)
	s_and_b32 s28, s0, 0xffff
	s_mov_b64 s[18:19], 0
	s_lshl_b32 s29, s28, 4
	s_mov_b64 s[20:21], s[8:9]
	s_mov_b64 s[22:23], s[6:7]
	;; [unrolled: 1-line block ×3, first 2 shown]
	v_mov_b32_e32 v1, v0
.LBB17_3:                               ; =>This Inner Loop Header: Depth=1
	v_mov_b32_e32 v5, s21
	v_add_co_u32_e64 v12, s[0:1], s20, v3
	v_mov_b32_e32 v4, s23
	v_add_co_u32_e64 v14, s[2:3], s22, v3
	v_addc_co_u32_e64 v13, s[0:1], 0, v5, s[0:1]
	v_addc_co_u32_e64 v15, s[2:3], 0, v4, s[2:3]
	global_load_dwordx4 v[4:7], v[12:13], off
	global_load_dwordx4 v[8:11], v[14:15], off
	v_add_co_u32_e64 v12, s[0:1], s24, v3
	v_add_co_u32_e64 v1, s[2:3], s28, v1
	s_add_u32 s24, s24, s29
	v_mov_b32_e32 v13, s25
	v_addc_co_u32_e64 v2, s[2:3], 0, v2, s[2:3]
	s_addc_u32 s25, s25, 0
	v_lshlrev_b64 v[14:15], 2, v[1:2]
	s_add_u32 s22, s22, s29
	v_addc_co_u32_e64 v13, s[0:1], 0, v13, s[0:1]
	s_addc_u32 s23, s23, 0
	v_cmp_le_i64_e64 s[0:1], s[14:15], v[14:15]
	s_add_u32 s20, s20, s29
	s_addc_u32 s21, s21, 0
	s_or_b64 s[18:19], s[0:1], s[18:19]
	s_waitcnt vmcnt(0)
	v_fma_f32 v14, s27, v4, v8
	v_mul_f32_e32 v4, s27, v4
	v_fma_f32 v15, s27, v5, v9
	v_mul_f32_e32 v5, s27, v5
	;; [unrolled: 2-line block ×4, first 2 shown]
	v_fma_f32 v4, s26, v4, v8
	v_fma_f32 v5, s26, v5, v9
	;; [unrolled: 1-line block ×3, first 2 shown]
	v_fmac_f32_e32 v11, s26, v7
	v_cndmask_b32_e32 v4, v4, v14, vcc
	v_cndmask_b32_e32 v5, v5, v15, vcc
	;; [unrolled: 1-line block ×4, first 2 shown]
	global_store_dwordx4 v[12:13], v[4:7], off
	s_andn2_b64 exec, exec, s[18:19]
	s_cbranch_execnz .LBB17_3
.LBB17_4:
	s_or_b64 exec, exec, s[16:17]
	s_mov_b64 s[0:1], 0
.LBB17_5:
	s_andn2_b64 vcc, exec, s[0:1]
	s_cbranch_vccnz .LBB17_25
; %bb.6:
	v_cmp_lt_i64_e64 s[0:1], s[12:13], 1
	s_and_b64 vcc, exec, s[0:1]
	s_cbranch_vccnz .LBB17_25
; %bb.7:
	v_mov_b32_e32 v1, 0x10000
	s_load_dword s4, s[4:5], 0xbfc
	v_mov_b32_e32 v2, 0
	v_cmp_lt_i64_e32 vcc, s[12:13], v[1:2]
	s_and_b64 s[0:1], vcc, exec
	v_cmp_lt_u64_e32 vcc, s[12:13], v[1:2]
	s_cselect_b32 s3, s13, 0
	s_cselect_b32 s2, s12, 0x10000
	s_waitcnt lgkmcnt(0)
	s_and_b32 s16, s4, 0xffff
	s_and_b64 s[4:5], vcc, exec
	v_cmp_eq_f32_e64 s[0:1], s26, 1.0
	s_cselect_b32 s5, s13, 0
	s_cselect_b32 s4, s12, 0x10000
	s_lshl_b32 s17, s16, 1
	s_mul_i32 s18, s16, 3
	s_lshl_b32 s19, s16, 2
	s_mov_b64 s[12:13], 0
	s_branch .LBB17_9
.LBB17_8:                               ;   in Loop: Header=BB17_9 Depth=1
	s_or_b64 exec, exec, s[14:15]
	s_add_u32 s12, s12, s19
	v_mov_b32_e32 v1, s2
	s_addc_u32 s13, s13, 0
	v_mov_b32_e32 v2, s3
	v_cmp_ge_i64_e32 vcc, s[12:13], v[1:2]
	s_cbranch_vccnz .LBB17_25
.LBB17_9:                               ; =>This Inner Loop Header: Depth=1
	v_mov_b32_e32 v2, s13
	v_add_co_u32_e32 v1, vcc, s12, v0
	v_addc_co_u32_e32 v2, vcc, 0, v2, vcc
	v_cmp_gt_i64_e32 vcc, s[2:3], v[1:2]
	s_waitcnt vmcnt(0)
	v_mov_b32_e32 v11, 0
	v_mov_b32_e32 v9, 0
	s_and_saveexec_b64 s[14:15], vcc
	s_cbranch_execz .LBB17_11
; %bb.10:                               ;   in Loop: Header=BB17_9 Depth=1
	v_lshlrev_b64 v[3:4], 2, v[1:2]
	v_mov_b32_e32 v6, s7
	v_add_co_u32_e32 v5, vcc, s6, v3
	v_addc_co_u32_e32 v6, vcc, v6, v4, vcc
	v_mov_b32_e32 v7, s9
	v_add_co_u32_e32 v3, vcc, s8, v3
	v_addc_co_u32_e32 v4, vcc, v7, v4, vcc
	global_load_dword v9, v[5:6], off
	global_load_dword v11, v[3:4], off
.LBB17_11:                              ;   in Loop: Header=BB17_9 Depth=1
	s_or_b64 exec, exec, s[14:15]
	v_add_co_u32_e32 v3, vcc, s16, v1
	v_addc_co_u32_e32 v4, vcc, 0, v2, vcc
	v_cmp_gt_i64_e32 vcc, s[2:3], v[3:4]
	v_mov_b32_e32 v10, 0
	v_mov_b32_e32 v13, 0
	;; [unrolled: 1-line block ×3, first 2 shown]
	s_and_saveexec_b64 s[14:15], vcc
	s_cbranch_execz .LBB17_13
; %bb.12:                               ;   in Loop: Header=BB17_9 Depth=1
	v_lshlrev_b64 v[5:6], 2, v[3:4]
	v_mov_b32_e32 v8, s7
	v_add_co_u32_e32 v7, vcc, s6, v5
	v_addc_co_u32_e32 v8, vcc, v8, v6, vcc
	v_mov_b32_e32 v12, s9
	v_add_co_u32_e32 v5, vcc, s8, v5
	v_addc_co_u32_e32 v6, vcc, v12, v6, vcc
	global_load_dword v12, v[7:8], off
	global_load_dword v13, v[5:6], off
.LBB17_13:                              ;   in Loop: Header=BB17_9 Depth=1
	s_or_b64 exec, exec, s[14:15]
	v_add_co_u32_e32 v5, vcc, s17, v1
	v_addc_co_u32_e32 v6, vcc, 0, v2, vcc
	v_cmp_gt_i64_e32 vcc, s[2:3], v[5:6]
	v_mov_b32_e32 v14, 0
	s_and_saveexec_b64 s[14:15], vcc
	s_cbranch_execz .LBB17_15
; %bb.14:                               ;   in Loop: Header=BB17_9 Depth=1
	v_lshlrev_b64 v[7:8], 2, v[5:6]
	v_mov_b32_e32 v10, s7
	v_add_co_u32_e32 v15, vcc, s6, v7
	v_addc_co_u32_e32 v16, vcc, v10, v8, vcc
	v_mov_b32_e32 v10, s9
	v_add_co_u32_e32 v7, vcc, s8, v7
	v_addc_co_u32_e32 v8, vcc, v10, v8, vcc
	global_load_dword v14, v[15:16], off
	global_load_dword v10, v[7:8], off
.LBB17_15:                              ;   in Loop: Header=BB17_9 Depth=1
	s_or_b64 exec, exec, s[14:15]
	v_add_co_u32_e32 v7, vcc, s18, v1
	v_addc_co_u32_e32 v8, vcc, 0, v2, vcc
	v_cmp_gt_i64_e32 vcc, s[2:3], v[7:8]
	v_mov_b32_e32 v16, 0
	v_mov_b32_e32 v15, 0
	s_and_saveexec_b64 s[14:15], vcc
	s_cbranch_execnz .LBB17_20
; %bb.16:                               ;   in Loop: Header=BB17_9 Depth=1
	s_or_b64 exec, exec, s[14:15]
	v_cmp_gt_u64_e32 vcc, s[4:5], v[1:2]
	s_and_saveexec_b64 s[14:15], vcc
	s_cbranch_execnz .LBB17_21
.LBB17_17:                              ;   in Loop: Header=BB17_9 Depth=1
	s_or_b64 exec, exec, s[14:15]
	v_cmp_gt_u64_e32 vcc, s[4:5], v[3:4]
	s_and_saveexec_b64 s[14:15], vcc
	s_cbranch_execnz .LBB17_22
.LBB17_18:                              ;   in Loop: Header=BB17_9 Depth=1
	s_or_b64 exec, exec, s[14:15]
	v_cmp_gt_u64_e32 vcc, s[4:5], v[5:6]
	s_and_saveexec_b64 s[14:15], vcc
	s_cbranch_execnz .LBB17_23
.LBB17_19:                              ;   in Loop: Header=BB17_9 Depth=1
	s_or_b64 exec, exec, s[14:15]
	v_cmp_gt_u64_e32 vcc, s[4:5], v[7:8]
	s_and_saveexec_b64 s[14:15], vcc
	s_cbranch_execz .LBB17_8
	s_branch .LBB17_24
.LBB17_20:                              ;   in Loop: Header=BB17_9 Depth=1
	v_lshlrev_b64 v[15:16], 2, v[7:8]
	v_mov_b32_e32 v18, s7
	v_add_co_u32_e32 v17, vcc, s6, v15
	v_addc_co_u32_e32 v18, vcc, v18, v16, vcc
	v_mov_b32_e32 v20, s9
	v_add_co_u32_e32 v19, vcc, s8, v15
	v_addc_co_u32_e32 v20, vcc, v20, v16, vcc
	global_load_dword v15, v[17:18], off
	global_load_dword v16, v[19:20], off
	s_or_b64 exec, exec, s[14:15]
	v_cmp_gt_u64_e32 vcc, s[4:5], v[1:2]
	s_and_saveexec_b64 s[14:15], vcc
	s_cbranch_execz .LBB17_17
.LBB17_21:                              ;   in Loop: Header=BB17_9 Depth=1
	v_lshlrev_b64 v[1:2], 2, v[1:2]
	v_mov_b32_e32 v17, s11
	v_add_co_u32_e32 v1, vcc, s10, v1
	v_addc_co_u32_e32 v2, vcc, v17, v2, vcc
	s_waitcnt vmcnt(0)
	v_fma_f32 v17, s27, v11, v9
	v_mul_f32_e32 v11, s27, v11
	v_fmac_f32_e32 v9, s26, v11
	v_cndmask_b32_e64 v9, v9, v17, s[0:1]
	global_store_dword v[1:2], v9, off
	s_or_b64 exec, exec, s[14:15]
	v_cmp_gt_u64_e32 vcc, s[4:5], v[3:4]
	s_and_saveexec_b64 s[14:15], vcc
	s_cbranch_execz .LBB17_18
.LBB17_22:                              ;   in Loop: Header=BB17_9 Depth=1
	s_waitcnt vmcnt(0)
	v_mul_f32_e32 v2, s27, v13
	v_fma_f32 v1, s27, v13, v12
	v_fmac_f32_e32 v12, s26, v2
	v_cndmask_b32_e64 v9, v12, v1, s[0:1]
	v_lshlrev_b64 v[1:2], 2, v[3:4]
	v_mov_b32_e32 v3, s11
	v_add_co_u32_e32 v1, vcc, s10, v1
	v_addc_co_u32_e32 v2, vcc, v3, v2, vcc
	global_store_dword v[1:2], v9, off
	s_or_b64 exec, exec, s[14:15]
	v_cmp_gt_u64_e32 vcc, s[4:5], v[5:6]
	s_and_saveexec_b64 s[14:15], vcc
	s_cbranch_execz .LBB17_19
.LBB17_23:                              ;   in Loop: Header=BB17_9 Depth=1
	s_waitcnt vmcnt(0)
	v_mul_f32_e32 v2, s27, v10
	v_fma_f32 v1, s27, v10, v14
	v_fmac_f32_e32 v14, s26, v2
	v_cndmask_b32_e64 v3, v14, v1, s[0:1]
	v_lshlrev_b64 v[1:2], 2, v[5:6]
	v_mov_b32_e32 v4, s11
	v_add_co_u32_e32 v1, vcc, s10, v1
	v_addc_co_u32_e32 v2, vcc, v4, v2, vcc
	global_store_dword v[1:2], v3, off
	s_or_b64 exec, exec, s[14:15]
	v_cmp_gt_u64_e32 vcc, s[4:5], v[7:8]
	s_and_saveexec_b64 s[14:15], vcc
	s_cbranch_execz .LBB17_8
.LBB17_24:                              ;   in Loop: Header=BB17_9 Depth=1
	s_waitcnt vmcnt(0)
	v_mul_f32_e32 v2, s27, v16
	v_fma_f32 v1, s27, v16, v15
	v_fmac_f32_e32 v15, s26, v2
	v_cndmask_b32_e64 v3, v15, v1, s[0:1]
	v_lshlrev_b64 v[1:2], 2, v[7:8]
	v_mov_b32_e32 v4, s11
	v_add_co_u32_e32 v1, vcc, s10, v1
	v_addc_co_u32_e32 v2, vcc, v4, v2, vcc
	global_store_dword v[1:2], v3, off
	s_branch .LBB17_8
.LBB17_25:
	s_endpgm
	.section	.rodata,"a",@progbits
	.p2align	6, 0x0
	.amdhsa_kernel _ZN2at6native12_GLOBAL__N_125multi_tensor_apply_kernelINS1_18TensorListMetadataILi4EEENS1_32PointwiseOpScalar0dTensorFunctorIfLi4ELi2ELi3EEEJSt10multipliesIfEfEEEvT_T0_DpT1_
		.amdhsa_group_segment_fixed_size 0
		.amdhsa_private_segment_fixed_size 0
		.amdhsa_kernarg_size 3312
		.amdhsa_user_sgpr_count 6
		.amdhsa_user_sgpr_private_segment_buffer 1
		.amdhsa_user_sgpr_dispatch_ptr 0
		.amdhsa_user_sgpr_queue_ptr 0
		.amdhsa_user_sgpr_kernarg_segment_ptr 1
		.amdhsa_user_sgpr_dispatch_id 0
		.amdhsa_user_sgpr_flat_scratch_init 0
		.amdhsa_user_sgpr_private_segment_size 0
		.amdhsa_uses_dynamic_stack 0
		.amdhsa_system_sgpr_private_segment_wavefront_offset 0
		.amdhsa_system_sgpr_workgroup_id_x 1
		.amdhsa_system_sgpr_workgroup_id_y 0
		.amdhsa_system_sgpr_workgroup_id_z 0
		.amdhsa_system_sgpr_workgroup_info 0
		.amdhsa_system_vgpr_workitem_id 0
		.amdhsa_next_free_vgpr 21
		.amdhsa_next_free_sgpr 30
		.amdhsa_reserve_vcc 1
		.amdhsa_reserve_flat_scratch 0
		.amdhsa_float_round_mode_32 0
		.amdhsa_float_round_mode_16_64 0
		.amdhsa_float_denorm_mode_32 3
		.amdhsa_float_denorm_mode_16_64 3
		.amdhsa_dx10_clamp 1
		.amdhsa_ieee_mode 1
		.amdhsa_fp16_overflow 0
		.amdhsa_exception_fp_ieee_invalid_op 0
		.amdhsa_exception_fp_denorm_src 0
		.amdhsa_exception_fp_ieee_div_zero 0
		.amdhsa_exception_fp_ieee_overflow 0
		.amdhsa_exception_fp_ieee_underflow 0
		.amdhsa_exception_fp_ieee_inexact 0
		.amdhsa_exception_int_div_zero 0
	.end_amdhsa_kernel
	.section	.text._ZN2at6native12_GLOBAL__N_125multi_tensor_apply_kernelINS1_18TensorListMetadataILi4EEENS1_32PointwiseOpScalar0dTensorFunctorIfLi4ELi2ELi3EEEJSt10multipliesIfEfEEEvT_T0_DpT1_,"axG",@progbits,_ZN2at6native12_GLOBAL__N_125multi_tensor_apply_kernelINS1_18TensorListMetadataILi4EEENS1_32PointwiseOpScalar0dTensorFunctorIfLi4ELi2ELi3EEEJSt10multipliesIfEfEEEvT_T0_DpT1_,comdat
.Lfunc_end17:
	.size	_ZN2at6native12_GLOBAL__N_125multi_tensor_apply_kernelINS1_18TensorListMetadataILi4EEENS1_32PointwiseOpScalar0dTensorFunctorIfLi4ELi2ELi3EEEJSt10multipliesIfEfEEEvT_T0_DpT1_, .Lfunc_end17-_ZN2at6native12_GLOBAL__N_125multi_tensor_apply_kernelINS1_18TensorListMetadataILi4EEENS1_32PointwiseOpScalar0dTensorFunctorIfLi4ELi2ELi3EEEJSt10multipliesIfEfEEEvT_T0_DpT1_
                                        ; -- End function
	.set _ZN2at6native12_GLOBAL__N_125multi_tensor_apply_kernelINS1_18TensorListMetadataILi4EEENS1_32PointwiseOpScalar0dTensorFunctorIfLi4ELi2ELi3EEEJSt10multipliesIfEfEEEvT_T0_DpT1_.num_vgpr, 21
	.set _ZN2at6native12_GLOBAL__N_125multi_tensor_apply_kernelINS1_18TensorListMetadataILi4EEENS1_32PointwiseOpScalar0dTensorFunctorIfLi4ELi2ELi3EEEJSt10multipliesIfEfEEEvT_T0_DpT1_.num_agpr, 0
	.set _ZN2at6native12_GLOBAL__N_125multi_tensor_apply_kernelINS1_18TensorListMetadataILi4EEENS1_32PointwiseOpScalar0dTensorFunctorIfLi4ELi2ELi3EEEJSt10multipliesIfEfEEEvT_T0_DpT1_.numbered_sgpr, 30
	.set _ZN2at6native12_GLOBAL__N_125multi_tensor_apply_kernelINS1_18TensorListMetadataILi4EEENS1_32PointwiseOpScalar0dTensorFunctorIfLi4ELi2ELi3EEEJSt10multipliesIfEfEEEvT_T0_DpT1_.num_named_barrier, 0
	.set _ZN2at6native12_GLOBAL__N_125multi_tensor_apply_kernelINS1_18TensorListMetadataILi4EEENS1_32PointwiseOpScalar0dTensorFunctorIfLi4ELi2ELi3EEEJSt10multipliesIfEfEEEvT_T0_DpT1_.private_seg_size, 0
	.set _ZN2at6native12_GLOBAL__N_125multi_tensor_apply_kernelINS1_18TensorListMetadataILi4EEENS1_32PointwiseOpScalar0dTensorFunctorIfLi4ELi2ELi3EEEJSt10multipliesIfEfEEEvT_T0_DpT1_.uses_vcc, 1
	.set _ZN2at6native12_GLOBAL__N_125multi_tensor_apply_kernelINS1_18TensorListMetadataILi4EEENS1_32PointwiseOpScalar0dTensorFunctorIfLi4ELi2ELi3EEEJSt10multipliesIfEfEEEvT_T0_DpT1_.uses_flat_scratch, 0
	.set _ZN2at6native12_GLOBAL__N_125multi_tensor_apply_kernelINS1_18TensorListMetadataILi4EEENS1_32PointwiseOpScalar0dTensorFunctorIfLi4ELi2ELi3EEEJSt10multipliesIfEfEEEvT_T0_DpT1_.has_dyn_sized_stack, 0
	.set _ZN2at6native12_GLOBAL__N_125multi_tensor_apply_kernelINS1_18TensorListMetadataILi4EEENS1_32PointwiseOpScalar0dTensorFunctorIfLi4ELi2ELi3EEEJSt10multipliesIfEfEEEvT_T0_DpT1_.has_recursion, 0
	.set _ZN2at6native12_GLOBAL__N_125multi_tensor_apply_kernelINS1_18TensorListMetadataILi4EEENS1_32PointwiseOpScalar0dTensorFunctorIfLi4ELi2ELi3EEEJSt10multipliesIfEfEEEvT_T0_DpT1_.has_indirect_call, 0
	.section	.AMDGPU.csdata,"",@progbits
; Kernel info:
; codeLenInByte = 1460
; TotalNumSgprs: 34
; NumVgprs: 21
; ScratchSize: 0
; MemoryBound: 0
; FloatMode: 240
; IeeeMode: 1
; LDSByteSize: 0 bytes/workgroup (compile time only)
; SGPRBlocks: 4
; VGPRBlocks: 5
; NumSGPRsForWavesPerEU: 34
; NumVGPRsForWavesPerEU: 21
; Occupancy: 10
; WaveLimiterHint : 0
; COMPUTE_PGM_RSRC2:SCRATCH_EN: 0
; COMPUTE_PGM_RSRC2:USER_SGPR: 6
; COMPUTE_PGM_RSRC2:TRAP_HANDLER: 0
; COMPUTE_PGM_RSRC2:TGID_X_EN: 1
; COMPUTE_PGM_RSRC2:TGID_Y_EN: 0
; COMPUTE_PGM_RSRC2:TGID_Z_EN: 0
; COMPUTE_PGM_RSRC2:TIDIG_COMP_CNT: 0
	.section	.text._ZN2at6native12_GLOBAL__N_125multi_tensor_apply_kernelINS1_18TensorListMetadataILi4EEENS1_32PointwiseOpScalar0dTensorFunctorIN3c107complexIdEELi4ELi2ELi3EEEJSt10multipliesIS8_ES8_EEEvT_T0_DpT1_,"axG",@progbits,_ZN2at6native12_GLOBAL__N_125multi_tensor_apply_kernelINS1_18TensorListMetadataILi4EEENS1_32PointwiseOpScalar0dTensorFunctorIN3c107complexIdEELi4ELi2ELi3EEEJSt10multipliesIS8_ES8_EEEvT_T0_DpT1_,comdat
	.globl	_ZN2at6native12_GLOBAL__N_125multi_tensor_apply_kernelINS1_18TensorListMetadataILi4EEENS1_32PointwiseOpScalar0dTensorFunctorIN3c107complexIdEELi4ELi2ELi3EEEJSt10multipliesIS8_ES8_EEEvT_T0_DpT1_ ; -- Begin function _ZN2at6native12_GLOBAL__N_125multi_tensor_apply_kernelINS1_18TensorListMetadataILi4EEENS1_32PointwiseOpScalar0dTensorFunctorIN3c107complexIdEELi4ELi2ELi3EEEJSt10multipliesIS8_ES8_EEEvT_T0_DpT1_
	.p2align	8
	.type	_ZN2at6native12_GLOBAL__N_125multi_tensor_apply_kernelINS1_18TensorListMetadataILi4EEENS1_32PointwiseOpScalar0dTensorFunctorIN3c107complexIdEELi4ELi2ELi3EEEJSt10multipliesIS8_ES8_EEEvT_T0_DpT1_,@function
_ZN2at6native12_GLOBAL__N_125multi_tensor_apply_kernelINS1_18TensorListMetadataILi4EEENS1_32PointwiseOpScalar0dTensorFunctorIN3c107complexIdEELi4ELi2ELi3EEEJSt10multipliesIS8_ES8_EEEvT_T0_DpT1_: ; @_ZN2at6native12_GLOBAL__N_125multi_tensor_apply_kernelINS1_18TensorListMetadataILi4EEENS1_32PointwiseOpScalar0dTensorFunctorIN3c107complexIdEELi4ELi2ELi3EEEJSt10multipliesIS8_ES8_EEEvT_T0_DpT1_
; %bb.0:
	v_mov_b32_e32 v1, s6
	global_load_ubyte v1, v1, s[4:5] offset:1440
	s_add_u32 s0, s4, s6
	s_mul_hi_u32 s1, s6, 3
	s_mul_i32 s6, s6, 3
	s_addc_u32 s2, s5, 0
	s_add_u32 s0, s0, s6
	s_addc_u32 s1, s2, s1
	s_load_dword s0, s[0:1], 0x6e0
	s_mov_b32 s3, 0
	s_mov_b32 s7, s3
	s_waitcnt lgkmcnt(0)
	s_ashr_i32 s1, s0, 31
	s_lshl_b64 s[20:21], s[0:1], 20
	s_waitcnt vmcnt(0)
	v_readfirstlane_b32 s2, v1
	s_lshl_b32 s2, s2, 3
	s_load_dwordx2 s[16:17], s[4:5], s2 offset:0x0
	s_load_dwordx2 s[18:19], s[4:5], s2 offset:0x120
	s_load_dwordx4 s[8:11], s[4:5], 0xbf0
	s_load_dwordx2 s[24:25], s[4:5], s2 offset:0x480
	s_load_dwordx2 s[22:23], s[4:5], s2 offset:0x240
	;; [unrolled: 1-line block ×3, first 2 shown]
	s_waitcnt lgkmcnt(0)
	s_add_u32 s16, s16, s20
	s_addc_u32 s17, s17, s21
	s_add_u32 s2, s18, s20
	s_and_b32 s2, s2, 63
	s_load_dwordx4 s[12:15], s[18:19], 0x0
	s_add_u32 s18, s22, s20
	s_addc_u32 s19, s23, s21
	s_add_u32 s20, s26, s20
	s_addc_u32 s21, s27, s21
	s_or_b32 s6, s20, s18
	s_and_b32 s6, s6, 63
	s_cmp_lg_u32 s6, 0
	s_cselect_b64 s[22:23], -1, 0
	s_lshl_b64 s[0:1], s[0:1], 16
	s_and_b32 s6, s16, 63
	s_cmp_lg_u64 s[2:3], 0
	s_cselect_b64 s[26:27], -1, 0
	s_or_b64 s[26:27], s[22:23], s[26:27]
	s_sub_u32 s22, s24, s0
	s_subb_u32 s23, s25, s1
	s_and_b32 s2, s24, 3
	s_or_b64 s[0:1], s[6:7], s[2:3]
	s_cmp_lg_u64 s[0:1], 0
	s_cselect_b64 s[0:1], -1, 0
	s_or_b64 s[0:1], s[26:27], s[0:1]
	s_andn2_b64 vcc, exec, s[0:1]
	s_mov_b64 s[0:1], -1
	s_cbranch_vccz .LBB18_5
; %bb.1:
	v_mov_b32_e32 v1, 0x10000
	v_mov_b32_e32 v2, 0
	v_cmp_lt_i64_e32 vcc, s[22:23], v[1:2]
	v_mov_b32_e32 v2, 0
	s_and_b64 s[0:1], vcc, exec
	s_cselect_b32 s25, s23, 0
	s_cselect_b32 s24, s22, 0x10000
	v_lshlrev_b32_e32 v1, 2, v0
	v_cmp_gt_i64_e32 vcc, s[24:25], v[1:2]
	s_and_saveexec_b64 s[26:27], vcc
	s_cbranch_execz .LBB18_4
; %bb.2:
	v_cmp_eq_f64_e64 s[0:1], s[8:9], 1.0
	v_cmp_eq_f64_e64 s[2:3], s[10:11], 0
	s_load_dword s6, s[4:5], 0xc0c
	v_mov_b32_e32 v1, v2
	v_mov_b32_e32 v2, v1
	s_mov_b64 s[28:29], 0
	v_lshlrev_b32_e32 v3, 6, v0
	s_waitcnt lgkmcnt(0)
	s_and_b32 s33, s6, 0xffff
	s_lshl_b32 s38, s33, 6
	s_and_b64 vcc, s[0:1], s[2:3]
	s_mov_b64 s[30:31], s[18:19]
	s_mov_b64 s[34:35], s[16:17]
	;; [unrolled: 1-line block ×3, first 2 shown]
	v_mov_b32_e32 v1, v0
.LBB18_3:                               ; =>This Inner Loop Header: Depth=1
	v_add_co_u32_e64 v1, s[6:7], s33, v1
	v_mov_b32_e32 v5, s31
	v_add_co_u32_e64 v36, s[0:1], s30, v3
	v_addc_co_u32_e64 v2, s[6:7], 0, v2, s[6:7]
	v_mov_b32_e32 v4, s35
	v_mov_b32_e32 v6, s37
	v_add_co_u32_e64 v38, s[2:3], s36, v3
	v_add_co_u32_e64 v40, s[6:7], s34, v3
	v_addc_co_u32_e64 v37, s[0:1], 0, v5, s[0:1]
	v_addc_co_u32_e64 v41, s[6:7], 0, v4, s[6:7]
	;; [unrolled: 1-line block ×3, first 2 shown]
	global_load_dwordx4 v[4:7], v[36:37], off
	global_load_dwordx4 v[8:11], v[36:37], off offset:16
	global_load_dwordx4 v[12:15], v[36:37], off offset:32
	global_load_dwordx4 v[16:19], v[36:37], off offset:48
	global_load_dwordx4 v[20:23], v[40:41], off
	global_load_dwordx4 v[24:27], v[40:41], off offset:16
	global_load_dwordx4 v[28:31], v[40:41], off offset:32
	;; [unrolled: 1-line block ×3, first 2 shown]
	s_add_u32 s36, s36, s38
	s_addc_u32 s37, s37, 0
	v_lshlrev_b64 v[42:43], 2, v[1:2]
	s_add_u32 s34, s34, s38
	s_addc_u32 s35, s35, 0
	v_cmp_le_i64_e64 s[0:1], s[24:25], v[42:43]
	s_add_u32 s30, s30, s38
	s_addc_u32 s31, s31, 0
	s_or_b64 s[28:29], s[0:1], s[28:29]
	s_waitcnt vmcnt(7)
	v_mul_f64 v[36:37], s[12:13], v[6:7]
	v_mul_f64 v[6:7], s[14:15], v[6:7]
	v_fma_f64 v[36:37], s[14:15], v[4:5], v[36:37]
	v_fma_f64 v[4:5], s[12:13], v[4:5], -v[6:7]
	s_waitcnt vmcnt(6)
	v_mul_f64 v[6:7], s[12:13], v[10:11]
	v_mul_f64 v[10:11], s[14:15], v[10:11]
	v_fma_f64 v[6:7], s[14:15], v[8:9], v[6:7]
	v_fma_f64 v[8:9], s[12:13], v[8:9], -v[10:11]
	;; [unrolled: 5-line block ×4, first 2 shown]
	v_mul_f64 v[18:19], s[10:11], v[36:37]
	v_fma_f64 v[18:19], s[8:9], v[4:5], -v[18:19]
	v_cndmask_b32_e32 v19, v19, v5, vcc
	v_cndmask_b32_e32 v18, v18, v4, vcc
	v_mul_f64 v[4:5], s[10:11], v[4:5]
	v_fma_f64 v[4:5], s[8:9], v[36:37], v[4:5]
	v_cndmask_b32_e32 v5, v5, v37, vcc
	v_cndmask_b32_e32 v4, v4, v36, vcc
	v_mul_f64 v[36:37], s[10:11], v[6:7]
	v_fma_f64 v[36:37], s[8:9], v[8:9], -v[36:37]
	v_cndmask_b32_e32 v37, v37, v9, vcc
	v_cndmask_b32_e32 v36, v36, v8, vcc
	v_mul_f64 v[8:9], s[10:11], v[8:9]
	v_fma_f64 v[8:9], s[8:9], v[6:7], v[8:9]
	v_cndmask_b32_e32 v9, v9, v7, vcc
	v_cndmask_b32_e32 v8, v8, v6, vcc
	;; [unrolled: 8-line block ×3, first 2 shown]
	v_mul_f64 v[6:7], s[10:11], v[14:15]
	s_waitcnt vmcnt(2)
	v_add_f64 v[10:11], v[26:27], v[8:9]
	v_add_f64 v[8:9], v[24:25], v[36:37]
	v_fma_f64 v[6:7], s[8:9], v[16:17], -v[6:7]
	v_cndmask_b32_e32 v45, v7, v17, vcc
	v_cndmask_b32_e32 v44, v6, v16, vcc
	v_mul_f64 v[6:7], s[10:11], v[16:17]
	v_fma_f64 v[6:7], s[8:9], v[14:15], v[6:7]
	v_cndmask_b32_e32 v17, v7, v15, vcc
	v_cndmask_b32_e32 v16, v6, v14, vcc
	v_add_f64 v[6:7], v[22:23], v[4:5]
	v_add_f64 v[4:5], v[20:21], v[18:19]
	s_waitcnt vmcnt(1)
	v_add_f64 v[14:15], v[30:31], v[12:13]
	v_add_f64 v[12:13], v[28:29], v[40:41]
	s_waitcnt vmcnt(0)
	v_add_f64 v[18:19], v[34:35], v[16:17]
	v_add_f64 v[16:17], v[32:33], v[44:45]
	global_store_dwordx4 v[38:39], v[4:7], off
	global_store_dwordx4 v[38:39], v[8:11], off offset:16
	global_store_dwordx4 v[38:39], v[12:15], off offset:32
	;; [unrolled: 1-line block ×3, first 2 shown]
	s_andn2_b64 exec, exec, s[28:29]
	s_cbranch_execnz .LBB18_3
.LBB18_4:
	s_or_b64 exec, exec, s[26:27]
	s_mov_b64 s[0:1], 0
.LBB18_5:
	s_andn2_b64 vcc, exec, s[0:1]
	s_cbranch_vccnz .LBB18_25
; %bb.6:
	v_cmp_lt_i64_e64 s[0:1], s[22:23], 1
	s_and_b64 vcc, exec, s[0:1]
	s_cbranch_vccnz .LBB18_25
; %bb.7:
	v_cmp_eq_f64_e64 s[0:1], s[8:9], 1.0
	v_cmp_eq_f64_e64 s[6:7], s[10:11], 0
	v_mov_b32_e32 v1, 0x10000
	s_load_dword s4, s[4:5], 0xc0c
	v_mov_b32_e32 v2, 0
	v_cmp_lt_i64_e32 vcc, s[22:23], v[1:2]
	s_and_b64 s[2:3], vcc, exec
	v_cmp_lt_u64_e32 vcc, s[22:23], v[1:2]
	s_cselect_b32 s3, s23, 0
	s_cselect_b32 s2, s22, 0x10000
	s_waitcnt lgkmcnt(0)
	s_and_b32 s24, s4, 0xffff
	s_and_b64 s[0:1], s[0:1], s[6:7]
	s_and_b64 s[6:7], vcc, exec
	s_mov_b64 s[4:5], 0
	s_cselect_b32 s7, s23, 0
	s_cselect_b32 s6, s22, 0x10000
	s_lshl_b32 s25, s24, 1
	s_mul_i32 s26, s24, 3
	s_lshl_b32 s27, s24, 2
	s_branch .LBB18_9
.LBB18_8:                               ;   in Loop: Header=BB18_9 Depth=1
	s_or_b64 exec, exec, s[22:23]
	s_add_u32 s4, s4, s27
	s_waitcnt vmcnt(0)
	v_mov_b32_e32 v1, s2
	s_addc_u32 s5, s5, 0
	v_mov_b32_e32 v2, s3
	v_cmp_ge_i64_e32 vcc, s[4:5], v[1:2]
	s_cbranch_vccnz .LBB18_25
.LBB18_9:                               ; =>This Inner Loop Header: Depth=1
	v_mov_b32_e32 v1, s5
	v_add_co_u32_e32 v33, vcc, s4, v0
	v_addc_co_u32_e32 v34, vcc, 0, v1, vcc
	v_cmp_gt_i64_e32 vcc, s[2:3], v[33:34]
	v_mov_b32_e32 v3, 0
	v_mov_b32_e32 v19, 0
	;; [unrolled: 1-line block ×10, first 2 shown]
	s_and_saveexec_b64 s[22:23], vcc
	s_cbranch_execz .LBB18_11
; %bb.10:                               ;   in Loop: Header=BB18_9 Depth=1
	v_lshlrev_b64 v[1:2], 4, v[33:34]
	v_mov_b32_e32 v5, s19
	v_add_co_u32_e32 v9, vcc, s18, v1
	v_addc_co_u32_e32 v10, vcc, v5, v2, vcc
	v_mov_b32_e32 v5, s17
	v_add_co_u32_e32 v1, vcc, s16, v1
	v_addc_co_u32_e32 v2, vcc, v5, v2, vcc
	global_load_dwordx4 v[5:8], v[1:2], off
	global_load_dwordx4 v[17:20], v[9:10], off
.LBB18_11:                              ;   in Loop: Header=BB18_9 Depth=1
	s_or_b64 exec, exec, s[22:23]
	v_add_co_u32_e32 v35, vcc, s24, v33
	v_addc_co_u32_e32 v36, vcc, 0, v34, vcc
	v_cmp_gt_i64_e32 vcc, s[2:3], v[35:36]
	v_mov_b32_e32 v1, 0
	v_mov_b32_e32 v15, 0
	;; [unrolled: 1-line block ×6, first 2 shown]
	s_and_saveexec_b64 s[22:23], vcc
	s_cbranch_execz .LBB18_13
; %bb.12:                               ;   in Loop: Header=BB18_9 Depth=1
	v_lshlrev_b64 v[1:2], 4, v[35:36]
	v_mov_b32_e32 v3, s19
	v_add_co_u32_e32 v9, vcc, s18, v1
	v_addc_co_u32_e32 v10, vcc, v3, v2, vcc
	v_mov_b32_e32 v3, s17
	v_add_co_u32_e32 v11, vcc, s16, v1
	v_addc_co_u32_e32 v12, vcc, v3, v2, vcc
	global_load_dwordx4 v[13:16], v[11:12], off
	global_load_dwordx4 v[1:4], v[9:10], off
.LBB18_13:                              ;   in Loop: Header=BB18_9 Depth=1
	s_or_b64 exec, exec, s[22:23]
	v_add_co_u32_e32 v37, vcc, s25, v33
	v_addc_co_u32_e32 v38, vcc, 0, v34, vcc
	v_cmp_gt_i64_e32 vcc, s[2:3], v[37:38]
	v_mov_b32_e32 v11, 0
	v_mov_b32_e32 v31, 0
	;; [unrolled: 1-line block ×10, first 2 shown]
	s_and_saveexec_b64 s[22:23], vcc
	s_cbranch_execz .LBB18_15
; %bb.14:                               ;   in Loop: Header=BB18_9 Depth=1
	v_lshlrev_b64 v[9:10], 4, v[37:38]
	v_mov_b32_e32 v21, s19
	v_add_co_u32_e32 v25, vcc, s18, v9
	v_addc_co_u32_e32 v26, vcc, v21, v10, vcc
	v_mov_b32_e32 v21, s17
	v_add_co_u32_e32 v9, vcc, s16, v9
	v_addc_co_u32_e32 v10, vcc, v21, v10, vcc
	global_load_dwordx4 v[21:24], v[9:10], off
	global_load_dwordx4 v[29:32], v[25:26], off
.LBB18_15:                              ;   in Loop: Header=BB18_9 Depth=1
	s_or_b64 exec, exec, s[22:23]
	v_add_co_u32_e32 v39, vcc, s26, v33
	v_addc_co_u32_e32 v40, vcc, 0, v34, vcc
	v_cmp_gt_i64_e32 vcc, s[2:3], v[39:40]
	v_mov_b32_e32 v9, 0
	v_mov_b32_e32 v27, 0
	;; [unrolled: 1-line block ×6, first 2 shown]
	s_and_saveexec_b64 s[22:23], vcc
	s_cbranch_execnz .LBB18_20
; %bb.16:                               ;   in Loop: Header=BB18_9 Depth=1
	s_or_b64 exec, exec, s[22:23]
	v_cmp_gt_u64_e32 vcc, s[6:7], v[33:34]
	s_and_saveexec_b64 s[22:23], vcc
	s_cbranch_execnz .LBB18_21
.LBB18_17:                              ;   in Loop: Header=BB18_9 Depth=1
	s_or_b64 exec, exec, s[22:23]
	v_cmp_gt_u64_e32 vcc, s[6:7], v[35:36]
	s_and_saveexec_b64 s[22:23], vcc
	s_cbranch_execnz .LBB18_22
.LBB18_18:                              ;   in Loop: Header=BB18_9 Depth=1
	s_or_b64 exec, exec, s[22:23]
	v_cmp_gt_u64_e32 vcc, s[6:7], v[37:38]
	s_and_saveexec_b64 s[22:23], vcc
	s_cbranch_execnz .LBB18_23
.LBB18_19:                              ;   in Loop: Header=BB18_9 Depth=1
	s_or_b64 exec, exec, s[22:23]
	v_cmp_gt_u64_e32 vcc, s[6:7], v[39:40]
	s_and_saveexec_b64 s[22:23], vcc
	s_cbranch_execz .LBB18_8
	s_branch .LBB18_24
.LBB18_20:                              ;   in Loop: Header=BB18_9 Depth=1
	v_lshlrev_b64 v[9:10], 4, v[39:40]
	v_mov_b32_e32 v11, s19
	v_add_co_u32_e32 v41, vcc, s18, v9
	v_addc_co_u32_e32 v42, vcc, v11, v10, vcc
	v_mov_b32_e32 v11, s17
	v_add_co_u32_e32 v43, vcc, s16, v9
	v_addc_co_u32_e32 v44, vcc, v11, v10, vcc
	global_load_dwordx4 v[25:28], v[43:44], off
	global_load_dwordx4 v[9:12], v[41:42], off
	s_or_b64 exec, exec, s[22:23]
	v_cmp_gt_u64_e32 vcc, s[6:7], v[33:34]
	s_and_saveexec_b64 s[22:23], vcc
	s_cbranch_execz .LBB18_17
.LBB18_21:                              ;   in Loop: Header=BB18_9 Depth=1
	s_waitcnt vmcnt(0)
	v_mul_f64 v[41:42], s[14:15], v[17:18]
	v_mul_f64 v[43:44], s[14:15], v[19:20]
	v_fma_f64 v[19:20], s[12:13], v[19:20], v[41:42]
	v_fma_f64 v[17:18], s[12:13], v[17:18], -v[43:44]
	v_mul_f64 v[41:42], s[10:11], v[19:20]
	v_mul_f64 v[43:44], s[10:11], v[17:18]
	v_fma_f64 v[41:42], s[8:9], v[17:18], -v[41:42]
	v_fma_f64 v[43:44], s[8:9], v[19:20], v[43:44]
	v_cndmask_b32_e64 v18, v42, v18, s[0:1]
	v_cndmask_b32_e64 v17, v41, v17, s[0:1]
	;; [unrolled: 1-line block ×4, first 2 shown]
	v_add_f64 v[5:6], v[5:6], v[17:18]
	v_add_f64 v[7:8], v[7:8], v[19:20]
	v_lshlrev_b64 v[17:18], 4, v[33:34]
	v_mov_b32_e32 v19, s21
	v_add_co_u32_e32 v17, vcc, s20, v17
	v_addc_co_u32_e32 v18, vcc, v19, v18, vcc
	global_store_dwordx4 v[17:18], v[5:8], off
	s_or_b64 exec, exec, s[22:23]
	v_cmp_gt_u64_e32 vcc, s[6:7], v[35:36]
	s_and_saveexec_b64 s[22:23], vcc
	s_cbranch_execz .LBB18_18
.LBB18_22:                              ;   in Loop: Header=BB18_9 Depth=1
	s_waitcnt vmcnt(0)
	v_mul_f64 v[5:6], s[14:15], v[1:2]
	v_mul_f64 v[7:8], s[14:15], v[3:4]
	v_fma_f64 v[3:4], s[12:13], v[3:4], v[5:6]
	v_fma_f64 v[1:2], s[12:13], v[1:2], -v[7:8]
	v_mul_f64 v[5:6], s[10:11], v[3:4]
	v_mul_f64 v[7:8], s[10:11], v[1:2]
	v_fma_f64 v[5:6], s[8:9], v[1:2], -v[5:6]
	v_fma_f64 v[7:8], s[8:9], v[3:4], v[7:8]
	v_cndmask_b32_e64 v2, v6, v2, s[0:1]
	v_cndmask_b32_e64 v1, v5, v1, s[0:1]
	;; [unrolled: 1-line block ×4, first 2 shown]
	v_add_f64 v[3:4], v[15:16], v[3:4]
	v_add_f64 v[1:2], v[13:14], v[1:2]
	v_lshlrev_b64 v[5:6], 4, v[35:36]
	v_mov_b32_e32 v7, s21
	v_add_co_u32_e32 v5, vcc, s20, v5
	v_addc_co_u32_e32 v6, vcc, v7, v6, vcc
	global_store_dwordx4 v[5:6], v[1:4], off
	s_or_b64 exec, exec, s[22:23]
	v_cmp_gt_u64_e32 vcc, s[6:7], v[37:38]
	s_and_saveexec_b64 s[22:23], vcc
	s_cbranch_execz .LBB18_19
.LBB18_23:                              ;   in Loop: Header=BB18_9 Depth=1
	s_waitcnt vmcnt(0)
	v_mul_f64 v[1:2], s[14:15], v[29:30]
	v_mul_f64 v[3:4], s[14:15], v[31:32]
	v_fma_f64 v[1:2], s[12:13], v[31:32], v[1:2]
	v_fma_f64 v[3:4], s[12:13], v[29:30], -v[3:4]
	v_mul_f64 v[5:6], s[10:11], v[1:2]
	v_mul_f64 v[7:8], s[10:11], v[3:4]
	v_fma_f64 v[5:6], s[8:9], v[3:4], -v[5:6]
	v_fma_f64 v[7:8], s[8:9], v[1:2], v[7:8]
	v_cndmask_b32_e64 v6, v6, v4, s[0:1]
	v_cndmask_b32_e64 v5, v5, v3, s[0:1]
	;; [unrolled: 1-line block ×4, first 2 shown]
	v_add_f64 v[3:4], v[23:24], v[1:2]
	v_add_f64 v[1:2], v[21:22], v[5:6]
	v_lshlrev_b64 v[5:6], 4, v[37:38]
	v_mov_b32_e32 v7, s21
	v_add_co_u32_e32 v5, vcc, s20, v5
	v_addc_co_u32_e32 v6, vcc, v7, v6, vcc
	global_store_dwordx4 v[5:6], v[1:4], off
	s_or_b64 exec, exec, s[22:23]
	v_cmp_gt_u64_e32 vcc, s[6:7], v[39:40]
	s_and_saveexec_b64 s[22:23], vcc
	s_cbranch_execz .LBB18_8
.LBB18_24:                              ;   in Loop: Header=BB18_9 Depth=1
	s_waitcnt vmcnt(0)
	v_mul_f64 v[1:2], s[14:15], v[9:10]
	v_mul_f64 v[3:4], s[14:15], v[11:12]
	v_fma_f64 v[1:2], s[12:13], v[11:12], v[1:2]
	v_fma_f64 v[3:4], s[12:13], v[9:10], -v[3:4]
	v_mul_f64 v[5:6], s[10:11], v[1:2]
	v_mul_f64 v[7:8], s[10:11], v[3:4]
	v_fma_f64 v[5:6], s[8:9], v[3:4], -v[5:6]
	v_fma_f64 v[7:8], s[8:9], v[1:2], v[7:8]
	v_cndmask_b32_e64 v6, v6, v4, s[0:1]
	v_cndmask_b32_e64 v5, v5, v3, s[0:1]
	v_cndmask_b32_e64 v2, v8, v2, s[0:1]
	v_cndmask_b32_e64 v1, v7, v1, s[0:1]
	v_add_f64 v[3:4], v[27:28], v[1:2]
	v_add_f64 v[1:2], v[25:26], v[5:6]
	v_lshlrev_b64 v[5:6], 4, v[39:40]
	v_mov_b32_e32 v7, s21
	v_add_co_u32_e32 v5, vcc, s20, v5
	v_addc_co_u32_e32 v6, vcc, v7, v6, vcc
	global_store_dwordx4 v[5:6], v[1:4], off
	s_branch .LBB18_8
.LBB18_25:
	s_endpgm
	.section	.rodata,"a",@progbits
	.p2align	6, 0x0
	.amdhsa_kernel _ZN2at6native12_GLOBAL__N_125multi_tensor_apply_kernelINS1_18TensorListMetadataILi4EEENS1_32PointwiseOpScalar0dTensorFunctorIN3c107complexIdEELi4ELi2ELi3EEEJSt10multipliesIS8_ES8_EEEvT_T0_DpT1_
		.amdhsa_group_segment_fixed_size 0
		.amdhsa_private_segment_fixed_size 0
		.amdhsa_kernarg_size 3328
		.amdhsa_user_sgpr_count 6
		.amdhsa_user_sgpr_private_segment_buffer 1
		.amdhsa_user_sgpr_dispatch_ptr 0
		.amdhsa_user_sgpr_queue_ptr 0
		.amdhsa_user_sgpr_kernarg_segment_ptr 1
		.amdhsa_user_sgpr_dispatch_id 0
		.amdhsa_user_sgpr_flat_scratch_init 0
		.amdhsa_user_sgpr_private_segment_size 0
		.amdhsa_uses_dynamic_stack 0
		.amdhsa_system_sgpr_private_segment_wavefront_offset 0
		.amdhsa_system_sgpr_workgroup_id_x 1
		.amdhsa_system_sgpr_workgroup_id_y 0
		.amdhsa_system_sgpr_workgroup_id_z 0
		.amdhsa_system_sgpr_workgroup_info 0
		.amdhsa_system_vgpr_workitem_id 0
		.amdhsa_next_free_vgpr 46
		.amdhsa_next_free_sgpr 39
		.amdhsa_reserve_vcc 1
		.amdhsa_reserve_flat_scratch 0
		.amdhsa_float_round_mode_32 0
		.amdhsa_float_round_mode_16_64 0
		.amdhsa_float_denorm_mode_32 3
		.amdhsa_float_denorm_mode_16_64 3
		.amdhsa_dx10_clamp 1
		.amdhsa_ieee_mode 1
		.amdhsa_fp16_overflow 0
		.amdhsa_exception_fp_ieee_invalid_op 0
		.amdhsa_exception_fp_denorm_src 0
		.amdhsa_exception_fp_ieee_div_zero 0
		.amdhsa_exception_fp_ieee_overflow 0
		.amdhsa_exception_fp_ieee_underflow 0
		.amdhsa_exception_fp_ieee_inexact 0
		.amdhsa_exception_int_div_zero 0
	.end_amdhsa_kernel
	.section	.text._ZN2at6native12_GLOBAL__N_125multi_tensor_apply_kernelINS1_18TensorListMetadataILi4EEENS1_32PointwiseOpScalar0dTensorFunctorIN3c107complexIdEELi4ELi2ELi3EEEJSt10multipliesIS8_ES8_EEEvT_T0_DpT1_,"axG",@progbits,_ZN2at6native12_GLOBAL__N_125multi_tensor_apply_kernelINS1_18TensorListMetadataILi4EEENS1_32PointwiseOpScalar0dTensorFunctorIN3c107complexIdEELi4ELi2ELi3EEEJSt10multipliesIS8_ES8_EEEvT_T0_DpT1_,comdat
.Lfunc_end18:
	.size	_ZN2at6native12_GLOBAL__N_125multi_tensor_apply_kernelINS1_18TensorListMetadataILi4EEENS1_32PointwiseOpScalar0dTensorFunctorIN3c107complexIdEELi4ELi2ELi3EEEJSt10multipliesIS8_ES8_EEEvT_T0_DpT1_, .Lfunc_end18-_ZN2at6native12_GLOBAL__N_125multi_tensor_apply_kernelINS1_18TensorListMetadataILi4EEENS1_32PointwiseOpScalar0dTensorFunctorIN3c107complexIdEELi4ELi2ELi3EEEJSt10multipliesIS8_ES8_EEEvT_T0_DpT1_
                                        ; -- End function
	.set _ZN2at6native12_GLOBAL__N_125multi_tensor_apply_kernelINS1_18TensorListMetadataILi4EEENS1_32PointwiseOpScalar0dTensorFunctorIN3c107complexIdEELi4ELi2ELi3EEEJSt10multipliesIS8_ES8_EEEvT_T0_DpT1_.num_vgpr, 46
	.set _ZN2at6native12_GLOBAL__N_125multi_tensor_apply_kernelINS1_18TensorListMetadataILi4EEENS1_32PointwiseOpScalar0dTensorFunctorIN3c107complexIdEELi4ELi2ELi3EEEJSt10multipliesIS8_ES8_EEEvT_T0_DpT1_.num_agpr, 0
	.set _ZN2at6native12_GLOBAL__N_125multi_tensor_apply_kernelINS1_18TensorListMetadataILi4EEENS1_32PointwiseOpScalar0dTensorFunctorIN3c107complexIdEELi4ELi2ELi3EEEJSt10multipliesIS8_ES8_EEEvT_T0_DpT1_.numbered_sgpr, 39
	.set _ZN2at6native12_GLOBAL__N_125multi_tensor_apply_kernelINS1_18TensorListMetadataILi4EEENS1_32PointwiseOpScalar0dTensorFunctorIN3c107complexIdEELi4ELi2ELi3EEEJSt10multipliesIS8_ES8_EEEvT_T0_DpT1_.num_named_barrier, 0
	.set _ZN2at6native12_GLOBAL__N_125multi_tensor_apply_kernelINS1_18TensorListMetadataILi4EEENS1_32PointwiseOpScalar0dTensorFunctorIN3c107complexIdEELi4ELi2ELi3EEEJSt10multipliesIS8_ES8_EEEvT_T0_DpT1_.private_seg_size, 0
	.set _ZN2at6native12_GLOBAL__N_125multi_tensor_apply_kernelINS1_18TensorListMetadataILi4EEENS1_32PointwiseOpScalar0dTensorFunctorIN3c107complexIdEELi4ELi2ELi3EEEJSt10multipliesIS8_ES8_EEEvT_T0_DpT1_.uses_vcc, 1
	.set _ZN2at6native12_GLOBAL__N_125multi_tensor_apply_kernelINS1_18TensorListMetadataILi4EEENS1_32PointwiseOpScalar0dTensorFunctorIN3c107complexIdEELi4ELi2ELi3EEEJSt10multipliesIS8_ES8_EEEvT_T0_DpT1_.uses_flat_scratch, 0
	.set _ZN2at6native12_GLOBAL__N_125multi_tensor_apply_kernelINS1_18TensorListMetadataILi4EEENS1_32PointwiseOpScalar0dTensorFunctorIN3c107complexIdEELi4ELi2ELi3EEEJSt10multipliesIS8_ES8_EEEvT_T0_DpT1_.has_dyn_sized_stack, 0
	.set _ZN2at6native12_GLOBAL__N_125multi_tensor_apply_kernelINS1_18TensorListMetadataILi4EEENS1_32PointwiseOpScalar0dTensorFunctorIN3c107complexIdEELi4ELi2ELi3EEEJSt10multipliesIS8_ES8_EEEvT_T0_DpT1_.has_recursion, 0
	.set _ZN2at6native12_GLOBAL__N_125multi_tensor_apply_kernelINS1_18TensorListMetadataILi4EEENS1_32PointwiseOpScalar0dTensorFunctorIN3c107complexIdEELi4ELi2ELi3EEEJSt10multipliesIS8_ES8_EEEvT_T0_DpT1_.has_indirect_call, 0
	.section	.AMDGPU.csdata,"",@progbits
; Kernel info:
; codeLenInByte = 2316
; TotalNumSgprs: 43
; NumVgprs: 46
; ScratchSize: 0
; MemoryBound: 1
; FloatMode: 240
; IeeeMode: 1
; LDSByteSize: 0 bytes/workgroup (compile time only)
; SGPRBlocks: 5
; VGPRBlocks: 11
; NumSGPRsForWavesPerEU: 43
; NumVGPRsForWavesPerEU: 46
; Occupancy: 5
; WaveLimiterHint : 0
; COMPUTE_PGM_RSRC2:SCRATCH_EN: 0
; COMPUTE_PGM_RSRC2:USER_SGPR: 6
; COMPUTE_PGM_RSRC2:TRAP_HANDLER: 0
; COMPUTE_PGM_RSRC2:TGID_X_EN: 1
; COMPUTE_PGM_RSRC2:TGID_Y_EN: 0
; COMPUTE_PGM_RSRC2:TGID_Z_EN: 0
; COMPUTE_PGM_RSRC2:TIDIG_COMP_CNT: 0
	.section	.text._ZN2at6native12_GLOBAL__N_125multi_tensor_apply_kernelINS1_18TensorListMetadataILi4EEENS1_32PointwiseOpScalar0dTensorFunctorIN3c107complexIfEELi4ELi2ELi3EEEJSt10multipliesIS8_ES8_EEEvT_T0_DpT1_,"axG",@progbits,_ZN2at6native12_GLOBAL__N_125multi_tensor_apply_kernelINS1_18TensorListMetadataILi4EEENS1_32PointwiseOpScalar0dTensorFunctorIN3c107complexIfEELi4ELi2ELi3EEEJSt10multipliesIS8_ES8_EEEvT_T0_DpT1_,comdat
	.globl	_ZN2at6native12_GLOBAL__N_125multi_tensor_apply_kernelINS1_18TensorListMetadataILi4EEENS1_32PointwiseOpScalar0dTensorFunctorIN3c107complexIfEELi4ELi2ELi3EEEJSt10multipliesIS8_ES8_EEEvT_T0_DpT1_ ; -- Begin function _ZN2at6native12_GLOBAL__N_125multi_tensor_apply_kernelINS1_18TensorListMetadataILi4EEENS1_32PointwiseOpScalar0dTensorFunctorIN3c107complexIfEELi4ELi2ELi3EEEJSt10multipliesIS8_ES8_EEEvT_T0_DpT1_
	.p2align	8
	.type	_ZN2at6native12_GLOBAL__N_125multi_tensor_apply_kernelINS1_18TensorListMetadataILi4EEENS1_32PointwiseOpScalar0dTensorFunctorIN3c107complexIfEELi4ELi2ELi3EEEJSt10multipliesIS8_ES8_EEEvT_T0_DpT1_,@function
_ZN2at6native12_GLOBAL__N_125multi_tensor_apply_kernelINS1_18TensorListMetadataILi4EEENS1_32PointwiseOpScalar0dTensorFunctorIN3c107complexIfEELi4ELi2ELi3EEEJSt10multipliesIS8_ES8_EEEvT_T0_DpT1_: ; @_ZN2at6native12_GLOBAL__N_125multi_tensor_apply_kernelINS1_18TensorListMetadataILi4EEENS1_32PointwiseOpScalar0dTensorFunctorIN3c107complexIfEELi4ELi2ELi3EEEJSt10multipliesIS8_ES8_EEEvT_T0_DpT1_
; %bb.0:
	v_mov_b32_e32 v1, s6
	global_load_ubyte v1, v1, s[4:5] offset:1440
	s_add_u32 s0, s4, s6
	s_mul_hi_u32 s1, s6, 3
	s_mul_i32 s6, s6, 3
	s_addc_u32 s2, s5, 0
	s_add_u32 s0, s0, s6
	s_addc_u32 s1, s2, s1
	s_load_dword s0, s[0:1], 0x6e0
	s_mov_b32 s3, 0
	s_mov_b32 s19, s3
	s_waitcnt lgkmcnt(0)
	s_ashr_i32 s1, s0, 31
	s_lshl_b64 s[14:15], s[0:1], 19
	s_waitcnt vmcnt(0)
	v_readfirstlane_b32 s2, v1
	s_lshl_b32 s2, s2, 3
	s_load_dwordx2 s[8:9], s[4:5], s2 offset:0x0
	s_load_dwordx2 s[12:13], s[4:5], s2 offset:0x120
	s_load_dwordx2 s[6:7], s[4:5], 0xbf0
	s_load_dwordx2 s[20:21], s[4:5], s2 offset:0x480
	s_load_dwordx2 s[16:17], s[4:5], s2 offset:0x240
	;; [unrolled: 1-line block ×3, first 2 shown]
	s_waitcnt lgkmcnt(0)
	s_add_u32 s8, s8, s14
	s_addc_u32 s9, s9, s15
	s_add_u32 s2, s12, s14
	s_and_b32 s2, s2, 31
	s_load_dwordx2 s[10:11], s[12:13], 0x0
	s_add_u32 s12, s16, s14
	s_addc_u32 s13, s17, s15
	s_add_u32 s14, s22, s14
	s_addc_u32 s15, s23, s15
	s_or_b32 s16, s14, s12
	s_and_b32 s16, s16, 31
	s_cmp_lg_u32 s16, 0
	s_cselect_b64 s[16:17], -1, 0
	s_lshl_b64 s[0:1], s[0:1], 16
	s_and_b32 s18, s8, 31
	s_cmp_lg_u64 s[2:3], 0
	s_cselect_b64 s[22:23], -1, 0
	s_or_b64 s[22:23], s[16:17], s[22:23]
	s_sub_u32 s16, s20, s0
	s_subb_u32 s17, s21, s1
	s_and_b32 s2, s20, 3
	s_or_b64 s[0:1], s[18:19], s[2:3]
	s_cmp_lg_u64 s[0:1], 0
	s_cselect_b64 s[0:1], -1, 0
	s_or_b64 s[0:1], s[22:23], s[0:1]
	s_andn2_b64 vcc, exec, s[0:1]
	s_mov_b64 s[0:1], -1
	s_cbranch_vccz .LBB19_5
; %bb.1:
	v_mov_b32_e32 v1, 0x10000
	v_mov_b32_e32 v2, 0
	v_cmp_lt_i64_e32 vcc, s[16:17], v[1:2]
	v_mov_b32_e32 v2, 0
	s_and_b64 s[0:1], vcc, exec
	s_cselect_b32 s19, s17, 0
	s_cselect_b32 s18, s16, 0x10000
	v_lshlrev_b32_e32 v1, 2, v0
	v_cmp_gt_i64_e32 vcc, s[18:19], v[1:2]
	s_and_saveexec_b64 s[20:21], vcc
	s_cbranch_execz .LBB19_4
; %bb.2:
	s_load_dword s22, s[4:5], 0xc04
	s_and_b32 s2, s7, 0x7fffffff
	v_mov_b32_e32 v1, v2
	s_cmp_eq_u32 s2, 0
	v_cmp_eq_f32_e64 s[0:1], s6, 1.0
	s_cselect_b64 s[2:3], -1, 0
	s_waitcnt lgkmcnt(0)
	s_and_b32 s30, s22, 0xffff
	v_mov_b32_e32 v2, v1
	s_and_b64 vcc, s[0:1], s[2:3]
	v_lshlrev_b32_e32 v3, 5, v0
	s_lshl_b32 s31, s30, 5
	s_mov_b64 s[22:23], 0
	s_mov_b64 s[24:25], s[12:13]
	;; [unrolled: 1-line block ×4, first 2 shown]
	v_mov_b32_e32 v1, v0
.LBB19_3:                               ; =>This Inner Loop Header: Depth=1
	v_mov_b32_e32 v5, s25
	v_add_co_u32_e64 v20, s[0:1], s24, v3
	v_mov_b32_e32 v4, s27
	v_add_co_u32_e64 v22, s[2:3], s26, v3
	v_addc_co_u32_e64 v21, s[0:1], 0, v5, s[0:1]
	v_addc_co_u32_e64 v23, s[2:3], 0, v4, s[2:3]
	global_load_dwordx4 v[4:7], v[20:21], off
	global_load_dwordx4 v[8:11], v[20:21], off offset:16
	global_load_dwordx4 v[12:15], v[22:23], off
	global_load_dwordx4 v[16:19], v[22:23], off offset:16
	v_add_co_u32_e64 v1, s[2:3], s30, v1
	v_addc_co_u32_e64 v2, s[2:3], 0, v2, s[2:3]
	v_mov_b32_e32 v21, s29
	s_waitcnt vmcnt(3)
	v_mul_f32_e32 v20, s11, v5
	v_mul_f32_e32 v22, s10, v5
	;; [unrolled: 1-line block ×4, first 2 shown]
	v_fma_f32 v23, v4, s10, -v20
	v_fmac_f32_e32 v22, s11, v4
	v_fma_f32 v24, v6, s10, -v5
	v_fmac_f32_e32 v7, s11, v6
	s_waitcnt vmcnt(2)
	v_mul_f32_e32 v4, s11, v9
	v_mul_f32_e32 v6, s10, v9
	;; [unrolled: 1-line block ×4, first 2 shown]
	v_fma_f32 v11, v8, s10, -v4
	v_fmac_f32_e32 v6, s11, v8
	v_fma_f32 v8, v10, s10, -v5
	v_add_co_u32_e64 v20, s[0:1], s28, v3
	v_lshlrev_b64 v[4:5], 2, v[1:2]
	v_addc_co_u32_e64 v21, s[0:1], 0, v21, s[0:1]
	s_add_u32 s28, s28, s31
	v_cmp_le_i64_e64 s[0:1], s[18:19], v[4:5]
	v_mul_f32_e32 v4, s7, v22
	v_mul_f32_e32 v5, s7, v23
	s_addc_u32 s29, s29, 0
	v_fma_f32 v4, v23, s6, -v4
	v_fmac_f32_e32 v5, s6, v22
	v_fmac_f32_e32 v9, s11, v10
	s_add_u32 s26, s26, s31
	v_mul_f32_e32 v10, s7, v7
	v_cndmask_b32_e32 v4, v4, v23, vcc
	v_mul_f32_e32 v23, s7, v24
	v_cndmask_b32_e32 v5, v5, v22, vcc
	v_mul_f32_e32 v22, s7, v6
	s_addc_u32 s27, s27, 0
	v_fma_f32 v10, v24, s6, -v10
	v_fmac_f32_e32 v23, s6, v7
	v_fma_f32 v22, v11, s6, -v22
	s_add_u32 s24, s24, s31
	v_cndmask_b32_e32 v10, v10, v24, vcc
	v_mul_f32_e32 v24, s7, v11
	v_cndmask_b32_e32 v7, v23, v7, vcc
	v_mul_f32_e32 v23, s7, v9
	;; [unrolled: 2-line block ×3, first 2 shown]
	s_addc_u32 s25, s25, 0
	v_fmac_f32_e32 v24, s6, v6
	v_fma_f32 v23, v8, s6, -v23
	v_fmac_f32_e32 v22, s6, v9
	s_or_b64 s[22:23], s[0:1], s[22:23]
	v_cndmask_b32_e32 v24, v24, v6, vcc
	v_cndmask_b32_e32 v23, v23, v8, vcc
	;; [unrolled: 1-line block ×3, first 2 shown]
	s_waitcnt vmcnt(1)
	v_add_f32_e32 v4, v12, v4
	v_add_f32_e32 v5, v13, v5
	;; [unrolled: 1-line block ×4, first 2 shown]
	s_waitcnt vmcnt(0)
	v_add_f32_e32 v8, v16, v11
	v_add_f32_e32 v9, v17, v24
	;; [unrolled: 1-line block ×4, first 2 shown]
	global_store_dwordx4 v[20:21], v[4:7], off
	global_store_dwordx4 v[20:21], v[8:11], off offset:16
	s_andn2_b64 exec, exec, s[22:23]
	s_cbranch_execnz .LBB19_3
.LBB19_4:
	s_or_b64 exec, exec, s[20:21]
	s_mov_b64 s[0:1], 0
.LBB19_5:
	s_andn2_b64 vcc, exec, s[0:1]
	s_cbranch_vccnz .LBB19_25
; %bb.6:
	v_cmp_lt_i64_e64 s[0:1], s[16:17], 1
	s_and_b64 vcc, exec, s[0:1]
	s_cbranch_vccnz .LBB19_25
; %bb.7:
	v_mov_b32_e32 v1, 0x10000
	s_load_dword s4, s[4:5], 0xc04
	v_mov_b32_e32 v2, 0
	v_cmp_lt_i64_e32 vcc, s[16:17], v[1:2]
	s_and_b64 s[0:1], vcc, exec
	s_cselect_b32 s3, s17, 0
	s_cselect_b32 s2, s16, 0x10000
	s_waitcnt lgkmcnt(0)
	s_and_b32 s20, s4, 0xffff
	s_and_b32 s4, s7, 0x7fffffff
	s_cmp_eq_u32 s4, 0
	v_cmp_eq_f32_e64 s[0:1], s6, 1.0
	s_cselect_b64 s[4:5], -1, 0
	v_cmp_lt_u64_e32 vcc, s[16:17], v[1:2]
	s_and_b64 s[0:1], s[0:1], s[4:5]
	s_and_b64 s[4:5], vcc, exec
	s_cselect_b32 s5, s17, 0
	s_cselect_b32 s4, s16, 0x10000
	s_lshl_b32 s21, s20, 1
	s_mul_i32 s22, s20, 3
	s_lshl_b32 s23, s20, 2
	s_mov_b64 s[16:17], 0
	s_branch .LBB19_9
.LBB19_8:                               ;   in Loop: Header=BB19_9 Depth=1
	s_or_b64 exec, exec, s[18:19]
	s_add_u32 s16, s16, s23
	v_mov_b32_e32 v1, s2
	s_addc_u32 s17, s17, 0
	v_mov_b32_e32 v2, s3
	v_cmp_ge_i64_e32 vcc, s[16:17], v[1:2]
	s_cbranch_vccnz .LBB19_25
.LBB19_9:                               ; =>This Inner Loop Header: Depth=1
	v_mov_b32_e32 v2, s17
	v_add_co_u32_e32 v1, vcc, s16, v0
	v_addc_co_u32_e32 v2, vcc, 0, v2, vcc
	v_cmp_gt_i64_e32 vcc, s[2:3], v[1:2]
	s_waitcnt vmcnt(0)
	v_mov_b32_e32 v12, 0
	v_mov_b32_e32 v11, 0
	;; [unrolled: 1-line block ×4, first 2 shown]
	s_and_saveexec_b64 s[18:19], vcc
	s_cbranch_execz .LBB19_11
; %bb.10:                               ;   in Loop: Header=BB19_9 Depth=1
	v_lshlrev_b64 v[3:4], 3, v[1:2]
	v_mov_b32_e32 v6, s13
	v_add_co_u32_e32 v5, vcc, s12, v3
	v_addc_co_u32_e32 v6, vcc, v6, v4, vcc
	v_mov_b32_e32 v7, s9
	v_add_co_u32_e32 v3, vcc, s8, v3
	v_addc_co_u32_e32 v4, vcc, v7, v4, vcc
	global_load_dwordx2 v[7:8], v[3:4], off
	global_load_dwordx2 v[11:12], v[5:6], off
.LBB19_11:                              ;   in Loop: Header=BB19_9 Depth=1
	s_or_b64 exec, exec, s[18:19]
	v_add_co_u32_e32 v5, vcc, s20, v1
	v_addc_co_u32_e32 v6, vcc, 0, v2, vcc
	v_cmp_gt_i64_e32 vcc, s[2:3], v[5:6]
	v_mov_b32_e32 v4, 0
	v_mov_b32_e32 v18, 0
	;; [unrolled: 1-line block ×5, first 2 shown]
	s_and_saveexec_b64 s[18:19], vcc
	s_cbranch_execz .LBB19_13
; %bb.12:                               ;   in Loop: Header=BB19_9 Depth=1
	v_lshlrev_b64 v[9:10], 3, v[5:6]
	v_mov_b32_e32 v3, s13
	v_add_co_u32_e32 v15, vcc, s12, v9
	v_addc_co_u32_e32 v16, vcc, v3, v10, vcc
	v_mov_b32_e32 v3, s9
	v_add_co_u32_e32 v9, vcc, s8, v9
	v_addc_co_u32_e32 v10, vcc, v3, v10, vcc
	global_load_dwordx2 v[13:14], v[9:10], off
	global_load_dwordx2 v[17:18], v[15:16], off
.LBB19_13:                              ;   in Loop: Header=BB19_9 Depth=1
	s_or_b64 exec, exec, s[18:19]
	v_add_co_u32_e32 v9, vcc, s21, v1
	v_addc_co_u32_e32 v10, vcc, 0, v2, vcc
	v_cmp_gt_i64_e32 vcc, s[2:3], v[9:10]
	v_mov_b32_e32 v3, 0
	v_mov_b32_e32 v20, 0
	;; [unrolled: 1-line block ×3, first 2 shown]
	s_and_saveexec_b64 s[18:19], vcc
	s_cbranch_execz .LBB19_15
; %bb.14:                               ;   in Loop: Header=BB19_9 Depth=1
	v_lshlrev_b64 v[3:4], 3, v[9:10]
	v_mov_b32_e32 v16, s13
	v_add_co_u32_e32 v15, vcc, s12, v3
	v_addc_co_u32_e32 v16, vcc, v16, v4, vcc
	v_mov_b32_e32 v19, s9
	v_add_co_u32_e32 v21, vcc, s8, v3
	v_addc_co_u32_e32 v22, vcc, v19, v4, vcc
	global_load_dwordx2 v[19:20], v[21:22], off
	global_load_dwordx2 v[3:4], v[15:16], off
.LBB19_15:                              ;   in Loop: Header=BB19_9 Depth=1
	s_or_b64 exec, exec, s[18:19]
	v_add_co_u32_e32 v15, vcc, s22, v1
	v_addc_co_u32_e32 v16, vcc, 0, v2, vcc
	v_cmp_gt_i64_e32 vcc, s[2:3], v[15:16]
	v_mov_b32_e32 v24, 0
	v_mov_b32_e32 v23, 0
	;; [unrolled: 1-line block ×4, first 2 shown]
	s_and_saveexec_b64 s[18:19], vcc
	s_cbranch_execnz .LBB19_20
; %bb.16:                               ;   in Loop: Header=BB19_9 Depth=1
	s_or_b64 exec, exec, s[18:19]
	v_cmp_gt_u64_e32 vcc, s[4:5], v[1:2]
	s_and_saveexec_b64 s[18:19], vcc
	s_cbranch_execnz .LBB19_21
.LBB19_17:                              ;   in Loop: Header=BB19_9 Depth=1
	s_or_b64 exec, exec, s[18:19]
	v_cmp_gt_u64_e32 vcc, s[4:5], v[5:6]
	s_and_saveexec_b64 s[18:19], vcc
	s_cbranch_execnz .LBB19_22
.LBB19_18:                              ;   in Loop: Header=BB19_9 Depth=1
	s_or_b64 exec, exec, s[18:19]
	v_cmp_gt_u64_e32 vcc, s[4:5], v[9:10]
	s_and_saveexec_b64 s[18:19], vcc
	s_cbranch_execnz .LBB19_23
.LBB19_19:                              ;   in Loop: Header=BB19_9 Depth=1
	s_or_b64 exec, exec, s[18:19]
	v_cmp_gt_u64_e32 vcc, s[4:5], v[15:16]
	s_and_saveexec_b64 s[18:19], vcc
	s_cbranch_execz .LBB19_8
	s_branch .LBB19_24
.LBB19_20:                              ;   in Loop: Header=BB19_9 Depth=1
	v_lshlrev_b64 v[21:22], 3, v[15:16]
	v_mov_b32_e32 v24, s13
	v_add_co_u32_e32 v23, vcc, s12, v21
	v_addc_co_u32_e32 v24, vcc, v24, v22, vcc
	v_mov_b32_e32 v25, s9
	v_add_co_u32_e32 v21, vcc, s8, v21
	v_addc_co_u32_e32 v22, vcc, v25, v22, vcc
	global_load_dwordx2 v[21:22], v[21:22], off
	s_nop 0
	global_load_dwordx2 v[23:24], v[23:24], off
	s_or_b64 exec, exec, s[18:19]
	v_cmp_gt_u64_e32 vcc, s[4:5], v[1:2]
	s_and_saveexec_b64 s[18:19], vcc
	s_cbranch_execz .LBB19_17
.LBB19_21:                              ;   in Loop: Header=BB19_9 Depth=1
	s_waitcnt vmcnt(0)
	v_mul_f32_e32 v25, s11, v11
	v_fmac_f32_e32 v25, s10, v12
	v_mul_f32_e32 v12, s11, v12
	v_fma_f32 v11, v11, s10, -v12
	v_mul_f32_e32 v12, s7, v11
	v_fmac_f32_e32 v12, s6, v25
	v_cndmask_b32_e64 v12, v12, v25, s[0:1]
	v_add_f32_e32 v8, v8, v12
	v_mul_f32_e32 v12, s7, v25
	v_fma_f32 v12, v11, s6, -v12
	v_lshlrev_b64 v[1:2], 3, v[1:2]
	v_cndmask_b32_e64 v11, v12, v11, s[0:1]
	v_add_f32_e32 v7, v7, v11
	v_mov_b32_e32 v11, s15
	v_add_co_u32_e32 v1, vcc, s14, v1
	v_addc_co_u32_e32 v2, vcc, v11, v2, vcc
	global_store_dwordx2 v[1:2], v[7:8], off
	s_or_b64 exec, exec, s[18:19]
	v_cmp_gt_u64_e32 vcc, s[4:5], v[5:6]
	s_and_saveexec_b64 s[18:19], vcc
	s_cbranch_execz .LBB19_18
.LBB19_22:                              ;   in Loop: Header=BB19_9 Depth=1
	s_waitcnt vmcnt(0)
	v_mul_f32_e32 v1, s11, v18
	v_mul_f32_e32 v2, s11, v17
	v_fma_f32 v1, v17, s10, -v1
	v_fmac_f32_e32 v2, s10, v18
	v_mul_f32_e32 v7, s7, v2
	v_mul_f32_e32 v8, s7, v1
	v_lshlrev_b64 v[5:6], 3, v[5:6]
	v_fma_f32 v7, v1, s6, -v7
	v_fmac_f32_e32 v8, s6, v2
	v_cndmask_b32_e64 v1, v7, v1, s[0:1]
	v_cndmask_b32_e64 v2, v8, v2, s[0:1]
	v_mov_b32_e32 v7, s15
	v_add_co_u32_e32 v5, vcc, s14, v5
	v_add_f32_e32 v1, v13, v1
	v_add_f32_e32 v2, v14, v2
	v_addc_co_u32_e32 v6, vcc, v7, v6, vcc
	global_store_dwordx2 v[5:6], v[1:2], off
	s_or_b64 exec, exec, s[18:19]
	v_cmp_gt_u64_e32 vcc, s[4:5], v[9:10]
	s_and_saveexec_b64 s[18:19], vcc
	s_cbranch_execz .LBB19_19
.LBB19_23:                              ;   in Loop: Header=BB19_9 Depth=1
	s_waitcnt vmcnt(0)
	v_mul_f32_e32 v1, s11, v4
	v_mul_f32_e32 v2, s11, v3
	v_fma_f32 v1, v3, s10, -v1
	v_fmac_f32_e32 v2, s10, v4
	v_mul_f32_e32 v3, s7, v2
	v_mul_f32_e32 v4, s7, v1
	v_fma_f32 v3, v1, s6, -v3
	v_fmac_f32_e32 v4, s6, v2
	v_cndmask_b32_e64 v1, v3, v1, s[0:1]
	v_cndmask_b32_e64 v2, v4, v2, s[0:1]
	v_lshlrev_b64 v[3:4], 3, v[9:10]
	v_mov_b32_e32 v5, s15
	v_add_co_u32_e32 v3, vcc, s14, v3
	v_add_f32_e32 v1, v19, v1
	v_add_f32_e32 v2, v20, v2
	v_addc_co_u32_e32 v4, vcc, v5, v4, vcc
	global_store_dwordx2 v[3:4], v[1:2], off
	s_or_b64 exec, exec, s[18:19]
	v_cmp_gt_u64_e32 vcc, s[4:5], v[15:16]
	s_and_saveexec_b64 s[18:19], vcc
	s_cbranch_execz .LBB19_8
.LBB19_24:                              ;   in Loop: Header=BB19_9 Depth=1
	s_waitcnt vmcnt(0)
	v_mul_f32_e32 v1, s11, v24
	v_mul_f32_e32 v2, s11, v23
	v_fma_f32 v1, v23, s10, -v1
	v_fmac_f32_e32 v2, s10, v24
	v_mul_f32_e32 v3, s7, v2
	v_mul_f32_e32 v4, s7, v1
	v_fma_f32 v3, v1, s6, -v3
	v_fmac_f32_e32 v4, s6, v2
	v_cndmask_b32_e64 v1, v3, v1, s[0:1]
	v_cndmask_b32_e64 v2, v4, v2, s[0:1]
	v_lshlrev_b64 v[3:4], 3, v[15:16]
	v_mov_b32_e32 v5, s15
	v_add_co_u32_e32 v3, vcc, s14, v3
	v_add_f32_e32 v1, v21, v1
	v_add_f32_e32 v2, v22, v2
	v_addc_co_u32_e32 v4, vcc, v5, v4, vcc
	global_store_dwordx2 v[3:4], v[1:2], off
	s_branch .LBB19_8
.LBB19_25:
	s_endpgm
	.section	.rodata,"a",@progbits
	.p2align	6, 0x0
	.amdhsa_kernel _ZN2at6native12_GLOBAL__N_125multi_tensor_apply_kernelINS1_18TensorListMetadataILi4EEENS1_32PointwiseOpScalar0dTensorFunctorIN3c107complexIfEELi4ELi2ELi3EEEJSt10multipliesIS8_ES8_EEEvT_T0_DpT1_
		.amdhsa_group_segment_fixed_size 0
		.amdhsa_private_segment_fixed_size 0
		.amdhsa_kernarg_size 3320
		.amdhsa_user_sgpr_count 6
		.amdhsa_user_sgpr_private_segment_buffer 1
		.amdhsa_user_sgpr_dispatch_ptr 0
		.amdhsa_user_sgpr_queue_ptr 0
		.amdhsa_user_sgpr_kernarg_segment_ptr 1
		.amdhsa_user_sgpr_dispatch_id 0
		.amdhsa_user_sgpr_flat_scratch_init 0
		.amdhsa_user_sgpr_private_segment_size 0
		.amdhsa_uses_dynamic_stack 0
		.amdhsa_system_sgpr_private_segment_wavefront_offset 0
		.amdhsa_system_sgpr_workgroup_id_x 1
		.amdhsa_system_sgpr_workgroup_id_y 0
		.amdhsa_system_sgpr_workgroup_id_z 0
		.amdhsa_system_sgpr_workgroup_info 0
		.amdhsa_system_vgpr_workitem_id 0
		.amdhsa_next_free_vgpr 26
		.amdhsa_next_free_sgpr 32
		.amdhsa_reserve_vcc 1
		.amdhsa_reserve_flat_scratch 0
		.amdhsa_float_round_mode_32 0
		.amdhsa_float_round_mode_16_64 0
		.amdhsa_float_denorm_mode_32 3
		.amdhsa_float_denorm_mode_16_64 3
		.amdhsa_dx10_clamp 1
		.amdhsa_ieee_mode 1
		.amdhsa_fp16_overflow 0
		.amdhsa_exception_fp_ieee_invalid_op 0
		.amdhsa_exception_fp_denorm_src 0
		.amdhsa_exception_fp_ieee_div_zero 0
		.amdhsa_exception_fp_ieee_overflow 0
		.amdhsa_exception_fp_ieee_underflow 0
		.amdhsa_exception_fp_ieee_inexact 0
		.amdhsa_exception_int_div_zero 0
	.end_amdhsa_kernel
	.section	.text._ZN2at6native12_GLOBAL__N_125multi_tensor_apply_kernelINS1_18TensorListMetadataILi4EEENS1_32PointwiseOpScalar0dTensorFunctorIN3c107complexIfEELi4ELi2ELi3EEEJSt10multipliesIS8_ES8_EEEvT_T0_DpT1_,"axG",@progbits,_ZN2at6native12_GLOBAL__N_125multi_tensor_apply_kernelINS1_18TensorListMetadataILi4EEENS1_32PointwiseOpScalar0dTensorFunctorIN3c107complexIfEELi4ELi2ELi3EEEJSt10multipliesIS8_ES8_EEEvT_T0_DpT1_,comdat
.Lfunc_end19:
	.size	_ZN2at6native12_GLOBAL__N_125multi_tensor_apply_kernelINS1_18TensorListMetadataILi4EEENS1_32PointwiseOpScalar0dTensorFunctorIN3c107complexIfEELi4ELi2ELi3EEEJSt10multipliesIS8_ES8_EEEvT_T0_DpT1_, .Lfunc_end19-_ZN2at6native12_GLOBAL__N_125multi_tensor_apply_kernelINS1_18TensorListMetadataILi4EEENS1_32PointwiseOpScalar0dTensorFunctorIN3c107complexIfEELi4ELi2ELi3EEEJSt10multipliesIS8_ES8_EEEvT_T0_DpT1_
                                        ; -- End function
	.set _ZN2at6native12_GLOBAL__N_125multi_tensor_apply_kernelINS1_18TensorListMetadataILi4EEENS1_32PointwiseOpScalar0dTensorFunctorIN3c107complexIfEELi4ELi2ELi3EEEJSt10multipliesIS8_ES8_EEEvT_T0_DpT1_.num_vgpr, 26
	.set _ZN2at6native12_GLOBAL__N_125multi_tensor_apply_kernelINS1_18TensorListMetadataILi4EEENS1_32PointwiseOpScalar0dTensorFunctorIN3c107complexIfEELi4ELi2ELi3EEEJSt10multipliesIS8_ES8_EEEvT_T0_DpT1_.num_agpr, 0
	.set _ZN2at6native12_GLOBAL__N_125multi_tensor_apply_kernelINS1_18TensorListMetadataILi4EEENS1_32PointwiseOpScalar0dTensorFunctorIN3c107complexIfEELi4ELi2ELi3EEEJSt10multipliesIS8_ES8_EEEvT_T0_DpT1_.numbered_sgpr, 32
	.set _ZN2at6native12_GLOBAL__N_125multi_tensor_apply_kernelINS1_18TensorListMetadataILi4EEENS1_32PointwiseOpScalar0dTensorFunctorIN3c107complexIfEELi4ELi2ELi3EEEJSt10multipliesIS8_ES8_EEEvT_T0_DpT1_.num_named_barrier, 0
	.set _ZN2at6native12_GLOBAL__N_125multi_tensor_apply_kernelINS1_18TensorListMetadataILi4EEENS1_32PointwiseOpScalar0dTensorFunctorIN3c107complexIfEELi4ELi2ELi3EEEJSt10multipliesIS8_ES8_EEEvT_T0_DpT1_.private_seg_size, 0
	.set _ZN2at6native12_GLOBAL__N_125multi_tensor_apply_kernelINS1_18TensorListMetadataILi4EEENS1_32PointwiseOpScalar0dTensorFunctorIN3c107complexIfEELi4ELi2ELi3EEEJSt10multipliesIS8_ES8_EEEvT_T0_DpT1_.uses_vcc, 1
	.set _ZN2at6native12_GLOBAL__N_125multi_tensor_apply_kernelINS1_18TensorListMetadataILi4EEENS1_32PointwiseOpScalar0dTensorFunctorIN3c107complexIfEELi4ELi2ELi3EEEJSt10multipliesIS8_ES8_EEEvT_T0_DpT1_.uses_flat_scratch, 0
	.set _ZN2at6native12_GLOBAL__N_125multi_tensor_apply_kernelINS1_18TensorListMetadataILi4EEENS1_32PointwiseOpScalar0dTensorFunctorIN3c107complexIfEELi4ELi2ELi3EEEJSt10multipliesIS8_ES8_EEEvT_T0_DpT1_.has_dyn_sized_stack, 0
	.set _ZN2at6native12_GLOBAL__N_125multi_tensor_apply_kernelINS1_18TensorListMetadataILi4EEENS1_32PointwiseOpScalar0dTensorFunctorIN3c107complexIfEELi4ELi2ELi3EEEJSt10multipliesIS8_ES8_EEEvT_T0_DpT1_.has_recursion, 0
	.set _ZN2at6native12_GLOBAL__N_125multi_tensor_apply_kernelINS1_18TensorListMetadataILi4EEENS1_32PointwiseOpScalar0dTensorFunctorIN3c107complexIfEELi4ELi2ELi3EEEJSt10multipliesIS8_ES8_EEEvT_T0_DpT1_.has_indirect_call, 0
	.section	.AMDGPU.csdata,"",@progbits
; Kernel info:
; codeLenInByte = 1860
; TotalNumSgprs: 36
; NumVgprs: 26
; ScratchSize: 0
; MemoryBound: 0
; FloatMode: 240
; IeeeMode: 1
; LDSByteSize: 0 bytes/workgroup (compile time only)
; SGPRBlocks: 4
; VGPRBlocks: 6
; NumSGPRsForWavesPerEU: 36
; NumVGPRsForWavesPerEU: 26
; Occupancy: 9
; WaveLimiterHint : 0
; COMPUTE_PGM_RSRC2:SCRATCH_EN: 0
; COMPUTE_PGM_RSRC2:USER_SGPR: 6
; COMPUTE_PGM_RSRC2:TRAP_HANDLER: 0
; COMPUTE_PGM_RSRC2:TGID_X_EN: 1
; COMPUTE_PGM_RSRC2:TGID_Y_EN: 0
; COMPUTE_PGM_RSRC2:TGID_Z_EN: 0
; COMPUTE_PGM_RSRC2:TIDIG_COMP_CNT: 0
	.section	.text._ZN2at6native12_GLOBAL__N_125multi_tensor_apply_kernelINS1_18TensorListMetadataILi4EEENS1_32PointwiseOpScalar0dTensorFunctorIN3c104HalfELi4ELi2ELi3EEEJSt10multipliesIfEfEEEvT_T0_DpT1_,"axG",@progbits,_ZN2at6native12_GLOBAL__N_125multi_tensor_apply_kernelINS1_18TensorListMetadataILi4EEENS1_32PointwiseOpScalar0dTensorFunctorIN3c104HalfELi4ELi2ELi3EEEJSt10multipliesIfEfEEEvT_T0_DpT1_,comdat
	.globl	_ZN2at6native12_GLOBAL__N_125multi_tensor_apply_kernelINS1_18TensorListMetadataILi4EEENS1_32PointwiseOpScalar0dTensorFunctorIN3c104HalfELi4ELi2ELi3EEEJSt10multipliesIfEfEEEvT_T0_DpT1_ ; -- Begin function _ZN2at6native12_GLOBAL__N_125multi_tensor_apply_kernelINS1_18TensorListMetadataILi4EEENS1_32PointwiseOpScalar0dTensorFunctorIN3c104HalfELi4ELi2ELi3EEEJSt10multipliesIfEfEEEvT_T0_DpT1_
	.p2align	8
	.type	_ZN2at6native12_GLOBAL__N_125multi_tensor_apply_kernelINS1_18TensorListMetadataILi4EEENS1_32PointwiseOpScalar0dTensorFunctorIN3c104HalfELi4ELi2ELi3EEEJSt10multipliesIfEfEEEvT_T0_DpT1_,@function
_ZN2at6native12_GLOBAL__N_125multi_tensor_apply_kernelINS1_18TensorListMetadataILi4EEENS1_32PointwiseOpScalar0dTensorFunctorIN3c104HalfELi4ELi2ELi3EEEJSt10multipliesIfEfEEEvT_T0_DpT1_: ; @_ZN2at6native12_GLOBAL__N_125multi_tensor_apply_kernelINS1_18TensorListMetadataILi4EEENS1_32PointwiseOpScalar0dTensorFunctorIN3c104HalfELi4ELi2ELi3EEEJSt10multipliesIfEfEEEvT_T0_DpT1_
; %bb.0:
	v_mov_b32_e32 v1, s6
	global_load_ubyte v1, v1, s[4:5] offset:1440
	s_add_u32 s0, s4, s6
	s_mul_hi_u32 s1, s6, 3
	s_mul_i32 s6, s6, 3
	s_addc_u32 s2, s5, 0
	s_add_u32 s0, s0, s6
	s_addc_u32 s1, s2, s1
	s_load_dword s0, s[0:1], 0x6e0
	v_mov_b32_e32 v2, 0
	s_mov_b32 s15, 0
	s_mov_b32 s17, s15
	s_waitcnt vmcnt(0)
	v_readfirstlane_b32 s1, v1
	s_lshl_b32 s14, s1, 3
	s_load_dwordx2 s[2:3], s[4:5], s14 offset:0x120
	s_load_dwordx2 s[8:9], s[4:5], s14 offset:0x240
	;; [unrolled: 1-line block ×4, first 2 shown]
	s_waitcnt lgkmcnt(0)
	s_ashr_i32 s1, s0, 31
	s_lshl_b64 s[12:13], s[0:1], 17
	global_load_ushort v1, v2, s[2:3]
	s_mov_b32 s3, s15
	s_add_u32 s6, s6, s12
	s_addc_u32 s7, s7, s13
	s_add_u32 s2, s2, s12
	s_load_dword s26, s[4:5], 0xbec
	s_load_dwordx2 s[18:19], s[4:5], s14 offset:0x480
	s_and_b32 s14, s6, 7
	s_and_b32 s2, s2, 7
	s_cmp_lg_u64 s[2:3], 0
	s_cselect_b64 s[2:3], -1, 0
	s_add_u32 s8, s8, s12
	s_addc_u32 s9, s9, s13
	s_add_u32 s10, s10, s12
	s_addc_u32 s11, s11, s13
	s_or_b32 s12, s10, s8
	s_and_b32 s12, s12, 7
	s_cmp_lg_u32 s12, 0
	s_cselect_b64 s[12:13], -1, 0
	s_lshl_b64 s[0:1], s[0:1], 16
	s_or_b64 s[2:3], s[12:13], s[2:3]
	s_waitcnt lgkmcnt(0)
	s_sub_u32 s12, s18, s0
	s_subb_u32 s13, s19, s1
	s_and_b32 s16, s18, 3
	s_or_b64 s[0:1], s[14:15], s[16:17]
	s_cmp_lg_u64 s[0:1], 0
	s_cselect_b64 s[0:1], -1, 0
	s_or_b64 s[0:1], s[2:3], s[0:1]
	s_andn2_b64 vcc, exec, s[0:1]
	s_mov_b64 s[0:1], -1
	s_waitcnt vmcnt(0)
	v_cvt_f32_f16_e32 v9, v1
	s_cbranch_vccz .LBB20_5
; %bb.1:
	v_mov_b32_e32 v3, 0x10000
	v_mov_b32_e32 v4, 0
	v_cmp_lt_i64_e32 vcc, s[12:13], v[3:4]
	v_lshlrev_b32_e32 v1, 2, v0
	s_and_b64 s[0:1], vcc, exec
	s_cselect_b32 s15, s13, 0
	s_cselect_b32 s14, s12, 0x10000
	v_cmp_gt_i64_e32 vcc, s[14:15], v[1:2]
	s_and_saveexec_b64 s[16:17], vcc
	s_cbranch_execz .LBB20_4
; %bb.2:
	s_load_dword s0, s[4:5], 0xbfc
	v_mov_b32_e32 v1, v2
	v_mov_b32_e32 v2, v1
	v_cmp_eq_f32_e64 vcc, s26, 1.0
	v_lshlrev_b32_e32 v3, 3, v0
	s_waitcnt lgkmcnt(0)
	s_and_b32 s27, s0, 0xffff
	s_mov_b64 s[18:19], 0
	s_lshl_b32 s28, s27, 3
	s_mov_b64 s[20:21], s[8:9]
	s_mov_b64 s[22:23], s[6:7]
	s_mov_b64 s[24:25], s[10:11]
	v_mov_b32_e32 v1, v0
.LBB20_3:                               ; =>This Inner Loop Header: Depth=1
	v_mov_b32_e32 v5, s23
	v_mov_b32_e32 v8, s21
	v_add_co_u32_e64 v4, s[0:1], s20, v3
	v_add_co_u32_e64 v6, s[2:3], s22, v3
	v_addc_co_u32_e64 v7, s[2:3], 0, v5, s[2:3]
	v_addc_co_u32_e64 v5, s[0:1], 0, v8, s[0:1]
	global_load_dwordx2 v[10:11], v[4:5], off
	global_load_dwordx2 v[12:13], v[6:7], off
	v_add_co_u32_e64 v1, s[2:3], s27, v1
	v_addc_co_u32_e64 v2, s[2:3], 0, v2, s[2:3]
	v_mov_b32_e32 v5, s25
	v_add_co_u32_e64 v4, s[0:1], s24, v3
	v_lshlrev_b64 v[6:7], 2, v[1:2]
	v_addc_co_u32_e64 v5, s[0:1], 0, v5, s[0:1]
	v_cmp_le_i64_e64 s[0:1], s[14:15], v[6:7]
	s_add_u32 s24, s24, s28
	s_addc_u32 s25, s25, 0
	s_add_u32 s22, s22, s28
	s_addc_u32 s23, s23, 0
	;; [unrolled: 2-line block ×3, first 2 shown]
	s_or_b64 s[18:19], s[0:1], s[18:19]
	s_waitcnt vmcnt(1)
	v_cvt_f32_f16_e32 v6, v10
	v_cvt_f32_f16_sdwa v8, v10 dst_sel:DWORD dst_unused:UNUSED_PAD src0_sel:WORD_1
	v_cvt_f32_f16_e32 v14, v11
	v_cvt_f32_f16_sdwa v16, v11 dst_sel:DWORD dst_unused:UNUSED_PAD src0_sel:WORD_1
	v_mul_f32_e32 v6, v9, v6
	v_mul_f32_e32 v8, v9, v8
	;; [unrolled: 1-line block ×4, first 2 shown]
	s_waitcnt vmcnt(0)
	v_fma_mix_f32 v7, v9, v10, v12 op_sel_hi:[0,1,1]
	v_fma_mix_f32 v10, v9, v10, v12 op_sel:[0,1,1] op_sel_hi:[0,1,1]
	v_fma_mix_f32 v15, v9, v11, v13 op_sel_hi:[0,1,1]
	v_fma_mix_f32 v11, v9, v11, v13 op_sel:[0,1,1] op_sel_hi:[0,1,1]
	v_fma_mix_f32 v6, s26, v6, v12 op_sel_hi:[0,0,1]
	v_fma_mix_f32 v8, s26, v8, v12 op_sel:[0,0,1] op_sel_hi:[0,0,1]
	v_fma_mix_f32 v12, s26, v14, v13 op_sel_hi:[0,0,1]
	v_fma_mix_f32 v13, s26, v16, v13 op_sel:[0,0,1] op_sel_hi:[0,0,1]
	v_cndmask_b32_e32 v6, v6, v7, vcc
	v_cndmask_b32_e32 v7, v8, v10, vcc
	;; [unrolled: 1-line block ×4, first 2 shown]
	v_cvt_f16_f32_e32 v6, v6
	v_cvt_f16_f32_e32 v8, v8
	;; [unrolled: 1-line block ×4, first 2 shown]
	v_pack_b32_f16 v7, v8, v10
	v_pack_b32_f16 v6, v6, v11
	global_store_dwordx2 v[4:5], v[6:7], off
	s_andn2_b64 exec, exec, s[18:19]
	s_cbranch_execnz .LBB20_3
.LBB20_4:
	s_or_b64 exec, exec, s[16:17]
	s_mov_b64 s[0:1], 0
.LBB20_5:
	s_andn2_b64 vcc, exec, s[0:1]
	s_cbranch_vccnz .LBB20_25
; %bb.6:
	v_cmp_lt_i64_e64 s[0:1], s[12:13], 1
	s_and_b64 vcc, exec, s[0:1]
	s_cbranch_vccnz .LBB20_25
; %bb.7:
	v_mov_b32_e32 v1, 0x10000
	s_load_dword s4, s[4:5], 0xbfc
	v_mov_b32_e32 v2, 0
	v_cmp_lt_i64_e32 vcc, s[12:13], v[1:2]
	s_and_b64 s[0:1], vcc, exec
	v_cmp_lt_u64_e32 vcc, s[12:13], v[1:2]
	s_cselect_b32 s3, s13, 0
	s_cselect_b32 s2, s12, 0x10000
	s_waitcnt lgkmcnt(0)
	s_and_b32 s16, s4, 0xffff
	s_and_b64 s[4:5], vcc, exec
	v_cmp_eq_f32_e64 s[0:1], s26, 1.0
	s_cselect_b32 s5, s13, 0
	s_cselect_b32 s4, s12, 0x10000
	s_lshl_b32 s17, s16, 1
	s_mul_i32 s18, s16, 3
	s_lshl_b32 s19, s16, 2
	s_mov_b64 s[12:13], 0
	s_branch .LBB20_9
.LBB20_8:                               ;   in Loop: Header=BB20_9 Depth=1
	s_or_b64 exec, exec, s[14:15]
	s_add_u32 s12, s12, s19
	v_mov_b32_e32 v1, s2
	s_addc_u32 s13, s13, 0
	v_mov_b32_e32 v2, s3
	v_cmp_ge_i64_e32 vcc, s[12:13], v[1:2]
	s_cbranch_vccnz .LBB20_25
.LBB20_9:                               ; =>This Inner Loop Header: Depth=1
	v_mov_b32_e32 v2, s13
	v_add_co_u32_e32 v1, vcc, s12, v0
	v_addc_co_u32_e32 v2, vcc, 0, v2, vcc
	v_cmp_gt_i64_e32 vcc, s[2:3], v[1:2]
	v_mov_b32_e32 v12, 0
	v_mov_b32_e32 v10, 0
	s_and_saveexec_b64 s[14:15], vcc
	s_cbranch_execz .LBB20_11
; %bb.10:                               ;   in Loop: Header=BB20_9 Depth=1
	v_lshlrev_b64 v[3:4], 1, v[1:2]
	v_mov_b32_e32 v6, s7
	v_add_co_u32_e32 v5, vcc, s6, v3
	v_addc_co_u32_e32 v6, vcc, v6, v4, vcc
	v_mov_b32_e32 v7, s9
	v_add_co_u32_e32 v3, vcc, s8, v3
	v_addc_co_u32_e32 v4, vcc, v7, v4, vcc
	global_load_ushort v7, v[5:6], off
	global_load_ushort v8, v[3:4], off
	s_waitcnt vmcnt(1)
	v_cvt_f32_f16_e32 v10, v7
	s_waitcnt vmcnt(0)
	v_cvt_f32_f16_e32 v12, v8
.LBB20_11:                              ;   in Loop: Header=BB20_9 Depth=1
	s_or_b64 exec, exec, s[14:15]
	v_add_co_u32_e32 v3, vcc, s16, v1
	v_addc_co_u32_e32 v4, vcc, 0, v2, vcc
	v_cmp_gt_i64_e32 vcc, s[2:3], v[3:4]
	v_mov_b32_e32 v11, 0
	v_mov_b32_e32 v14, 0
	;; [unrolled: 1-line block ×3, first 2 shown]
	s_and_saveexec_b64 s[14:15], vcc
	s_cbranch_execz .LBB20_13
; %bb.12:                               ;   in Loop: Header=BB20_9 Depth=1
	v_lshlrev_b64 v[5:6], 1, v[3:4]
	v_mov_b32_e32 v8, s7
	v_add_co_u32_e32 v7, vcc, s6, v5
	v_addc_co_u32_e32 v8, vcc, v8, v6, vcc
	v_mov_b32_e32 v13, s9
	v_add_co_u32_e32 v5, vcc, s8, v5
	v_addc_co_u32_e32 v6, vcc, v13, v6, vcc
	global_load_ushort v13, v[7:8], off
	global_load_ushort v14, v[5:6], off
	s_waitcnt vmcnt(1)
	v_cvt_f32_f16_e32 v13, v13
	s_waitcnt vmcnt(0)
	v_cvt_f32_f16_e32 v14, v14
.LBB20_13:                              ;   in Loop: Header=BB20_9 Depth=1
	s_or_b64 exec, exec, s[14:15]
	v_add_co_u32_e32 v5, vcc, s17, v1
	v_addc_co_u32_e32 v6, vcc, 0, v2, vcc
	v_cmp_gt_i64_e32 vcc, s[2:3], v[5:6]
	v_mov_b32_e32 v15, 0
	s_and_saveexec_b64 s[14:15], vcc
	s_cbranch_execz .LBB20_15
; %bb.14:                               ;   in Loop: Header=BB20_9 Depth=1
	v_lshlrev_b64 v[7:8], 1, v[5:6]
	v_mov_b32_e32 v11, s7
	v_add_co_u32_e32 v15, vcc, s6, v7
	v_addc_co_u32_e32 v16, vcc, v11, v8, vcc
	v_mov_b32_e32 v11, s9
	v_add_co_u32_e32 v7, vcc, s8, v7
	v_addc_co_u32_e32 v8, vcc, v11, v8, vcc
	global_load_ushort v11, v[15:16], off
	global_load_ushort v17, v[7:8], off
	s_waitcnt vmcnt(1)
	v_cvt_f32_f16_e32 v15, v11
	s_waitcnt vmcnt(0)
	v_cvt_f32_f16_e32 v11, v17
.LBB20_15:                              ;   in Loop: Header=BB20_9 Depth=1
	s_or_b64 exec, exec, s[14:15]
	v_add_co_u32_e32 v7, vcc, s18, v1
	v_addc_co_u32_e32 v8, vcc, 0, v2, vcc
	v_cmp_gt_i64_e32 vcc, s[2:3], v[7:8]
	v_mov_b32_e32 v17, 0
	v_mov_b32_e32 v16, 0
	s_and_saveexec_b64 s[14:15], vcc
	s_cbranch_execnz .LBB20_20
; %bb.16:                               ;   in Loop: Header=BB20_9 Depth=1
	s_or_b64 exec, exec, s[14:15]
	v_cmp_gt_u64_e32 vcc, s[4:5], v[1:2]
	s_and_saveexec_b64 s[14:15], vcc
	s_cbranch_execnz .LBB20_21
.LBB20_17:                              ;   in Loop: Header=BB20_9 Depth=1
	s_or_b64 exec, exec, s[14:15]
	v_cmp_gt_u64_e32 vcc, s[4:5], v[3:4]
	s_and_saveexec_b64 s[14:15], vcc
	s_cbranch_execnz .LBB20_22
.LBB20_18:                              ;   in Loop: Header=BB20_9 Depth=1
	s_or_b64 exec, exec, s[14:15]
	v_cmp_gt_u64_e32 vcc, s[4:5], v[5:6]
	s_and_saveexec_b64 s[14:15], vcc
	s_cbranch_execnz .LBB20_23
.LBB20_19:                              ;   in Loop: Header=BB20_9 Depth=1
	s_or_b64 exec, exec, s[14:15]
	v_cmp_gt_u64_e32 vcc, s[4:5], v[7:8]
	s_and_saveexec_b64 s[14:15], vcc
	s_cbranch_execz .LBB20_8
	s_branch .LBB20_24
.LBB20_20:                              ;   in Loop: Header=BB20_9 Depth=1
	v_lshlrev_b64 v[16:17], 1, v[7:8]
	v_mov_b32_e32 v19, s7
	v_add_co_u32_e32 v18, vcc, s6, v16
	v_addc_co_u32_e32 v19, vcc, v19, v17, vcc
	v_mov_b32_e32 v20, s9
	v_add_co_u32_e32 v16, vcc, s8, v16
	v_addc_co_u32_e32 v17, vcc, v20, v17, vcc
	global_load_ushort v20, v[18:19], off
	global_load_ushort v21, v[16:17], off
	s_waitcnt vmcnt(1)
	v_cvt_f32_f16_e32 v16, v20
	s_waitcnt vmcnt(0)
	v_cvt_f32_f16_e32 v17, v21
	s_or_b64 exec, exec, s[14:15]
	v_cmp_gt_u64_e32 vcc, s[4:5], v[1:2]
	s_and_saveexec_b64 s[14:15], vcc
	s_cbranch_execz .LBB20_17
.LBB20_21:                              ;   in Loop: Header=BB20_9 Depth=1
	v_fma_f32 v19, v9, v12, v10
	v_mul_f32_e32 v12, v12, v9
	v_fmac_f32_e32 v10, s26, v12
	v_cndmask_b32_e64 v10, v10, v19, s[0:1]
	v_lshlrev_b64 v[1:2], 1, v[1:2]
	v_cvt_f16_f32_e32 v10, v10
	v_mov_b32_e32 v18, s11
	v_add_co_u32_e32 v1, vcc, s10, v1
	v_addc_co_u32_e32 v2, vcc, v18, v2, vcc
	global_store_short v[1:2], v10, off
	s_or_b64 exec, exec, s[14:15]
	v_cmp_gt_u64_e32 vcc, s[4:5], v[3:4]
	s_and_saveexec_b64 s[14:15], vcc
	s_cbranch_execz .LBB20_18
.LBB20_22:                              ;   in Loop: Header=BB20_9 Depth=1
	v_mul_f32_e32 v2, v14, v9
	v_fma_f32 v1, v9, v14, v13
	v_fmac_f32_e32 v13, s26, v2
	v_cndmask_b32_e64 v1, v13, v1, s[0:1]
	v_cvt_f16_f32_e32 v10, v1
	v_lshlrev_b64 v[1:2], 1, v[3:4]
	v_mov_b32_e32 v3, s11
	v_add_co_u32_e32 v1, vcc, s10, v1
	v_addc_co_u32_e32 v2, vcc, v3, v2, vcc
	global_store_short v[1:2], v10, off
	s_or_b64 exec, exec, s[14:15]
	v_cmp_gt_u64_e32 vcc, s[4:5], v[5:6]
	s_and_saveexec_b64 s[14:15], vcc
	s_cbranch_execz .LBB20_19
.LBB20_23:                              ;   in Loop: Header=BB20_9 Depth=1
	v_mul_f32_e32 v2, v11, v9
	v_fma_f32 v1, v9, v11, v15
	v_fmac_f32_e32 v15, s26, v2
	v_cndmask_b32_e64 v1, v15, v1, s[0:1]
	v_cvt_f16_f32_e32 v3, v1
	v_lshlrev_b64 v[1:2], 1, v[5:6]
	v_mov_b32_e32 v4, s11
	v_add_co_u32_e32 v1, vcc, s10, v1
	v_addc_co_u32_e32 v2, vcc, v4, v2, vcc
	global_store_short v[1:2], v3, off
	s_or_b64 exec, exec, s[14:15]
	v_cmp_gt_u64_e32 vcc, s[4:5], v[7:8]
	s_and_saveexec_b64 s[14:15], vcc
	s_cbranch_execz .LBB20_8
.LBB20_24:                              ;   in Loop: Header=BB20_9 Depth=1
	v_mul_f32_e32 v2, v17, v9
	v_fma_f32 v1, v9, v17, v16
	v_fmac_f32_e32 v16, s26, v2
	v_cndmask_b32_e64 v1, v16, v1, s[0:1]
	v_cvt_f16_f32_e32 v3, v1
	v_lshlrev_b64 v[1:2], 1, v[7:8]
	v_mov_b32_e32 v4, s11
	v_add_co_u32_e32 v1, vcc, s10, v1
	v_addc_co_u32_e32 v2, vcc, v4, v2, vcc
	global_store_short v[1:2], v3, off
	s_branch .LBB20_8
.LBB20_25:
	s_endpgm
	.section	.rodata,"a",@progbits
	.p2align	6, 0x0
	.amdhsa_kernel _ZN2at6native12_GLOBAL__N_125multi_tensor_apply_kernelINS1_18TensorListMetadataILi4EEENS1_32PointwiseOpScalar0dTensorFunctorIN3c104HalfELi4ELi2ELi3EEEJSt10multipliesIfEfEEEvT_T0_DpT1_
		.amdhsa_group_segment_fixed_size 0
		.amdhsa_private_segment_fixed_size 0
		.amdhsa_kernarg_size 3312
		.amdhsa_user_sgpr_count 6
		.amdhsa_user_sgpr_private_segment_buffer 1
		.amdhsa_user_sgpr_dispatch_ptr 0
		.amdhsa_user_sgpr_queue_ptr 0
		.amdhsa_user_sgpr_kernarg_segment_ptr 1
		.amdhsa_user_sgpr_dispatch_id 0
		.amdhsa_user_sgpr_flat_scratch_init 0
		.amdhsa_user_sgpr_private_segment_size 0
		.amdhsa_uses_dynamic_stack 0
		.amdhsa_system_sgpr_private_segment_wavefront_offset 0
		.amdhsa_system_sgpr_workgroup_id_x 1
		.amdhsa_system_sgpr_workgroup_id_y 0
		.amdhsa_system_sgpr_workgroup_id_z 0
		.amdhsa_system_sgpr_workgroup_info 0
		.amdhsa_system_vgpr_workitem_id 0
		.amdhsa_next_free_vgpr 22
		.amdhsa_next_free_sgpr 29
		.amdhsa_reserve_vcc 1
		.amdhsa_reserve_flat_scratch 0
		.amdhsa_float_round_mode_32 0
		.amdhsa_float_round_mode_16_64 0
		.amdhsa_float_denorm_mode_32 3
		.amdhsa_float_denorm_mode_16_64 3
		.amdhsa_dx10_clamp 1
		.amdhsa_ieee_mode 1
		.amdhsa_fp16_overflow 0
		.amdhsa_exception_fp_ieee_invalid_op 0
		.amdhsa_exception_fp_denorm_src 0
		.amdhsa_exception_fp_ieee_div_zero 0
		.amdhsa_exception_fp_ieee_overflow 0
		.amdhsa_exception_fp_ieee_underflow 0
		.amdhsa_exception_fp_ieee_inexact 0
		.amdhsa_exception_int_div_zero 0
	.end_amdhsa_kernel
	.section	.text._ZN2at6native12_GLOBAL__N_125multi_tensor_apply_kernelINS1_18TensorListMetadataILi4EEENS1_32PointwiseOpScalar0dTensorFunctorIN3c104HalfELi4ELi2ELi3EEEJSt10multipliesIfEfEEEvT_T0_DpT1_,"axG",@progbits,_ZN2at6native12_GLOBAL__N_125multi_tensor_apply_kernelINS1_18TensorListMetadataILi4EEENS1_32PointwiseOpScalar0dTensorFunctorIN3c104HalfELi4ELi2ELi3EEEJSt10multipliesIfEfEEEvT_T0_DpT1_,comdat
.Lfunc_end20:
	.size	_ZN2at6native12_GLOBAL__N_125multi_tensor_apply_kernelINS1_18TensorListMetadataILi4EEENS1_32PointwiseOpScalar0dTensorFunctorIN3c104HalfELi4ELi2ELi3EEEJSt10multipliesIfEfEEEvT_T0_DpT1_, .Lfunc_end20-_ZN2at6native12_GLOBAL__N_125multi_tensor_apply_kernelINS1_18TensorListMetadataILi4EEENS1_32PointwiseOpScalar0dTensorFunctorIN3c104HalfELi4ELi2ELi3EEEJSt10multipliesIfEfEEEvT_T0_DpT1_
                                        ; -- End function
	.set _ZN2at6native12_GLOBAL__N_125multi_tensor_apply_kernelINS1_18TensorListMetadataILi4EEENS1_32PointwiseOpScalar0dTensorFunctorIN3c104HalfELi4ELi2ELi3EEEJSt10multipliesIfEfEEEvT_T0_DpT1_.num_vgpr, 22
	.set _ZN2at6native12_GLOBAL__N_125multi_tensor_apply_kernelINS1_18TensorListMetadataILi4EEENS1_32PointwiseOpScalar0dTensorFunctorIN3c104HalfELi4ELi2ELi3EEEJSt10multipliesIfEfEEEvT_T0_DpT1_.num_agpr, 0
	.set _ZN2at6native12_GLOBAL__N_125multi_tensor_apply_kernelINS1_18TensorListMetadataILi4EEENS1_32PointwiseOpScalar0dTensorFunctorIN3c104HalfELi4ELi2ELi3EEEJSt10multipliesIfEfEEEvT_T0_DpT1_.numbered_sgpr, 29
	.set _ZN2at6native12_GLOBAL__N_125multi_tensor_apply_kernelINS1_18TensorListMetadataILi4EEENS1_32PointwiseOpScalar0dTensorFunctorIN3c104HalfELi4ELi2ELi3EEEJSt10multipliesIfEfEEEvT_T0_DpT1_.num_named_barrier, 0
	.set _ZN2at6native12_GLOBAL__N_125multi_tensor_apply_kernelINS1_18TensorListMetadataILi4EEENS1_32PointwiseOpScalar0dTensorFunctorIN3c104HalfELi4ELi2ELi3EEEJSt10multipliesIfEfEEEvT_T0_DpT1_.private_seg_size, 0
	.set _ZN2at6native12_GLOBAL__N_125multi_tensor_apply_kernelINS1_18TensorListMetadataILi4EEENS1_32PointwiseOpScalar0dTensorFunctorIN3c104HalfELi4ELi2ELi3EEEJSt10multipliesIfEfEEEvT_T0_DpT1_.uses_vcc, 1
	.set _ZN2at6native12_GLOBAL__N_125multi_tensor_apply_kernelINS1_18TensorListMetadataILi4EEENS1_32PointwiseOpScalar0dTensorFunctorIN3c104HalfELi4ELi2ELi3EEEJSt10multipliesIfEfEEEvT_T0_DpT1_.uses_flat_scratch, 0
	.set _ZN2at6native12_GLOBAL__N_125multi_tensor_apply_kernelINS1_18TensorListMetadataILi4EEENS1_32PointwiseOpScalar0dTensorFunctorIN3c104HalfELi4ELi2ELi3EEEJSt10multipliesIfEfEEEvT_T0_DpT1_.has_dyn_sized_stack, 0
	.set _ZN2at6native12_GLOBAL__N_125multi_tensor_apply_kernelINS1_18TensorListMetadataILi4EEENS1_32PointwiseOpScalar0dTensorFunctorIN3c104HalfELi4ELi2ELi3EEEJSt10multipliesIfEfEEEvT_T0_DpT1_.has_recursion, 0
	.set _ZN2at6native12_GLOBAL__N_125multi_tensor_apply_kernelINS1_18TensorListMetadataILi4EEENS1_32PointwiseOpScalar0dTensorFunctorIN3c104HalfELi4ELi2ELi3EEEJSt10multipliesIfEfEEEvT_T0_DpT1_.has_indirect_call, 0
	.section	.AMDGPU.csdata,"",@progbits
; Kernel info:
; codeLenInByte = 1592
; TotalNumSgprs: 33
; NumVgprs: 22
; ScratchSize: 0
; MemoryBound: 0
; FloatMode: 240
; IeeeMode: 1
; LDSByteSize: 0 bytes/workgroup (compile time only)
; SGPRBlocks: 4
; VGPRBlocks: 5
; NumSGPRsForWavesPerEU: 33
; NumVGPRsForWavesPerEU: 22
; Occupancy: 10
; WaveLimiterHint : 0
; COMPUTE_PGM_RSRC2:SCRATCH_EN: 0
; COMPUTE_PGM_RSRC2:USER_SGPR: 6
; COMPUTE_PGM_RSRC2:TRAP_HANDLER: 0
; COMPUTE_PGM_RSRC2:TGID_X_EN: 1
; COMPUTE_PGM_RSRC2:TGID_Y_EN: 0
; COMPUTE_PGM_RSRC2:TGID_Z_EN: 0
; COMPUTE_PGM_RSRC2:TIDIG_COMP_CNT: 0
	.section	.text._ZN2at6native12_GLOBAL__N_125multi_tensor_apply_kernelINS1_18TensorListMetadataILi4EEENS1_32PointwiseOpScalar0dTensorFunctorIN3c108BFloat16ELi4ELi2ELi3EEEJSt10multipliesIfEfEEEvT_T0_DpT1_,"axG",@progbits,_ZN2at6native12_GLOBAL__N_125multi_tensor_apply_kernelINS1_18TensorListMetadataILi4EEENS1_32PointwiseOpScalar0dTensorFunctorIN3c108BFloat16ELi4ELi2ELi3EEEJSt10multipliesIfEfEEEvT_T0_DpT1_,comdat
	.globl	_ZN2at6native12_GLOBAL__N_125multi_tensor_apply_kernelINS1_18TensorListMetadataILi4EEENS1_32PointwiseOpScalar0dTensorFunctorIN3c108BFloat16ELi4ELi2ELi3EEEJSt10multipliesIfEfEEEvT_T0_DpT1_ ; -- Begin function _ZN2at6native12_GLOBAL__N_125multi_tensor_apply_kernelINS1_18TensorListMetadataILi4EEENS1_32PointwiseOpScalar0dTensorFunctorIN3c108BFloat16ELi4ELi2ELi3EEEJSt10multipliesIfEfEEEvT_T0_DpT1_
	.p2align	8
	.type	_ZN2at6native12_GLOBAL__N_125multi_tensor_apply_kernelINS1_18TensorListMetadataILi4EEENS1_32PointwiseOpScalar0dTensorFunctorIN3c108BFloat16ELi4ELi2ELi3EEEJSt10multipliesIfEfEEEvT_T0_DpT1_,@function
_ZN2at6native12_GLOBAL__N_125multi_tensor_apply_kernelINS1_18TensorListMetadataILi4EEENS1_32PointwiseOpScalar0dTensorFunctorIN3c108BFloat16ELi4ELi2ELi3EEEJSt10multipliesIfEfEEEvT_T0_DpT1_: ; @_ZN2at6native12_GLOBAL__N_125multi_tensor_apply_kernelINS1_18TensorListMetadataILi4EEENS1_32PointwiseOpScalar0dTensorFunctorIN3c108BFloat16ELi4ELi2ELi3EEEJSt10multipliesIfEfEEEvT_T0_DpT1_
; %bb.0:
	v_mov_b32_e32 v1, s6
	global_load_ubyte v1, v1, s[4:5] offset:1440
	s_add_u32 s0, s4, s6
	s_mul_hi_u32 s1, s6, 3
	s_mul_i32 s6, s6, 3
	s_addc_u32 s2, s5, 0
	s_add_u32 s0, s0, s6
	s_addc_u32 s1, s2, s1
	s_load_dword s2, s[0:1], 0x6e0
	v_mov_b32_e32 v2, 0
	s_mov_b32 s17, 0
	s_mov_b32 s19, s17
	s_waitcnt lgkmcnt(0)
	s_ashr_i32 s3, s2, 31
	s_waitcnt vmcnt(0)
	v_readfirstlane_b32 s0, v1
	s_lshl_b32 s12, s0, 3
	s_load_dwordx2 s[6:7], s[4:5], s12 offset:0x120
	s_load_dwordx2 s[8:9], s[4:5], s12 offset:0x240
	;; [unrolled: 1-line block ×4, first 2 shown]
	s_lshl_b64 s[0:1], s[2:3], 17
	s_waitcnt lgkmcnt(0)
	global_load_ushort v1, v2, s[6:7]
	s_mov_b32 s7, s17
	s_add_u32 s23, s14, s0
	s_addc_u32 s24, s15, s1
	s_add_u32 s6, s6, s0
	s_and_b32 s16, s23, 7
	s_and_b32 s6, s6, 7
	s_cmp_lg_u64 s[6:7], 0
	s_cselect_b64 s[6:7], -1, 0
	s_add_u32 s25, s8, s0
	s_addc_u32 s26, s9, s1
	s_add_u32 s27, s10, s0
	s_load_dword s22, s[4:5], 0xbec
	s_load_dwordx2 s[20:21], s[4:5], s12 offset:0x480
	s_addc_u32 s28, s11, s1
	s_or_b32 s12, s27, s25
	s_and_b32 s12, s12, 7
	s_cmp_lg_u32 s12, 0
	s_cselect_b64 s[12:13], -1, 0
	s_lshl_b64 s[2:3], s[2:3], 16
	s_or_b64 s[6:7], s[12:13], s[6:7]
	s_waitcnt lgkmcnt(0)
	s_sub_u32 s12, s20, s2
	s_subb_u32 s13, s21, s3
	s_and_b32 s18, s20, 3
	s_or_b64 s[2:3], s[16:17], s[18:19]
	s_cmp_lg_u64 s[2:3], 0
	s_cselect_b64 s[2:3], -1, 0
	s_or_b64 s[2:3], s[6:7], s[2:3]
	s_andn2_b64 vcc, exec, s[2:3]
	s_mov_b64 s[2:3], -1
	s_waitcnt vmcnt(0)
	v_lshlrev_b32_e32 v13, 16, v1
	s_cbranch_vccz .LBB21_5
; %bb.1:
	v_mov_b32_e32 v3, 0x10000
	v_mov_b32_e32 v4, 0
	v_cmp_lt_i64_e32 vcc, s[12:13], v[3:4]
	v_lshlrev_b32_e32 v1, 2, v0
	s_and_b64 s[2:3], vcc, exec
	s_cselect_b32 s17, s13, 0
	s_cselect_b32 s16, s12, 0x10000
	v_cmp_gt_i64_e32 vcc, s[16:17], v[1:2]
	s_and_saveexec_b64 s[18:19], vcc
	s_cbranch_execz .LBB21_4
; %bb.2:
	s_load_dword s2, s[4:5], 0xbfc
	v_mov_b32_e32 v1, v2
	v_lshlrev_b32_e32 v2, 3, v0
	v_mov_b32_e32 v4, s1
	v_add_co_u32_e64 v3, s[0:1], s0, v2
	s_waitcnt lgkmcnt(0)
	s_and_b32 s29, s2, 0xffff
	v_mov_b32_e32 v2, v1
	v_cmp_eq_f32_e64 vcc, s22, 1.0
	v_addc_co_u32_e64 v4, s[0:1], 0, v4, s[0:1]
	s_lshl_b32 s30, s29, 3
	s_mov_b64 s[20:21], 0
	v_mov_b32_e32 v5, s15
	v_mov_b32_e32 v6, s9
	s_movk_i32 s9, 0x7fff
	v_mov_b32_e32 v7, 0x7fc0
	v_mov_b32_e32 v8, 0x7fc00000
	v_mov_b32_e32 v9, s11
	v_mov_b32_e32 v1, v0
.LBB21_3:                               ; =>This Inner Loop Header: Depth=1
	v_add_co_u32_e64 v10, s[0:1], s14, v3
	v_addc_co_u32_e64 v11, s[0:1], v5, v4, s[0:1]
	v_add_co_u32_e64 v14, s[0:1], s8, v3
	v_addc_co_u32_e64 v15, s[0:1], v6, v4, s[0:1]
	global_load_dwordx2 v[16:17], v[14:15], off
	global_load_dwordx2 v[18:19], v[10:11], off
	v_add_co_u32_e64 v1, s[0:1], s29, v1
	v_addc_co_u32_e64 v2, s[0:1], 0, v2, s[0:1]
	v_lshlrev_b64 v[10:11], 2, v[1:2]
	v_cmp_le_i64_e64 s[0:1], s[16:17], v[10:11]
	s_or_b64 s[20:21], s[0:1], s[20:21]
	s_waitcnt vmcnt(1)
	v_lshlrev_b32_e32 v10, 16, v16
	s_waitcnt vmcnt(0)
	v_lshlrev_b32_e32 v12, 16, v18
	v_and_b32_e32 v14, 0xffff0000, v18
	v_and_b32_e32 v11, 0xffff0000, v16
	v_alignbit_b32 v15, v19, v18, 16
	v_alignbit_b32 v16, v17, v16, 16
	v_and_b32_e32 v18, 0xffff0000, v19
	v_and_b32_e32 v17, 0xffff0000, v17
	v_fma_f32 v19, v13, v10, v12
	v_mul_f32_e32 v10, v13, v10
	v_fma_f32 v20, v13, v11, v14
	v_mul_f32_e32 v11, v13, v11
	v_and_b32_e32 v15, 0xffff0000, v15
	v_and_b32_e32 v16, 0xffff0000, v16
	v_fmac_f32_e32 v12, s22, v10
	v_fma_f32 v21, v13, v17, v18
	v_mul_f32_e32 v10, v13, v17
	v_fmac_f32_e32 v14, s22, v11
	v_fma_f32 v17, v13, v16, v15
	v_mul_f32_e32 v16, v13, v16
	v_fmac_f32_e32 v18, s22, v10
	v_add_co_u32_e64 v10, s[2:3], s10, v3
	v_cndmask_b32_e32 v12, v12, v19, vcc
	v_cndmask_b32_e32 v14, v14, v20, vcc
	v_fmac_f32_e32 v15, s22, v16
	v_addc_co_u32_e64 v11, s[2:3], v9, v4, s[2:3]
	v_cndmask_b32_e32 v16, v18, v21, vcc
	v_bfe_u32 v18, v12, 16, 1
	v_bfe_u32 v19, v14, 16, 1
	v_cndmask_b32_e32 v15, v15, v17, vcc
	v_add_co_u32_e64 v3, s[2:3], s30, v3
	v_bfe_u32 v17, v16, 16, 1
	v_add3_u32 v18, v12, v18, s9
	v_add3_u32 v19, v14, v19, s9
	v_bfe_u32 v20, v15, 16, 1
	v_addc_co_u32_e64 v4, s[2:3], 0, v4, s[2:3]
	v_add3_u32 v17, v16, v17, s9
	v_lshrrev_b32_e32 v18, 16, v18
	v_and_b32_e32 v19, 0xffff0000, v19
	v_cmp_o_f32_e64 s[0:1], v14, v14
	v_add3_u32 v14, v15, v20, s9
	v_cmp_o_f32_e64 s[6:7], v12, v12
	v_and_b32_e32 v17, 0xffff0000, v17
	v_cmp_o_f32_e64 s[2:3], v16, v16
	v_cndmask_b32_e64 v12, v7, v18, s[6:7]
	v_cndmask_b32_e64 v16, v8, v19, s[0:1]
	v_lshrrev_b32_e32 v14, 16, v14
	v_cmp_o_f32_e64 s[0:1], v15, v15
	v_cndmask_b32_e64 v15, v8, v17, s[2:3]
	v_or_b32_e32 v12, v12, v16
	v_cndmask_b32_e64 v14, v7, v14, s[0:1]
	v_or3_b32 v15, 0, v14, v15
	v_or3_b32 v14, v12, 0, 0
	global_store_dwordx2 v[10:11], v[14:15], off
	s_andn2_b64 exec, exec, s[20:21]
	s_cbranch_execnz .LBB21_3
.LBB21_4:
	s_or_b64 exec, exec, s[18:19]
	s_mov_b64 s[2:3], 0
.LBB21_5:
	s_andn2_b64 vcc, exec, s[2:3]
	s_cbranch_vccnz .LBB21_25
; %bb.6:
	v_cmp_lt_i64_e64 s[0:1], s[12:13], 1
	s_and_b64 vcc, exec, s[0:1]
	s_cbranch_vccnz .LBB21_25
; %bb.7:
	v_mov_b32_e32 v1, 0x10000
	s_load_dword s4, s[4:5], 0xbfc
	v_mov_b32_e32 v2, 0
	v_cmp_lt_i64_e32 vcc, s[12:13], v[1:2]
	s_mov_b32 s10, 0
	s_and_b64 s[0:1], vcc, exec
	v_cmp_lt_u64_e32 vcc, s[12:13], v[1:2]
	s_cselect_b32 s3, s13, 0
	s_cselect_b32 s2, s12, 0x10000
	s_waitcnt lgkmcnt(0)
	s_and_b32 s11, s4, 0xffff
	s_and_b64 s[4:5], vcc, exec
	v_cmp_eq_f32_e64 s[0:1], s22, 1.0
	s_cselect_b32 s5, s13, 0
	s_cselect_b32 s4, s12, 0x10000
	s_lshl_b32 s12, s11, 1
	s_mul_i32 s13, s11, 3
	s_lshl_b32 s14, s11, 2
	s_mov_b64 s[6:7], 0
	s_movk_i32 s15, 0x7fff
	v_mov_b32_e32 v14, 0x7fc0
	s_branch .LBB21_9
.LBB21_8:                               ;   in Loop: Header=BB21_9 Depth=1
	s_or_b64 exec, exec, s[8:9]
	s_add_u32 s6, s6, s14
	v_mov_b32_e32 v1, s2
	s_addc_u32 s7, s7, 0
	v_mov_b32_e32 v2, s3
	v_cmp_ge_i64_e32 vcc, s[6:7], v[1:2]
	s_cbranch_vccnz .LBB21_25
.LBB21_9:                               ; =>This Inner Loop Header: Depth=1
	v_mov_b32_e32 v1, s7
	v_add_co_u32_e32 v5, vcc, s6, v0
	v_addc_co_u32_e32 v6, vcc, 0, v1, vcc
	v_cmp_gt_i64_e32 vcc, s[2:3], v[5:6]
	v_mov_b32_e32 v1, 0
	v_mov_b32_e32 v3, 0
	;; [unrolled: 1-line block ×4, first 2 shown]
	s_and_saveexec_b64 s[8:9], vcc
	s_cbranch_execz .LBB21_11
; %bb.10:                               ;   in Loop: Header=BB21_9 Depth=1
	v_lshlrev_b64 v[1:2], 1, v[5:6]
	v_mov_b32_e32 v4, s24
	v_add_co_u32_e32 v3, vcc, s23, v1
	v_addc_co_u32_e32 v4, vcc, v4, v2, vcc
	v_mov_b32_e32 v7, s26
	v_add_co_u32_e32 v1, vcc, s25, v1
	v_addc_co_u32_e32 v2, vcc, v7, v2, vcc
	global_load_ushort v7, v[3:4], off
	global_load_ushort v8, v[1:2], off
	v_mov_b32_e32 v4, s10
	v_mov_b32_e32 v2, s10
	s_waitcnt vmcnt(1)
	v_and_b32_e32 v3, 0xffff, v7
	s_waitcnt vmcnt(0)
	v_and_b32_e32 v1, 0xffff, v8
.LBB21_11:                              ;   in Loop: Header=BB21_9 Depth=1
	s_or_b64 exec, exec, s[8:9]
	v_add_co_u32_e32 v7, vcc, s11, v5
	v_addc_co_u32_e32 v8, vcc, 0, v6, vcc
	v_cmp_gt_i64_e32 vcc, s[2:3], v[7:8]
	s_and_saveexec_b64 s[8:9], vcc
	s_cbranch_execz .LBB21_13
; %bb.12:                               ;   in Loop: Header=BB21_9 Depth=1
	v_lshlrev_b64 v[9:10], 1, v[7:8]
	v_mov_b32_e32 v12, s26
	v_add_co_u32_e32 v11, vcc, s25, v9
	v_addc_co_u32_e32 v12, vcc, v12, v10, vcc
	v_mov_b32_e32 v15, s24
	v_add_co_u32_e32 v9, vcc, s23, v9
	v_addc_co_u32_e32 v10, vcc, v15, v10, vcc
	global_load_ushort v15, v[9:10], off
	global_load_ushort v16, v[11:12], off
	s_waitcnt vmcnt(1)
	v_lshl_or_b32 v3, v15, 16, v3
	s_waitcnt vmcnt(0)
	v_lshl_or_b32 v1, v16, 16, v1
.LBB21_13:                              ;   in Loop: Header=BB21_9 Depth=1
	s_or_b64 exec, exec, s[8:9]
	v_add_co_u32_e32 v9, vcc, s12, v5
	v_addc_co_u32_e32 v10, vcc, 0, v6, vcc
	v_cmp_gt_i64_e32 vcc, s[2:3], v[9:10]
	s_and_saveexec_b64 s[8:9], vcc
	s_cbranch_execz .LBB21_15
; %bb.14:                               ;   in Loop: Header=BB21_9 Depth=1
	v_lshlrev_b64 v[11:12], 1, v[9:10]
	v_mov_b32_e32 v16, s26
	v_add_co_u32_e32 v15, vcc, s25, v11
	v_addc_co_u32_e32 v16, vcc, v16, v12, vcc
	v_mov_b32_e32 v17, s24
	v_add_co_u32_e32 v11, vcc, s23, v11
	v_addc_co_u32_e32 v12, vcc, v17, v12, vcc
	global_load_ushort v17, v[11:12], off
	global_load_ushort v18, v[15:16], off
	s_waitcnt vmcnt(1)
	v_or_b32_e32 v4, v17, v4
	s_waitcnt vmcnt(0)
	v_or_b32_e32 v2, v18, v2
.LBB21_15:                              ;   in Loop: Header=BB21_9 Depth=1
	s_or_b64 exec, exec, s[8:9]
	v_add_co_u32_e32 v11, vcc, s13, v5
	v_addc_co_u32_e32 v12, vcc, 0, v6, vcc
	v_cmp_gt_i64_e32 vcc, s[2:3], v[11:12]
	s_and_saveexec_b64 s[8:9], vcc
	s_cbranch_execnz .LBB21_20
; %bb.16:                               ;   in Loop: Header=BB21_9 Depth=1
	s_or_b64 exec, exec, s[8:9]
	v_cmp_gt_u64_e32 vcc, s[4:5], v[5:6]
	s_and_saveexec_b64 s[8:9], vcc
	s_cbranch_execnz .LBB21_21
.LBB21_17:                              ;   in Loop: Header=BB21_9 Depth=1
	s_or_b64 exec, exec, s[8:9]
	v_cmp_gt_u64_e32 vcc, s[4:5], v[7:8]
	s_and_saveexec_b64 s[8:9], vcc
	s_cbranch_execnz .LBB21_22
.LBB21_18:                              ;   in Loop: Header=BB21_9 Depth=1
	s_or_b64 exec, exec, s[8:9]
	v_cmp_gt_u64_e32 vcc, s[4:5], v[9:10]
	s_and_saveexec_b64 s[8:9], vcc
	s_cbranch_execnz .LBB21_23
.LBB21_19:                              ;   in Loop: Header=BB21_9 Depth=1
	s_or_b64 exec, exec, s[8:9]
	v_cmp_gt_u64_e32 vcc, s[4:5], v[11:12]
	s_and_saveexec_b64 s[8:9], vcc
	s_cbranch_execz .LBB21_8
	s_branch .LBB21_24
.LBB21_20:                              ;   in Loop: Header=BB21_9 Depth=1
	v_lshlrev_b64 v[15:16], 1, v[11:12]
	v_mov_b32_e32 v18, s26
	v_add_co_u32_e32 v17, vcc, s25, v15
	v_addc_co_u32_e32 v18, vcc, v18, v16, vcc
	v_mov_b32_e32 v19, s24
	v_add_co_u32_e32 v15, vcc, s23, v15
	v_addc_co_u32_e32 v16, vcc, v19, v16, vcc
	global_load_ushort v19, v[15:16], off
	global_load_ushort v20, v[17:18], off
	s_waitcnt vmcnt(1)
	v_lshlrev_b32_e32 v15, 16, v19
	s_waitcnt vmcnt(0)
	v_lshlrev_b32_e32 v16, 16, v20
	v_or_b32_e32 v4, v15, v4
	v_or_b32_e32 v2, v16, v2
	s_or_b64 exec, exec, s[8:9]
	v_cmp_gt_u64_e32 vcc, s[4:5], v[5:6]
	s_and_saveexec_b64 s[8:9], vcc
	s_cbranch_execz .LBB21_17
.LBB21_21:                              ;   in Loop: Header=BB21_9 Depth=1
	v_lshlrev_b32_e32 v15, 16, v1
	v_lshlrev_b32_e32 v16, 16, v3
	v_fma_f32 v17, v13, v15, v16
	v_mul_f32_e32 v15, v13, v15
	v_lshlrev_b64 v[5:6], 1, v[5:6]
	v_fmac_f32_e32 v16, s22, v15
	v_cndmask_b32_e64 v15, v16, v17, s[0:1]
	v_mov_b32_e32 v17, s28
	v_add_co_u32_e32 v5, vcc, s27, v5
	v_bfe_u32 v16, v15, 16, 1
	v_addc_co_u32_e32 v6, vcc, v17, v6, vcc
	v_add3_u32 v16, v15, v16, s15
	v_cmp_o_f32_e32 vcc, v15, v15
	v_cndmask_b32_sdwa v15, v14, v16, vcc dst_sel:DWORD dst_unused:UNUSED_PAD src0_sel:DWORD src1_sel:WORD_1
	global_store_short v[5:6], v15, off
	s_or_b64 exec, exec, s[8:9]
	v_cmp_gt_u64_e32 vcc, s[4:5], v[7:8]
	s_and_saveexec_b64 s[8:9], vcc
	s_cbranch_execz .LBB21_18
.LBB21_22:                              ;   in Loop: Header=BB21_9 Depth=1
	v_and_b32_e32 v5, 0xffff0000, v3
	v_and_b32_e32 v6, 0xffff0000, v1
	v_fma_f32 v15, v13, v6, v5
	v_mul_f32_e32 v6, v13, v6
	v_fmac_f32_e32 v5, s22, v6
	v_cndmask_b32_e64 v5, v5, v15, s[0:1]
	v_bfe_u32 v6, v5, 16, 1
	v_add3_u32 v6, v5, v6, s15
	v_cmp_o_f32_e32 vcc, v5, v5
	v_cndmask_b32_sdwa v15, v14, v6, vcc dst_sel:DWORD dst_unused:UNUSED_PAD src0_sel:DWORD src1_sel:WORD_1
	v_lshlrev_b64 v[5:6], 1, v[7:8]
	v_mov_b32_e32 v7, s28
	v_add_co_u32_e32 v5, vcc, s27, v5
	v_addc_co_u32_e32 v6, vcc, v7, v6, vcc
	global_store_short v[5:6], v15, off
	s_or_b64 exec, exec, s[8:9]
	v_cmp_gt_u64_e32 vcc, s[4:5], v[9:10]
	s_and_saveexec_b64 s[8:9], vcc
	s_cbranch_execz .LBB21_19
.LBB21_23:                              ;   in Loop: Header=BB21_9 Depth=1
	v_alignbit_b32 v3, v4, v3, 16
	v_alignbit_b32 v1, v2, v1, 16
	v_and_b32_e32 v3, 0xffff0000, v3
	v_and_b32_e32 v1, 0xffff0000, v1
	v_fma_f32 v5, v13, v1, v3
	v_mul_f32_e32 v1, v13, v1
	v_fmac_f32_e32 v3, s22, v1
	v_cndmask_b32_e64 v1, v3, v5, s[0:1]
	v_bfe_u32 v3, v1, 16, 1
	v_lshlrev_b64 v[5:6], 1, v[9:10]
	v_add3_u32 v3, v1, v3, s15
	v_cmp_o_f32_e32 vcc, v1, v1
	v_cndmask_b32_sdwa v1, v14, v3, vcc dst_sel:DWORD dst_unused:UNUSED_PAD src0_sel:DWORD src1_sel:WORD_1
	v_mov_b32_e32 v3, s28
	v_add_co_u32_e32 v5, vcc, s27, v5
	v_addc_co_u32_e32 v6, vcc, v3, v6, vcc
	global_store_short v[5:6], v1, off
	s_or_b64 exec, exec, s[8:9]
	v_cmp_gt_u64_e32 vcc, s[4:5], v[11:12]
	s_and_saveexec_b64 s[8:9], vcc
	s_cbranch_execz .LBB21_8
.LBB21_24:                              ;   in Loop: Header=BB21_9 Depth=1
	v_and_b32_e32 v1, 0xffff0000, v4
	v_and_b32_e32 v2, 0xffff0000, v2
	v_fma_f32 v3, v13, v2, v1
	v_mul_f32_e32 v2, v13, v2
	v_fmac_f32_e32 v1, s22, v2
	v_cndmask_b32_e64 v1, v1, v3, s[0:1]
	v_bfe_u32 v2, v1, 16, 1
	v_add3_u32 v2, v1, v2, s15
	v_cmp_o_f32_e32 vcc, v1, v1
	v_cndmask_b32_sdwa v3, v14, v2, vcc dst_sel:DWORD dst_unused:UNUSED_PAD src0_sel:DWORD src1_sel:WORD_1
	v_lshlrev_b64 v[1:2], 1, v[11:12]
	v_mov_b32_e32 v4, s28
	v_add_co_u32_e32 v1, vcc, s27, v1
	v_addc_co_u32_e32 v2, vcc, v4, v2, vcc
	global_store_short v[1:2], v3, off
	s_branch .LBB21_8
.LBB21_25:
	s_endpgm
	.section	.rodata,"a",@progbits
	.p2align	6, 0x0
	.amdhsa_kernel _ZN2at6native12_GLOBAL__N_125multi_tensor_apply_kernelINS1_18TensorListMetadataILi4EEENS1_32PointwiseOpScalar0dTensorFunctorIN3c108BFloat16ELi4ELi2ELi3EEEJSt10multipliesIfEfEEEvT_T0_DpT1_
		.amdhsa_group_segment_fixed_size 0
		.amdhsa_private_segment_fixed_size 0
		.amdhsa_kernarg_size 3312
		.amdhsa_user_sgpr_count 6
		.amdhsa_user_sgpr_private_segment_buffer 1
		.amdhsa_user_sgpr_dispatch_ptr 0
		.amdhsa_user_sgpr_queue_ptr 0
		.amdhsa_user_sgpr_kernarg_segment_ptr 1
		.amdhsa_user_sgpr_dispatch_id 0
		.amdhsa_user_sgpr_flat_scratch_init 0
		.amdhsa_user_sgpr_private_segment_size 0
		.amdhsa_uses_dynamic_stack 0
		.amdhsa_system_sgpr_private_segment_wavefront_offset 0
		.amdhsa_system_sgpr_workgroup_id_x 1
		.amdhsa_system_sgpr_workgroup_id_y 0
		.amdhsa_system_sgpr_workgroup_id_z 0
		.amdhsa_system_sgpr_workgroup_info 0
		.amdhsa_system_vgpr_workitem_id 0
		.amdhsa_next_free_vgpr 22
		.amdhsa_next_free_sgpr 31
		.amdhsa_reserve_vcc 1
		.amdhsa_reserve_flat_scratch 0
		.amdhsa_float_round_mode_32 0
		.amdhsa_float_round_mode_16_64 0
		.amdhsa_float_denorm_mode_32 3
		.amdhsa_float_denorm_mode_16_64 3
		.amdhsa_dx10_clamp 1
		.amdhsa_ieee_mode 1
		.amdhsa_fp16_overflow 0
		.amdhsa_exception_fp_ieee_invalid_op 0
		.amdhsa_exception_fp_denorm_src 0
		.amdhsa_exception_fp_ieee_div_zero 0
		.amdhsa_exception_fp_ieee_overflow 0
		.amdhsa_exception_fp_ieee_underflow 0
		.amdhsa_exception_fp_ieee_inexact 0
		.amdhsa_exception_int_div_zero 0
	.end_amdhsa_kernel
	.section	.text._ZN2at6native12_GLOBAL__N_125multi_tensor_apply_kernelINS1_18TensorListMetadataILi4EEENS1_32PointwiseOpScalar0dTensorFunctorIN3c108BFloat16ELi4ELi2ELi3EEEJSt10multipliesIfEfEEEvT_T0_DpT1_,"axG",@progbits,_ZN2at6native12_GLOBAL__N_125multi_tensor_apply_kernelINS1_18TensorListMetadataILi4EEENS1_32PointwiseOpScalar0dTensorFunctorIN3c108BFloat16ELi4ELi2ELi3EEEJSt10multipliesIfEfEEEvT_T0_DpT1_,comdat
.Lfunc_end21:
	.size	_ZN2at6native12_GLOBAL__N_125multi_tensor_apply_kernelINS1_18TensorListMetadataILi4EEENS1_32PointwiseOpScalar0dTensorFunctorIN3c108BFloat16ELi4ELi2ELi3EEEJSt10multipliesIfEfEEEvT_T0_DpT1_, .Lfunc_end21-_ZN2at6native12_GLOBAL__N_125multi_tensor_apply_kernelINS1_18TensorListMetadataILi4EEENS1_32PointwiseOpScalar0dTensorFunctorIN3c108BFloat16ELi4ELi2ELi3EEEJSt10multipliesIfEfEEEvT_T0_DpT1_
                                        ; -- End function
	.set _ZN2at6native12_GLOBAL__N_125multi_tensor_apply_kernelINS1_18TensorListMetadataILi4EEENS1_32PointwiseOpScalar0dTensorFunctorIN3c108BFloat16ELi4ELi2ELi3EEEJSt10multipliesIfEfEEEvT_T0_DpT1_.num_vgpr, 22
	.set _ZN2at6native12_GLOBAL__N_125multi_tensor_apply_kernelINS1_18TensorListMetadataILi4EEENS1_32PointwiseOpScalar0dTensorFunctorIN3c108BFloat16ELi4ELi2ELi3EEEJSt10multipliesIfEfEEEvT_T0_DpT1_.num_agpr, 0
	.set _ZN2at6native12_GLOBAL__N_125multi_tensor_apply_kernelINS1_18TensorListMetadataILi4EEENS1_32PointwiseOpScalar0dTensorFunctorIN3c108BFloat16ELi4ELi2ELi3EEEJSt10multipliesIfEfEEEvT_T0_DpT1_.numbered_sgpr, 31
	.set _ZN2at6native12_GLOBAL__N_125multi_tensor_apply_kernelINS1_18TensorListMetadataILi4EEENS1_32PointwiseOpScalar0dTensorFunctorIN3c108BFloat16ELi4ELi2ELi3EEEJSt10multipliesIfEfEEEvT_T0_DpT1_.num_named_barrier, 0
	.set _ZN2at6native12_GLOBAL__N_125multi_tensor_apply_kernelINS1_18TensorListMetadataILi4EEENS1_32PointwiseOpScalar0dTensorFunctorIN3c108BFloat16ELi4ELi2ELi3EEEJSt10multipliesIfEfEEEvT_T0_DpT1_.private_seg_size, 0
	.set _ZN2at6native12_GLOBAL__N_125multi_tensor_apply_kernelINS1_18TensorListMetadataILi4EEENS1_32PointwiseOpScalar0dTensorFunctorIN3c108BFloat16ELi4ELi2ELi3EEEJSt10multipliesIfEfEEEvT_T0_DpT1_.uses_vcc, 1
	.set _ZN2at6native12_GLOBAL__N_125multi_tensor_apply_kernelINS1_18TensorListMetadataILi4EEENS1_32PointwiseOpScalar0dTensorFunctorIN3c108BFloat16ELi4ELi2ELi3EEEJSt10multipliesIfEfEEEvT_T0_DpT1_.uses_flat_scratch, 0
	.set _ZN2at6native12_GLOBAL__N_125multi_tensor_apply_kernelINS1_18TensorListMetadataILi4EEENS1_32PointwiseOpScalar0dTensorFunctorIN3c108BFloat16ELi4ELi2ELi3EEEJSt10multipliesIfEfEEEvT_T0_DpT1_.has_dyn_sized_stack, 0
	.set _ZN2at6native12_GLOBAL__N_125multi_tensor_apply_kernelINS1_18TensorListMetadataILi4EEENS1_32PointwiseOpScalar0dTensorFunctorIN3c108BFloat16ELi4ELi2ELi3EEEJSt10multipliesIfEfEEEvT_T0_DpT1_.has_recursion, 0
	.set _ZN2at6native12_GLOBAL__N_125multi_tensor_apply_kernelINS1_18TensorListMetadataILi4EEENS1_32PointwiseOpScalar0dTensorFunctorIN3c108BFloat16ELi4ELi2ELi3EEEJSt10multipliesIfEfEEEvT_T0_DpT1_.has_indirect_call, 0
	.section	.AMDGPU.csdata,"",@progbits
; Kernel info:
; codeLenInByte = 1988
; TotalNumSgprs: 35
; NumVgprs: 22
; ScratchSize: 0
; MemoryBound: 0
; FloatMode: 240
; IeeeMode: 1
; LDSByteSize: 0 bytes/workgroup (compile time only)
; SGPRBlocks: 4
; VGPRBlocks: 5
; NumSGPRsForWavesPerEU: 35
; NumVGPRsForWavesPerEU: 22
; Occupancy: 10
; WaveLimiterHint : 0
; COMPUTE_PGM_RSRC2:SCRATCH_EN: 0
; COMPUTE_PGM_RSRC2:USER_SGPR: 6
; COMPUTE_PGM_RSRC2:TRAP_HANDLER: 0
; COMPUTE_PGM_RSRC2:TGID_X_EN: 1
; COMPUTE_PGM_RSRC2:TGID_Y_EN: 0
; COMPUTE_PGM_RSRC2:TGID_Z_EN: 0
; COMPUTE_PGM_RSRC2:TIDIG_COMP_CNT: 0
	.section	.text._ZN2at6native12_GLOBAL__N_125multi_tensor_apply_kernelINS1_18TensorListMetadataILi3EEENS1_24PointwiseOpScalarFunctorIhLi3ELi3ELi0EEEJSt10multipliesIhEhEEEvT_T0_DpT1_,"axG",@progbits,_ZN2at6native12_GLOBAL__N_125multi_tensor_apply_kernelINS1_18TensorListMetadataILi3EEENS1_24PointwiseOpScalarFunctorIhLi3ELi3ELi0EEEJSt10multipliesIhEhEEEvT_T0_DpT1_,comdat
	.globl	_ZN2at6native12_GLOBAL__N_125multi_tensor_apply_kernelINS1_18TensorListMetadataILi3EEENS1_24PointwiseOpScalarFunctorIhLi3ELi3ELi0EEEJSt10multipliesIhEhEEEvT_T0_DpT1_ ; -- Begin function _ZN2at6native12_GLOBAL__N_125multi_tensor_apply_kernelINS1_18TensorListMetadataILi3EEENS1_24PointwiseOpScalarFunctorIhLi3ELi3ELi0EEEJSt10multipliesIhEhEEEvT_T0_DpT1_
	.p2align	8
	.type	_ZN2at6native12_GLOBAL__N_125multi_tensor_apply_kernelINS1_18TensorListMetadataILi3EEENS1_24PointwiseOpScalarFunctorIhLi3ELi3ELi0EEEJSt10multipliesIhEhEEEvT_T0_DpT1_,@function
_ZN2at6native12_GLOBAL__N_125multi_tensor_apply_kernelINS1_18TensorListMetadataILi3EEENS1_24PointwiseOpScalarFunctorIhLi3ELi3ELi0EEEJSt10multipliesIhEhEEEvT_T0_DpT1_: ; @_ZN2at6native12_GLOBAL__N_125multi_tensor_apply_kernelINS1_18TensorListMetadataILi3EEENS1_24PointwiseOpScalarFunctorIhLi3ELi3ELi0EEEJSt10multipliesIhEhEEEvT_T0_DpT1_
; %bb.0:
	v_mov_b32_e32 v1, s6
	global_load_ubyte v1, v1, s[4:5] offset:1536
	s_add_u32 s0, s4, s6
	s_mul_hi_u32 s1, s6, 3
	s_mul_i32 s6, s6, 3
	s_addc_u32 s2, s5, 0
	s_add_u32 s0, s0, s6
	s_addc_u32 s1, s2, s1
	s_load_dword s2, s[0:1], 0x740
	s_load_dword s28, s[4:5], 0xc48
	s_mov_b32 s1, 0
	s_waitcnt lgkmcnt(0)
	s_ashr_i32 s3, s2, 31
	s_lshl_b64 s[16:17], s[2:3], 16
	s_waitcnt vmcnt(0)
	v_readfirstlane_b32 s0, v1
	s_lshl_b32 s0, s0, 3
	s_load_dwordx2 s[10:11], s[4:5], s0 offset:0x0
	s_load_dwordx2 s[6:7], s[4:5], s0 offset:0x480
	;; [unrolled: 1-line block ×4, first 2 shown]
	s_waitcnt lgkmcnt(0)
	s_add_u32 s2, s10, s16
	s_addc_u32 s3, s11, s17
	s_add_u32 s0, s12, s16
	s_or_b32 s0, s14, s0
	s_and_b32 s0, s0, 3
	s_cmp_eq_u32 s0, 0
	s_cselect_b64 s[8:9], -1, 0
	s_sub_u32 s18, s6, s16
	s_subb_u32 s19, s7, s17
	s_or_b64 s[2:3], s[6:7], s[2:3]
	s_and_b32 s0, s2, 3
	s_cmp_eq_u64 s[0:1], 0
	s_cselect_b64 s[0:1], -1, 0
	s_and_b64 s[2:3], s[8:9], s[0:1]
	s_mov_b64 s[0:1], -1
	s_and_b64 vcc, exec, s[2:3]
	s_cbranch_vccnz .LBB22_29
; %bb.1:
	v_cmp_lt_i64_e64 s[0:1], s[18:19], 1
	s_and_b64 vcc, exec, s[0:1]
	s_cbranch_vccnz .LBB22_28
; %bb.2:
	v_mov_b32_e32 v1, 0x10000
	s_load_dword s2, s[4:5], 0xc5c
	v_mov_b32_e32 v2, 0
	v_cmp_lt_i64_e32 vcc, s[18:19], v[1:2]
	v_mov_b32_e32 v4, s11
	s_and_b64 s[0:1], vcc, exec
	v_cmp_lt_u64_e32 vcc, s[18:19], v[1:2]
	s_cselect_b32 s21, s19, 0
	s_cselect_b32 s20, s18, 0x10000
	s_waitcnt lgkmcnt(0)
	s_and_b32 s2, s2, 0xffff
	s_and_b64 s[0:1], vcc, exec
	v_mov_b32_e32 v1, s17
	v_add_co_u32_e32 v19, vcc, s16, v0
	s_cselect_b32 s23, s19, 0
	s_cselect_b32 s22, s18, 0x10000
	s_lshl_b32 s3, s2, 1
	s_mul_i32 s0, s2, 3
	s_lshl_b32 s29, s2, 2
	v_addc_co_u32_e32 v20, vcc, 0, v1, vcc
	v_mov_b32_e32 v2, s11
	v_add_co_u32_e32 v1, vcc, s10, v19
	s_add_u32 s1, s16, s0
	v_addc_co_u32_e32 v2, vcc, v2, v20, vcc
	s_addc_u32 s6, s17, 0
	v_mov_b32_e32 v3, s6
	v_add_co_u32_e32 v7, vcc, s1, v0
	v_addc_co_u32_e32 v8, vcc, 0, v3, vcc
	v_add_co_u32_e32 v3, vcc, s10, v7
	v_addc_co_u32_e32 v4, vcc, v4, v8, vcc
	v_mov_b32_e32 v6, s13
	v_add_co_u32_e32 v5, vcc, s12, v7
	v_addc_co_u32_e32 v6, vcc, v6, v8, vcc
	v_mov_b32_e32 v9, s15
	v_add_co_u32_e32 v7, vcc, s14, v7
	s_add_u32 s1, s16, s3
	v_addc_co_u32_e32 v8, vcc, v9, v8, vcc
	s_addc_u32 s6, s17, 0
	v_mov_b32_e32 v9, s6
	v_add_co_u32_e32 v13, vcc, s1, v0
	v_addc_co_u32_e32 v14, vcc, 0, v9, vcc
	v_mov_b32_e32 v10, s11
	v_add_co_u32_e32 v9, vcc, s10, v13
	v_addc_co_u32_e32 v10, vcc, v10, v14, vcc
	;; [unrolled: 3-line block ×6, first 2 shown]
	v_add_co_u32_e32 v23, vcc, s2, v19
	v_addc_co_u32_e32 v24, vcc, 0, v20, vcc
	v_mov_b32_e32 v20, s11
	v_add_co_u32_e32 v19, vcc, s10, v23
	v_addc_co_u32_e32 v20, vcc, v20, v24, vcc
	v_mov_b32_e32 v22, s13
	;; [unrolled: 3-line block ×3, first 2 shown]
	v_add_co_u32_e32 v23, vcc, s14, v23
	v_addc_co_u32_e32 v24, vcc, v25, v24, vcc
	v_add_co_u32_e32 v25, vcc, s0, v0
	v_addc_co_u32_e64 v26, s[0:1], 0, 0, vcc
	v_add_co_u32_e32 v27, vcc, s3, v0
	v_addc_co_u32_e64 v28, s[0:1], 0, 0, vcc
	v_add_co_u32_e32 v29, vcc, s2, v0
	s_mov_b64 s[24:25], 0
	s_lshr_b32 s30, s28, 16
	v_addc_co_u32_e64 v30, s[0:1], 0, 0, vcc
	s_branch .LBB22_4
.LBB22_3:                               ;   in Loop: Header=BB22_4 Depth=1
	s_or_b64 exec, exec, s[0:1]
	s_add_u32 s24, s24, s29
	s_waitcnt vmcnt(0)
	v_mov_b32_e32 v32, s21
	s_addc_u32 s25, s25, 0
	v_mov_b32_e32 v31, s20
	v_cmp_lt_i64_e32 vcc, s[24:25], v[31:32]
	s_cbranch_vccz .LBB22_28
.LBB22_4:                               ; =>This Inner Loop Header: Depth=1
	v_mov_b32_e32 v32, s25
	v_add_co_u32_e32 v31, vcc, s24, v0
	v_addc_co_u32_e32 v32, vcc, 0, v32, vcc
	v_cmp_gt_u64_e32 vcc, s[22:23], v[31:32]
	v_mov_b32_e32 v32, 0
	v_mov_b32_e32 v31, 0
	s_and_saveexec_b64 s[2:3], vcc
	s_cbranch_execz .LBB22_6
; %bb.5:                                ;   in Loop: Header=BB22_4 Depth=1
	v_mov_b32_e32 v31, s25
	v_add_co_u32_e64 v33, s[0:1], s24, v1
	v_addc_co_u32_e64 v34, s[0:1], v2, v31, s[0:1]
	v_add_co_u32_e64 v35, s[0:1], s24, v15
	v_addc_co_u32_e64 v36, s[0:1], v16, v31, s[0:1]
	global_load_ubyte v31, v[33:34], off
	global_load_ubyte v32, v[35:36], off
.LBB22_6:                               ;   in Loop: Header=BB22_4 Depth=1
	s_or_b64 exec, exec, s[2:3]
	v_mov_b32_e32 v33, 0
	v_mov_b32_e32 v34, 0
	s_and_saveexec_b64 s[2:3], vcc
	s_cbranch_execz .LBB22_8
; %bb.7:                                ;   in Loop: Header=BB22_4 Depth=1
	v_mov_b32_e32 v35, s25
	v_add_co_u32_e64 v34, s[0:1], s24, v17
	v_addc_co_u32_e64 v35, s[0:1], v18, v35, s[0:1]
	global_load_ubyte v34, v[34:35], off
.LBB22_8:                               ;   in Loop: Header=BB22_4 Depth=1
	s_or_b64 exec, exec, s[2:3]
	v_mov_b32_e32 v36, s25
	v_add_co_u32_e64 v35, s[0:1], s24, v29
	v_addc_co_u32_e64 v36, s[0:1], v30, v36, s[0:1]
	v_cmp_gt_u64_e64 s[0:1], s[22:23], v[35:36]
	v_mov_b32_e32 v35, 0
	s_and_saveexec_b64 s[6:7], s[0:1]
	s_cbranch_execz .LBB22_10
; %bb.9:                                ;   in Loop: Header=BB22_4 Depth=1
	v_mov_b32_e32 v33, s25
	v_add_co_u32_e64 v36, s[2:3], s24, v21
	v_addc_co_u32_e64 v37, s[2:3], v22, v33, s[2:3]
	v_add_co_u32_e64 v38, s[2:3], s24, v19
	v_addc_co_u32_e64 v39, s[2:3], v20, v33, s[2:3]
	global_load_ubyte v35, v[38:39], off
	global_load_ubyte v33, v[36:37], off
.LBB22_10:                              ;   in Loop: Header=BB22_4 Depth=1
	s_or_b64 exec, exec, s[6:7]
	v_mov_b32_e32 v36, 0
	v_mov_b32_e32 v37, 0
	s_and_saveexec_b64 s[6:7], s[0:1]
	s_cbranch_execz .LBB22_12
; %bb.11:                               ;   in Loop: Header=BB22_4 Depth=1
	v_mov_b32_e32 v38, s25
	v_add_co_u32_e64 v37, s[2:3], s24, v23
	v_addc_co_u32_e64 v38, s[2:3], v24, v38, s[2:3]
	global_load_ubyte v37, v[37:38], off
.LBB22_12:                              ;   in Loop: Header=BB22_4 Depth=1
	s_or_b64 exec, exec, s[6:7]
	v_mov_b32_e32 v39, s25
	v_add_co_u32_e64 v38, s[2:3], s24, v27
	v_addc_co_u32_e64 v39, s[2:3], v28, v39, s[2:3]
	v_cmp_gt_u64_e64 s[2:3], s[22:23], v[38:39]
	v_mov_b32_e32 v38, 0
	s_and_saveexec_b64 s[8:9], s[2:3]
	s_cbranch_execz .LBB22_14
; %bb.13:                               ;   in Loop: Header=BB22_4 Depth=1
	v_mov_b32_e32 v36, s25
	v_add_co_u32_e64 v39, s[6:7], s24, v11
	v_addc_co_u32_e64 v40, s[6:7], v12, v36, s[6:7]
	v_add_co_u32_e64 v41, s[6:7], s24, v9
	v_addc_co_u32_e64 v42, s[6:7], v10, v36, s[6:7]
	global_load_ubyte v38, v[41:42], off
	global_load_ubyte v36, v[39:40], off
.LBB22_14:                              ;   in Loop: Header=BB22_4 Depth=1
	s_or_b64 exec, exec, s[8:9]
	v_mov_b32_e32 v39, 0
	v_mov_b32_e32 v40, 0
	s_and_saveexec_b64 s[8:9], s[2:3]
	s_cbranch_execz .LBB22_16
; %bb.15:                               ;   in Loop: Header=BB22_4 Depth=1
	v_mov_b32_e32 v41, s25
	v_add_co_u32_e64 v40, s[6:7], s24, v13
	v_addc_co_u32_e64 v41, s[6:7], v14, v41, s[6:7]
	global_load_ubyte v40, v[40:41], off
.LBB22_16:                              ;   in Loop: Header=BB22_4 Depth=1
	s_or_b64 exec, exec, s[8:9]
	v_mov_b32_e32 v42, s25
	v_add_co_u32_e64 v41, s[6:7], s24, v25
	v_addc_co_u32_e64 v42, s[6:7], v26, v42, s[6:7]
	v_cmp_gt_u64_e64 s[6:7], s[22:23], v[41:42]
	v_mov_b32_e32 v41, 0
	s_and_saveexec_b64 s[26:27], s[6:7]
	s_cbranch_execnz .LBB22_22
; %bb.17:                               ;   in Loop: Header=BB22_4 Depth=1
	s_or_b64 exec, exec, s[26:27]
	v_mov_b32_e32 v42, 0
	s_and_saveexec_b64 s[26:27], s[6:7]
	s_cbranch_execnz .LBB22_23
.LBB22_18:                              ;   in Loop: Header=BB22_4 Depth=1
	s_or_b64 exec, exec, s[26:27]
	s_and_saveexec_b64 s[8:9], vcc
	s_cbranch_execnz .LBB22_24
.LBB22_19:                              ;   in Loop: Header=BB22_4 Depth=1
	s_or_b64 exec, exec, s[8:9]
	s_and_saveexec_b64 s[8:9], s[0:1]
	s_cbranch_execnz .LBB22_25
.LBB22_20:                              ;   in Loop: Header=BB22_4 Depth=1
	s_or_b64 exec, exec, s[8:9]
	s_and_saveexec_b64 s[0:1], s[2:3]
	s_cbranch_execnz .LBB22_26
.LBB22_21:                              ;   in Loop: Header=BB22_4 Depth=1
	s_or_b64 exec, exec, s[0:1]
	s_and_saveexec_b64 s[0:1], s[6:7]
	s_cbranch_execz .LBB22_3
	s_branch .LBB22_27
.LBB22_22:                              ;   in Loop: Header=BB22_4 Depth=1
	v_mov_b32_e32 v39, s25
	v_add_co_u32_e64 v42, s[8:9], s24, v5
	v_addc_co_u32_e64 v43, s[8:9], v6, v39, s[8:9]
	v_add_co_u32_e64 v44, s[8:9], s24, v3
	v_addc_co_u32_e64 v45, s[8:9], v4, v39, s[8:9]
	global_load_ubyte v41, v[44:45], off
	global_load_ubyte v39, v[42:43], off
	s_or_b64 exec, exec, s[26:27]
	v_mov_b32_e32 v42, 0
	s_and_saveexec_b64 s[26:27], s[6:7]
	s_cbranch_execz .LBB22_18
.LBB22_23:                              ;   in Loop: Header=BB22_4 Depth=1
	v_mov_b32_e32 v43, s25
	v_add_co_u32_e64 v42, s[8:9], s24, v7
	v_addc_co_u32_e64 v43, s[8:9], v8, v43, s[8:9]
	global_load_ubyte v42, v[42:43], off
	s_or_b64 exec, exec, s[26:27]
	s_and_saveexec_b64 s[8:9], vcc
	s_cbranch_execz .LBB22_19
.LBB22_24:                              ;   in Loop: Header=BB22_4 Depth=1
	s_waitcnt vmcnt(0)
	v_mul_lo_u16_e32 v32, s30, v32
	v_mad_legacy_u16 v34, v32, v34, v31
	v_mov_b32_e32 v32, s25
	v_add_co_u32_e32 v31, vcc, s24, v1
	v_addc_co_u32_e32 v32, vcc, v2, v32, vcc
	global_store_byte v[31:32], v34, off
	s_or_b64 exec, exec, s[8:9]
	s_and_saveexec_b64 s[8:9], s[0:1]
	s_cbranch_execz .LBB22_20
.LBB22_25:                              ;   in Loop: Header=BB22_4 Depth=1
	s_waitcnt vmcnt(0)
	v_mul_lo_u16_e32 v31, s30, v33
	v_mad_legacy_u16 v33, v31, v37, v35
	v_mov_b32_e32 v32, s25
	v_add_co_u32_e32 v31, vcc, s24, v19
	v_addc_co_u32_e32 v32, vcc, v20, v32, vcc
	global_store_byte v[31:32], v33, off
	s_or_b64 exec, exec, s[8:9]
	s_and_saveexec_b64 s[0:1], s[2:3]
	s_cbranch_execz .LBB22_21
.LBB22_26:                              ;   in Loop: Header=BB22_4 Depth=1
	s_waitcnt vmcnt(0)
	v_mul_lo_u16_e32 v31, s30, v36
	v_mad_legacy_u16 v33, v31, v40, v38
	v_mov_b32_e32 v32, s25
	v_add_co_u32_e32 v31, vcc, s24, v9
	v_addc_co_u32_e32 v32, vcc, v10, v32, vcc
	global_store_byte v[31:32], v33, off
	s_or_b64 exec, exec, s[0:1]
	s_and_saveexec_b64 s[0:1], s[6:7]
	s_cbranch_execz .LBB22_3
.LBB22_27:                              ;   in Loop: Header=BB22_4 Depth=1
	s_waitcnt vmcnt(0)
	v_mul_lo_u16_e32 v31, s30, v39
	v_mad_legacy_u16 v33, v31, v42, v41
	v_mov_b32_e32 v32, s25
	v_add_co_u32_e32 v31, vcc, s24, v3
	v_addc_co_u32_e32 v32, vcc, v4, v32, vcc
	global_store_byte v[31:32], v33, off
	s_branch .LBB22_3
.LBB22_28:
	s_mov_b64 s[0:1], 0
.LBB22_29:
	s_andn2_b64 vcc, exec, s[0:1]
	s_cbranch_vccnz .LBB22_33
; %bb.30:
	v_mov_b32_e32 v1, 0x10000
	v_mov_b32_e32 v2, 0
	v_cmp_lt_i64_e32 vcc, s[18:19], v[1:2]
	v_mov_b32_e32 v3, 0
	s_and_b64 s[0:1], vcc, exec
	s_cselect_b32 s1, s19, 0
	s_cselect_b32 s0, s18, 0x10000
	v_lshlrev_b32_e32 v2, 2, v0
	v_cmp_gt_i64_e32 vcc, s[0:1], v[2:3]
	s_and_saveexec_b64 s[2:3], vcc
	s_cbranch_execz .LBB22_33
; %bb.31:
	s_load_dword s2, s[4:5], 0xc5c
	v_mov_b32_e32 v1, v3
	v_mov_b32_e32 v3, s17
	v_add_co_u32_e32 v2, vcc, s16, v2
	s_waitcnt lgkmcnt(0)
	s_and_b32 s4, s2, 0xffff
	v_addc_co_u32_e32 v3, vcc, 0, v3, vcc
	s_lshl_b32 s5, s4, 2
	s_mov_b64 s[2:3], 0
	s_lshr_b32 s6, s28, 16
	v_mov_b32_e32 v4, s11
	v_mov_b32_e32 v5, s13
	;; [unrolled: 1-line block ×3, first 2 shown]
	s_mov_b32 s7, 0x6050400
.LBB22_32:                              ; =>This Inner Loop Header: Depth=1
	v_add_co_u32_e32 v7, vcc, s10, v2
	v_addc_co_u32_e32 v8, vcc, v4, v3, vcc
	v_add_co_u32_e32 v9, vcc, s12, v2
	v_addc_co_u32_e32 v10, vcc, v5, v3, vcc
	;; [unrolled: 2-line block ×3, first 2 shown]
	global_load_dword v13, v[9:10], off
	global_load_dword v14, v[7:8], off
	;; [unrolled: 1-line block ×3, first 2 shown]
	v_add_co_u32_e32 v0, vcc, s4, v0
	v_addc_co_u32_e32 v1, vcc, 0, v1, vcc
	v_add_co_u32_e32 v2, vcc, s5, v2
	v_lshlrev_b64 v[9:10], 2, v[0:1]
	v_addc_co_u32_e32 v3, vcc, 0, v3, vcc
	v_cmp_le_i64_e32 vcc, s[0:1], v[9:10]
	s_or_b64 s[2:3], vcc, s[2:3]
	s_waitcnt vmcnt(2)
	v_lshrrev_b32_e32 v11, 8, v13
	v_mul_lo_u16_e32 v9, s6, v13
	s_waitcnt vmcnt(1)
	v_lshrrev_b32_e32 v10, 8, v14
	s_waitcnt vmcnt(0)
	v_lshrrev_b32_e32 v12, 8, v15
	v_lshrrev_b32_e32 v16, 16, v14
	v_lshrrev_b32_e32 v17, 16, v15
	v_mul_lo_u16_sdwa v18, s6, v13 dst_sel:DWORD dst_unused:UNUSED_PAD src0_sel:DWORD src1_sel:WORD_1
	v_mul_lo_u16_e32 v11, s6, v11
	v_lshrrev_b32_e32 v19, 24, v14
	v_lshrrev_b32_e32 v20, 24, v15
	v_mul_lo_u16_sdwa v13, s6, v13 dst_sel:DWORD dst_unused:UNUSED_PAD src0_sel:DWORD src1_sel:BYTE_3
	v_mad_legacy_u16 v9, v9, v15, v14
	v_mad_legacy_u16 v14, v18, v17, v16
	;; [unrolled: 1-line block ×4, first 2 shown]
	v_and_b32_e32 v11, 0xff, v14
	v_and_b32_e32 v10, 0xff, v10
	v_lshlrev_b32_e32 v12, 24, v13
	v_lshlrev_b32_e32 v11, 16, v11
	v_perm_b32 v9, v10, v9, s7
	v_or3_b32 v9, v9, v11, v12
	global_store_dword v[7:8], v9, off
	s_andn2_b64 exec, exec, s[2:3]
	s_cbranch_execnz .LBB22_32
.LBB22_33:
	s_endpgm
	.section	.rodata,"a",@progbits
	.p2align	6, 0x0
	.amdhsa_kernel _ZN2at6native12_GLOBAL__N_125multi_tensor_apply_kernelINS1_18TensorListMetadataILi3EEENS1_24PointwiseOpScalarFunctorIhLi3ELi3ELi0EEEJSt10multipliesIhEhEEEvT_T0_DpT1_
		.amdhsa_group_segment_fixed_size 0
		.amdhsa_private_segment_fixed_size 0
		.amdhsa_kernarg_size 3408
		.amdhsa_user_sgpr_count 6
		.amdhsa_user_sgpr_private_segment_buffer 1
		.amdhsa_user_sgpr_dispatch_ptr 0
		.amdhsa_user_sgpr_queue_ptr 0
		.amdhsa_user_sgpr_kernarg_segment_ptr 1
		.amdhsa_user_sgpr_dispatch_id 0
		.amdhsa_user_sgpr_flat_scratch_init 0
		.amdhsa_user_sgpr_private_segment_size 0
		.amdhsa_uses_dynamic_stack 0
		.amdhsa_system_sgpr_private_segment_wavefront_offset 0
		.amdhsa_system_sgpr_workgroup_id_x 1
		.amdhsa_system_sgpr_workgroup_id_y 0
		.amdhsa_system_sgpr_workgroup_id_z 0
		.amdhsa_system_sgpr_workgroup_info 0
		.amdhsa_system_vgpr_workitem_id 0
		.amdhsa_next_free_vgpr 46
		.amdhsa_next_free_sgpr 31
		.amdhsa_reserve_vcc 1
		.amdhsa_reserve_flat_scratch 0
		.amdhsa_float_round_mode_32 0
		.amdhsa_float_round_mode_16_64 0
		.amdhsa_float_denorm_mode_32 3
		.amdhsa_float_denorm_mode_16_64 3
		.amdhsa_dx10_clamp 1
		.amdhsa_ieee_mode 1
		.amdhsa_fp16_overflow 0
		.amdhsa_exception_fp_ieee_invalid_op 0
		.amdhsa_exception_fp_denorm_src 0
		.amdhsa_exception_fp_ieee_div_zero 0
		.amdhsa_exception_fp_ieee_overflow 0
		.amdhsa_exception_fp_ieee_underflow 0
		.amdhsa_exception_fp_ieee_inexact 0
		.amdhsa_exception_int_div_zero 0
	.end_amdhsa_kernel
	.section	.text._ZN2at6native12_GLOBAL__N_125multi_tensor_apply_kernelINS1_18TensorListMetadataILi3EEENS1_24PointwiseOpScalarFunctorIhLi3ELi3ELi0EEEJSt10multipliesIhEhEEEvT_T0_DpT1_,"axG",@progbits,_ZN2at6native12_GLOBAL__N_125multi_tensor_apply_kernelINS1_18TensorListMetadataILi3EEENS1_24PointwiseOpScalarFunctorIhLi3ELi3ELi0EEEJSt10multipliesIhEhEEEvT_T0_DpT1_,comdat
.Lfunc_end22:
	.size	_ZN2at6native12_GLOBAL__N_125multi_tensor_apply_kernelINS1_18TensorListMetadataILi3EEENS1_24PointwiseOpScalarFunctorIhLi3ELi3ELi0EEEJSt10multipliesIhEhEEEvT_T0_DpT1_, .Lfunc_end22-_ZN2at6native12_GLOBAL__N_125multi_tensor_apply_kernelINS1_18TensorListMetadataILi3EEENS1_24PointwiseOpScalarFunctorIhLi3ELi3ELi0EEEJSt10multipliesIhEhEEEvT_T0_DpT1_
                                        ; -- End function
	.set _ZN2at6native12_GLOBAL__N_125multi_tensor_apply_kernelINS1_18TensorListMetadataILi3EEENS1_24PointwiseOpScalarFunctorIhLi3ELi3ELi0EEEJSt10multipliesIhEhEEEvT_T0_DpT1_.num_vgpr, 46
	.set _ZN2at6native12_GLOBAL__N_125multi_tensor_apply_kernelINS1_18TensorListMetadataILi3EEENS1_24PointwiseOpScalarFunctorIhLi3ELi3ELi0EEEJSt10multipliesIhEhEEEvT_T0_DpT1_.num_agpr, 0
	.set _ZN2at6native12_GLOBAL__N_125multi_tensor_apply_kernelINS1_18TensorListMetadataILi3EEENS1_24PointwiseOpScalarFunctorIhLi3ELi3ELi0EEEJSt10multipliesIhEhEEEvT_T0_DpT1_.numbered_sgpr, 31
	.set _ZN2at6native12_GLOBAL__N_125multi_tensor_apply_kernelINS1_18TensorListMetadataILi3EEENS1_24PointwiseOpScalarFunctorIhLi3ELi3ELi0EEEJSt10multipliesIhEhEEEvT_T0_DpT1_.num_named_barrier, 0
	.set _ZN2at6native12_GLOBAL__N_125multi_tensor_apply_kernelINS1_18TensorListMetadataILi3EEENS1_24PointwiseOpScalarFunctorIhLi3ELi3ELi0EEEJSt10multipliesIhEhEEEvT_T0_DpT1_.private_seg_size, 0
	.set _ZN2at6native12_GLOBAL__N_125multi_tensor_apply_kernelINS1_18TensorListMetadataILi3EEENS1_24PointwiseOpScalarFunctorIhLi3ELi3ELi0EEEJSt10multipliesIhEhEEEvT_T0_DpT1_.uses_vcc, 1
	.set _ZN2at6native12_GLOBAL__N_125multi_tensor_apply_kernelINS1_18TensorListMetadataILi3EEENS1_24PointwiseOpScalarFunctorIhLi3ELi3ELi0EEEJSt10multipliesIhEhEEEvT_T0_DpT1_.uses_flat_scratch, 0
	.set _ZN2at6native12_GLOBAL__N_125multi_tensor_apply_kernelINS1_18TensorListMetadataILi3EEENS1_24PointwiseOpScalarFunctorIhLi3ELi3ELi0EEEJSt10multipliesIhEhEEEvT_T0_DpT1_.has_dyn_sized_stack, 0
	.set _ZN2at6native12_GLOBAL__N_125multi_tensor_apply_kernelINS1_18TensorListMetadataILi3EEENS1_24PointwiseOpScalarFunctorIhLi3ELi3ELi0EEEJSt10multipliesIhEhEEEvT_T0_DpT1_.has_recursion, 0
	.set _ZN2at6native12_GLOBAL__N_125multi_tensor_apply_kernelINS1_18TensorListMetadataILi3EEENS1_24PointwiseOpScalarFunctorIhLi3ELi3ELi0EEEJSt10multipliesIhEhEEEvT_T0_DpT1_.has_indirect_call, 0
	.section	.AMDGPU.csdata,"",@progbits
; Kernel info:
; codeLenInByte = 1760
; TotalNumSgprs: 35
; NumVgprs: 46
; ScratchSize: 0
; MemoryBound: 0
; FloatMode: 240
; IeeeMode: 1
; LDSByteSize: 0 bytes/workgroup (compile time only)
; SGPRBlocks: 4
; VGPRBlocks: 11
; NumSGPRsForWavesPerEU: 35
; NumVGPRsForWavesPerEU: 46
; Occupancy: 5
; WaveLimiterHint : 0
; COMPUTE_PGM_RSRC2:SCRATCH_EN: 0
; COMPUTE_PGM_RSRC2:USER_SGPR: 6
; COMPUTE_PGM_RSRC2:TRAP_HANDLER: 0
; COMPUTE_PGM_RSRC2:TGID_X_EN: 1
; COMPUTE_PGM_RSRC2:TGID_Y_EN: 0
; COMPUTE_PGM_RSRC2:TGID_Z_EN: 0
; COMPUTE_PGM_RSRC2:TIDIG_COMP_CNT: 0
	.section	.text._ZN2at6native12_GLOBAL__N_125multi_tensor_apply_kernelINS1_18TensorListMetadataILi3EEENS1_24PointwiseOpScalarFunctorIaLi3ELi3ELi0EEEJSt10multipliesIaEaEEEvT_T0_DpT1_,"axG",@progbits,_ZN2at6native12_GLOBAL__N_125multi_tensor_apply_kernelINS1_18TensorListMetadataILi3EEENS1_24PointwiseOpScalarFunctorIaLi3ELi3ELi0EEEJSt10multipliesIaEaEEEvT_T0_DpT1_,comdat
	.globl	_ZN2at6native12_GLOBAL__N_125multi_tensor_apply_kernelINS1_18TensorListMetadataILi3EEENS1_24PointwiseOpScalarFunctorIaLi3ELi3ELi0EEEJSt10multipliesIaEaEEEvT_T0_DpT1_ ; -- Begin function _ZN2at6native12_GLOBAL__N_125multi_tensor_apply_kernelINS1_18TensorListMetadataILi3EEENS1_24PointwiseOpScalarFunctorIaLi3ELi3ELi0EEEJSt10multipliesIaEaEEEvT_T0_DpT1_
	.p2align	8
	.type	_ZN2at6native12_GLOBAL__N_125multi_tensor_apply_kernelINS1_18TensorListMetadataILi3EEENS1_24PointwiseOpScalarFunctorIaLi3ELi3ELi0EEEJSt10multipliesIaEaEEEvT_T0_DpT1_,@function
_ZN2at6native12_GLOBAL__N_125multi_tensor_apply_kernelINS1_18TensorListMetadataILi3EEENS1_24PointwiseOpScalarFunctorIaLi3ELi3ELi0EEEJSt10multipliesIaEaEEEvT_T0_DpT1_: ; @_ZN2at6native12_GLOBAL__N_125multi_tensor_apply_kernelINS1_18TensorListMetadataILi3EEENS1_24PointwiseOpScalarFunctorIaLi3ELi3ELi0EEEJSt10multipliesIaEaEEEvT_T0_DpT1_
; %bb.0:
	v_mov_b32_e32 v1, s6
	global_load_ubyte v1, v1, s[4:5] offset:1536
	s_add_u32 s0, s4, s6
	s_mul_hi_u32 s1, s6, 3
	s_mul_i32 s6, s6, 3
	s_addc_u32 s2, s5, 0
	s_add_u32 s0, s0, s6
	s_addc_u32 s1, s2, s1
	s_load_dword s2, s[0:1], 0x740
	s_load_dword s28, s[4:5], 0xc48
	s_mov_b32 s1, 0
	s_waitcnt lgkmcnt(0)
	s_ashr_i32 s3, s2, 31
	s_lshl_b64 s[16:17], s[2:3], 16
	s_waitcnt vmcnt(0)
	v_readfirstlane_b32 s0, v1
	s_lshl_b32 s0, s0, 3
	s_load_dwordx2 s[10:11], s[4:5], s0 offset:0x0
	s_load_dwordx2 s[6:7], s[4:5], s0 offset:0x480
	;; [unrolled: 1-line block ×4, first 2 shown]
	s_waitcnt lgkmcnt(0)
	s_add_u32 s2, s10, s16
	s_addc_u32 s3, s11, s17
	s_add_u32 s0, s12, s16
	s_or_b32 s0, s14, s0
	s_and_b32 s0, s0, 3
	s_cmp_eq_u32 s0, 0
	s_cselect_b64 s[8:9], -1, 0
	s_sub_u32 s18, s6, s16
	s_subb_u32 s19, s7, s17
	s_or_b64 s[2:3], s[6:7], s[2:3]
	s_and_b32 s0, s2, 3
	s_cmp_eq_u64 s[0:1], 0
	s_cselect_b64 s[0:1], -1, 0
	s_and_b64 s[2:3], s[8:9], s[0:1]
	s_mov_b64 s[0:1], -1
	s_and_b64 vcc, exec, s[2:3]
	s_cbranch_vccnz .LBB23_29
; %bb.1:
	v_cmp_lt_i64_e64 s[0:1], s[18:19], 1
	s_and_b64 vcc, exec, s[0:1]
	s_cbranch_vccnz .LBB23_28
; %bb.2:
	v_mov_b32_e32 v1, 0x10000
	s_load_dword s2, s[4:5], 0xc5c
	v_mov_b32_e32 v2, 0
	v_cmp_lt_i64_e32 vcc, s[18:19], v[1:2]
	v_mov_b32_e32 v4, s11
	s_and_b64 s[0:1], vcc, exec
	v_cmp_lt_u64_e32 vcc, s[18:19], v[1:2]
	s_cselect_b32 s21, s19, 0
	s_cselect_b32 s20, s18, 0x10000
	s_waitcnt lgkmcnt(0)
	s_and_b32 s2, s2, 0xffff
	s_and_b64 s[0:1], vcc, exec
	v_mov_b32_e32 v1, s17
	v_add_co_u32_e32 v19, vcc, s16, v0
	s_cselect_b32 s23, s19, 0
	s_cselect_b32 s22, s18, 0x10000
	s_lshl_b32 s3, s2, 1
	s_mul_i32 s0, s2, 3
	s_lshl_b32 s29, s2, 2
	v_addc_co_u32_e32 v20, vcc, 0, v1, vcc
	v_mov_b32_e32 v2, s11
	v_add_co_u32_e32 v1, vcc, s10, v19
	s_add_u32 s1, s16, s0
	v_addc_co_u32_e32 v2, vcc, v2, v20, vcc
	s_addc_u32 s6, s17, 0
	v_mov_b32_e32 v3, s6
	v_add_co_u32_e32 v7, vcc, s1, v0
	v_addc_co_u32_e32 v8, vcc, 0, v3, vcc
	v_add_co_u32_e32 v3, vcc, s10, v7
	v_addc_co_u32_e32 v4, vcc, v4, v8, vcc
	v_mov_b32_e32 v6, s13
	v_add_co_u32_e32 v5, vcc, s12, v7
	v_addc_co_u32_e32 v6, vcc, v6, v8, vcc
	v_mov_b32_e32 v9, s15
	v_add_co_u32_e32 v7, vcc, s14, v7
	s_add_u32 s1, s16, s3
	v_addc_co_u32_e32 v8, vcc, v9, v8, vcc
	s_addc_u32 s6, s17, 0
	v_mov_b32_e32 v9, s6
	v_add_co_u32_e32 v13, vcc, s1, v0
	v_addc_co_u32_e32 v14, vcc, 0, v9, vcc
	v_mov_b32_e32 v10, s11
	v_add_co_u32_e32 v9, vcc, s10, v13
	v_addc_co_u32_e32 v10, vcc, v10, v14, vcc
	;; [unrolled: 3-line block ×6, first 2 shown]
	v_add_co_u32_e32 v23, vcc, s2, v19
	v_addc_co_u32_e32 v24, vcc, 0, v20, vcc
	v_mov_b32_e32 v20, s11
	v_add_co_u32_e32 v19, vcc, s10, v23
	v_addc_co_u32_e32 v20, vcc, v20, v24, vcc
	v_mov_b32_e32 v22, s13
	;; [unrolled: 3-line block ×3, first 2 shown]
	v_add_co_u32_e32 v23, vcc, s14, v23
	v_addc_co_u32_e32 v24, vcc, v25, v24, vcc
	v_add_co_u32_e32 v25, vcc, s0, v0
	v_addc_co_u32_e64 v26, s[0:1], 0, 0, vcc
	v_add_co_u32_e32 v27, vcc, s3, v0
	v_addc_co_u32_e64 v28, s[0:1], 0, 0, vcc
	v_add_co_u32_e32 v29, vcc, s2, v0
	s_mov_b64 s[24:25], 0
	s_lshr_b32 s30, s28, 16
	v_addc_co_u32_e64 v30, s[0:1], 0, 0, vcc
	s_branch .LBB23_4
.LBB23_3:                               ;   in Loop: Header=BB23_4 Depth=1
	s_or_b64 exec, exec, s[0:1]
	s_add_u32 s24, s24, s29
	s_waitcnt vmcnt(0)
	v_mov_b32_e32 v32, s21
	s_addc_u32 s25, s25, 0
	v_mov_b32_e32 v31, s20
	v_cmp_lt_i64_e32 vcc, s[24:25], v[31:32]
	s_cbranch_vccz .LBB23_28
.LBB23_4:                               ; =>This Inner Loop Header: Depth=1
	v_mov_b32_e32 v32, s25
	v_add_co_u32_e32 v31, vcc, s24, v0
	v_addc_co_u32_e32 v32, vcc, 0, v32, vcc
	v_cmp_gt_u64_e32 vcc, s[22:23], v[31:32]
	v_mov_b32_e32 v32, 0
	v_mov_b32_e32 v31, 0
	s_and_saveexec_b64 s[2:3], vcc
	s_cbranch_execz .LBB23_6
; %bb.5:                                ;   in Loop: Header=BB23_4 Depth=1
	v_mov_b32_e32 v31, s25
	v_add_co_u32_e64 v33, s[0:1], s24, v1
	v_addc_co_u32_e64 v34, s[0:1], v2, v31, s[0:1]
	v_add_co_u32_e64 v35, s[0:1], s24, v15
	v_addc_co_u32_e64 v36, s[0:1], v16, v31, s[0:1]
	global_load_ubyte v31, v[33:34], off
	global_load_ubyte v32, v[35:36], off
.LBB23_6:                               ;   in Loop: Header=BB23_4 Depth=1
	s_or_b64 exec, exec, s[2:3]
	v_mov_b32_e32 v33, 0
	v_mov_b32_e32 v34, 0
	s_and_saveexec_b64 s[2:3], vcc
	s_cbranch_execz .LBB23_8
; %bb.7:                                ;   in Loop: Header=BB23_4 Depth=1
	v_mov_b32_e32 v35, s25
	v_add_co_u32_e64 v34, s[0:1], s24, v17
	v_addc_co_u32_e64 v35, s[0:1], v18, v35, s[0:1]
	global_load_ubyte v34, v[34:35], off
.LBB23_8:                               ;   in Loop: Header=BB23_4 Depth=1
	s_or_b64 exec, exec, s[2:3]
	v_mov_b32_e32 v36, s25
	v_add_co_u32_e64 v35, s[0:1], s24, v29
	v_addc_co_u32_e64 v36, s[0:1], v30, v36, s[0:1]
	v_cmp_gt_u64_e64 s[0:1], s[22:23], v[35:36]
	v_mov_b32_e32 v35, 0
	s_and_saveexec_b64 s[6:7], s[0:1]
	s_cbranch_execz .LBB23_10
; %bb.9:                                ;   in Loop: Header=BB23_4 Depth=1
	v_mov_b32_e32 v33, s25
	v_add_co_u32_e64 v36, s[2:3], s24, v21
	v_addc_co_u32_e64 v37, s[2:3], v22, v33, s[2:3]
	v_add_co_u32_e64 v38, s[2:3], s24, v19
	v_addc_co_u32_e64 v39, s[2:3], v20, v33, s[2:3]
	global_load_ubyte v35, v[38:39], off
	global_load_ubyte v33, v[36:37], off
.LBB23_10:                              ;   in Loop: Header=BB23_4 Depth=1
	s_or_b64 exec, exec, s[6:7]
	v_mov_b32_e32 v36, 0
	v_mov_b32_e32 v37, 0
	s_and_saveexec_b64 s[6:7], s[0:1]
	s_cbranch_execz .LBB23_12
; %bb.11:                               ;   in Loop: Header=BB23_4 Depth=1
	v_mov_b32_e32 v38, s25
	v_add_co_u32_e64 v37, s[2:3], s24, v23
	v_addc_co_u32_e64 v38, s[2:3], v24, v38, s[2:3]
	global_load_ubyte v37, v[37:38], off
.LBB23_12:                              ;   in Loop: Header=BB23_4 Depth=1
	s_or_b64 exec, exec, s[6:7]
	v_mov_b32_e32 v39, s25
	v_add_co_u32_e64 v38, s[2:3], s24, v27
	v_addc_co_u32_e64 v39, s[2:3], v28, v39, s[2:3]
	v_cmp_gt_u64_e64 s[2:3], s[22:23], v[38:39]
	v_mov_b32_e32 v38, 0
	s_and_saveexec_b64 s[8:9], s[2:3]
	s_cbranch_execz .LBB23_14
; %bb.13:                               ;   in Loop: Header=BB23_4 Depth=1
	v_mov_b32_e32 v36, s25
	v_add_co_u32_e64 v39, s[6:7], s24, v11
	v_addc_co_u32_e64 v40, s[6:7], v12, v36, s[6:7]
	v_add_co_u32_e64 v41, s[6:7], s24, v9
	v_addc_co_u32_e64 v42, s[6:7], v10, v36, s[6:7]
	global_load_ubyte v38, v[41:42], off
	global_load_ubyte v36, v[39:40], off
.LBB23_14:                              ;   in Loop: Header=BB23_4 Depth=1
	s_or_b64 exec, exec, s[8:9]
	v_mov_b32_e32 v39, 0
	v_mov_b32_e32 v40, 0
	s_and_saveexec_b64 s[8:9], s[2:3]
	s_cbranch_execz .LBB23_16
; %bb.15:                               ;   in Loop: Header=BB23_4 Depth=1
	v_mov_b32_e32 v41, s25
	v_add_co_u32_e64 v40, s[6:7], s24, v13
	v_addc_co_u32_e64 v41, s[6:7], v14, v41, s[6:7]
	global_load_ubyte v40, v[40:41], off
.LBB23_16:                              ;   in Loop: Header=BB23_4 Depth=1
	s_or_b64 exec, exec, s[8:9]
	v_mov_b32_e32 v42, s25
	v_add_co_u32_e64 v41, s[6:7], s24, v25
	v_addc_co_u32_e64 v42, s[6:7], v26, v42, s[6:7]
	v_cmp_gt_u64_e64 s[6:7], s[22:23], v[41:42]
	v_mov_b32_e32 v41, 0
	s_and_saveexec_b64 s[26:27], s[6:7]
	s_cbranch_execnz .LBB23_22
; %bb.17:                               ;   in Loop: Header=BB23_4 Depth=1
	s_or_b64 exec, exec, s[26:27]
	v_mov_b32_e32 v42, 0
	s_and_saveexec_b64 s[26:27], s[6:7]
	s_cbranch_execnz .LBB23_23
.LBB23_18:                              ;   in Loop: Header=BB23_4 Depth=1
	s_or_b64 exec, exec, s[26:27]
	s_and_saveexec_b64 s[8:9], vcc
	s_cbranch_execnz .LBB23_24
.LBB23_19:                              ;   in Loop: Header=BB23_4 Depth=1
	s_or_b64 exec, exec, s[8:9]
	s_and_saveexec_b64 s[8:9], s[0:1]
	s_cbranch_execnz .LBB23_25
.LBB23_20:                              ;   in Loop: Header=BB23_4 Depth=1
	s_or_b64 exec, exec, s[8:9]
	s_and_saveexec_b64 s[0:1], s[2:3]
	s_cbranch_execnz .LBB23_26
.LBB23_21:                              ;   in Loop: Header=BB23_4 Depth=1
	s_or_b64 exec, exec, s[0:1]
	s_and_saveexec_b64 s[0:1], s[6:7]
	s_cbranch_execz .LBB23_3
	s_branch .LBB23_27
.LBB23_22:                              ;   in Loop: Header=BB23_4 Depth=1
	v_mov_b32_e32 v39, s25
	v_add_co_u32_e64 v42, s[8:9], s24, v5
	v_addc_co_u32_e64 v43, s[8:9], v6, v39, s[8:9]
	v_add_co_u32_e64 v44, s[8:9], s24, v3
	v_addc_co_u32_e64 v45, s[8:9], v4, v39, s[8:9]
	global_load_ubyte v41, v[44:45], off
	global_load_ubyte v39, v[42:43], off
	s_or_b64 exec, exec, s[26:27]
	v_mov_b32_e32 v42, 0
	s_and_saveexec_b64 s[26:27], s[6:7]
	s_cbranch_execz .LBB23_18
.LBB23_23:                              ;   in Loop: Header=BB23_4 Depth=1
	v_mov_b32_e32 v43, s25
	v_add_co_u32_e64 v42, s[8:9], s24, v7
	v_addc_co_u32_e64 v43, s[8:9], v8, v43, s[8:9]
	global_load_ubyte v42, v[42:43], off
	s_or_b64 exec, exec, s[26:27]
	s_and_saveexec_b64 s[8:9], vcc
	s_cbranch_execz .LBB23_19
.LBB23_24:                              ;   in Loop: Header=BB23_4 Depth=1
	s_waitcnt vmcnt(0)
	v_mul_lo_u16_e32 v32, s30, v32
	v_mad_legacy_u16 v34, v32, v34, v31
	v_mov_b32_e32 v32, s25
	v_add_co_u32_e32 v31, vcc, s24, v1
	v_addc_co_u32_e32 v32, vcc, v2, v32, vcc
	global_store_byte v[31:32], v34, off
	s_or_b64 exec, exec, s[8:9]
	s_and_saveexec_b64 s[8:9], s[0:1]
	s_cbranch_execz .LBB23_20
.LBB23_25:                              ;   in Loop: Header=BB23_4 Depth=1
	s_waitcnt vmcnt(0)
	v_mul_lo_u16_e32 v31, s30, v33
	v_mad_legacy_u16 v33, v31, v37, v35
	v_mov_b32_e32 v32, s25
	v_add_co_u32_e32 v31, vcc, s24, v19
	v_addc_co_u32_e32 v32, vcc, v20, v32, vcc
	global_store_byte v[31:32], v33, off
	s_or_b64 exec, exec, s[8:9]
	s_and_saveexec_b64 s[0:1], s[2:3]
	s_cbranch_execz .LBB23_21
.LBB23_26:                              ;   in Loop: Header=BB23_4 Depth=1
	s_waitcnt vmcnt(0)
	v_mul_lo_u16_e32 v31, s30, v36
	v_mad_legacy_u16 v33, v31, v40, v38
	v_mov_b32_e32 v32, s25
	v_add_co_u32_e32 v31, vcc, s24, v9
	v_addc_co_u32_e32 v32, vcc, v10, v32, vcc
	global_store_byte v[31:32], v33, off
	s_or_b64 exec, exec, s[0:1]
	s_and_saveexec_b64 s[0:1], s[6:7]
	s_cbranch_execz .LBB23_3
.LBB23_27:                              ;   in Loop: Header=BB23_4 Depth=1
	s_waitcnt vmcnt(0)
	v_mul_lo_u16_e32 v31, s30, v39
	v_mad_legacy_u16 v33, v31, v42, v41
	v_mov_b32_e32 v32, s25
	v_add_co_u32_e32 v31, vcc, s24, v3
	v_addc_co_u32_e32 v32, vcc, v4, v32, vcc
	global_store_byte v[31:32], v33, off
	s_branch .LBB23_3
.LBB23_28:
	s_mov_b64 s[0:1], 0
.LBB23_29:
	s_andn2_b64 vcc, exec, s[0:1]
	s_cbranch_vccnz .LBB23_33
; %bb.30:
	v_mov_b32_e32 v1, 0x10000
	v_mov_b32_e32 v2, 0
	v_cmp_lt_i64_e32 vcc, s[18:19], v[1:2]
	v_mov_b32_e32 v3, 0
	s_and_b64 s[0:1], vcc, exec
	s_cselect_b32 s1, s19, 0
	s_cselect_b32 s0, s18, 0x10000
	v_lshlrev_b32_e32 v2, 2, v0
	v_cmp_gt_i64_e32 vcc, s[0:1], v[2:3]
	s_and_saveexec_b64 s[2:3], vcc
	s_cbranch_execz .LBB23_33
; %bb.31:
	s_load_dword s2, s[4:5], 0xc5c
	v_mov_b32_e32 v1, v3
	v_mov_b32_e32 v3, s17
	v_add_co_u32_e32 v2, vcc, s16, v2
	s_waitcnt lgkmcnt(0)
	s_and_b32 s4, s2, 0xffff
	v_addc_co_u32_e32 v3, vcc, 0, v3, vcc
	s_lshl_b32 s5, s4, 2
	s_mov_b64 s[2:3], 0
	s_lshr_b32 s6, s28, 16
	v_mov_b32_e32 v4, s11
	v_mov_b32_e32 v5, s13
	;; [unrolled: 1-line block ×3, first 2 shown]
	s_mov_b32 s7, 0x6050400
.LBB23_32:                              ; =>This Inner Loop Header: Depth=1
	v_add_co_u32_e32 v7, vcc, s10, v2
	v_addc_co_u32_e32 v8, vcc, v4, v3, vcc
	v_add_co_u32_e32 v9, vcc, s12, v2
	v_addc_co_u32_e32 v10, vcc, v5, v3, vcc
	;; [unrolled: 2-line block ×3, first 2 shown]
	global_load_dword v13, v[9:10], off
	global_load_dword v14, v[7:8], off
	;; [unrolled: 1-line block ×3, first 2 shown]
	v_add_co_u32_e32 v0, vcc, s4, v0
	v_addc_co_u32_e32 v1, vcc, 0, v1, vcc
	v_add_co_u32_e32 v2, vcc, s5, v2
	v_lshlrev_b64 v[9:10], 2, v[0:1]
	v_addc_co_u32_e32 v3, vcc, 0, v3, vcc
	v_cmp_le_i64_e32 vcc, s[0:1], v[9:10]
	s_or_b64 s[2:3], vcc, s[2:3]
	s_waitcnt vmcnt(2)
	v_lshrrev_b32_e32 v11, 8, v13
	v_mul_lo_u16_e32 v9, s6, v13
	s_waitcnt vmcnt(1)
	v_lshrrev_b32_e32 v10, 8, v14
	s_waitcnt vmcnt(0)
	v_lshrrev_b32_e32 v12, 8, v15
	v_lshrrev_b32_e32 v16, 16, v14
	;; [unrolled: 1-line block ×3, first 2 shown]
	v_mul_lo_u16_sdwa v18, s6, v13 dst_sel:DWORD dst_unused:UNUSED_PAD src0_sel:DWORD src1_sel:WORD_1
	v_mul_lo_u16_e32 v11, s6, v11
	v_lshrrev_b32_e32 v19, 24, v14
	v_lshrrev_b32_e32 v20, 24, v15
	v_mul_lo_u16_sdwa v13, s6, v13 dst_sel:DWORD dst_unused:UNUSED_PAD src0_sel:DWORD src1_sel:BYTE_3
	v_mad_legacy_u16 v9, v9, v15, v14
	v_mad_legacy_u16 v14, v18, v17, v16
	;; [unrolled: 1-line block ×4, first 2 shown]
	v_and_b32_e32 v11, 0xff, v14
	v_and_b32_e32 v10, 0xff, v10
	v_lshlrev_b32_e32 v12, 24, v13
	v_lshlrev_b32_e32 v11, 16, v11
	v_perm_b32 v9, v10, v9, s7
	v_or3_b32 v9, v9, v11, v12
	global_store_dword v[7:8], v9, off
	s_andn2_b64 exec, exec, s[2:3]
	s_cbranch_execnz .LBB23_32
.LBB23_33:
	s_endpgm
	.section	.rodata,"a",@progbits
	.p2align	6, 0x0
	.amdhsa_kernel _ZN2at6native12_GLOBAL__N_125multi_tensor_apply_kernelINS1_18TensorListMetadataILi3EEENS1_24PointwiseOpScalarFunctorIaLi3ELi3ELi0EEEJSt10multipliesIaEaEEEvT_T0_DpT1_
		.amdhsa_group_segment_fixed_size 0
		.amdhsa_private_segment_fixed_size 0
		.amdhsa_kernarg_size 3408
		.amdhsa_user_sgpr_count 6
		.amdhsa_user_sgpr_private_segment_buffer 1
		.amdhsa_user_sgpr_dispatch_ptr 0
		.amdhsa_user_sgpr_queue_ptr 0
		.amdhsa_user_sgpr_kernarg_segment_ptr 1
		.amdhsa_user_sgpr_dispatch_id 0
		.amdhsa_user_sgpr_flat_scratch_init 0
		.amdhsa_user_sgpr_private_segment_size 0
		.amdhsa_uses_dynamic_stack 0
		.amdhsa_system_sgpr_private_segment_wavefront_offset 0
		.amdhsa_system_sgpr_workgroup_id_x 1
		.amdhsa_system_sgpr_workgroup_id_y 0
		.amdhsa_system_sgpr_workgroup_id_z 0
		.amdhsa_system_sgpr_workgroup_info 0
		.amdhsa_system_vgpr_workitem_id 0
		.amdhsa_next_free_vgpr 46
		.amdhsa_next_free_sgpr 31
		.amdhsa_reserve_vcc 1
		.amdhsa_reserve_flat_scratch 0
		.amdhsa_float_round_mode_32 0
		.amdhsa_float_round_mode_16_64 0
		.amdhsa_float_denorm_mode_32 3
		.amdhsa_float_denorm_mode_16_64 3
		.amdhsa_dx10_clamp 1
		.amdhsa_ieee_mode 1
		.amdhsa_fp16_overflow 0
		.amdhsa_exception_fp_ieee_invalid_op 0
		.amdhsa_exception_fp_denorm_src 0
		.amdhsa_exception_fp_ieee_div_zero 0
		.amdhsa_exception_fp_ieee_overflow 0
		.amdhsa_exception_fp_ieee_underflow 0
		.amdhsa_exception_fp_ieee_inexact 0
		.amdhsa_exception_int_div_zero 0
	.end_amdhsa_kernel
	.section	.text._ZN2at6native12_GLOBAL__N_125multi_tensor_apply_kernelINS1_18TensorListMetadataILi3EEENS1_24PointwiseOpScalarFunctorIaLi3ELi3ELi0EEEJSt10multipliesIaEaEEEvT_T0_DpT1_,"axG",@progbits,_ZN2at6native12_GLOBAL__N_125multi_tensor_apply_kernelINS1_18TensorListMetadataILi3EEENS1_24PointwiseOpScalarFunctorIaLi3ELi3ELi0EEEJSt10multipliesIaEaEEEvT_T0_DpT1_,comdat
.Lfunc_end23:
	.size	_ZN2at6native12_GLOBAL__N_125multi_tensor_apply_kernelINS1_18TensorListMetadataILi3EEENS1_24PointwiseOpScalarFunctorIaLi3ELi3ELi0EEEJSt10multipliesIaEaEEEvT_T0_DpT1_, .Lfunc_end23-_ZN2at6native12_GLOBAL__N_125multi_tensor_apply_kernelINS1_18TensorListMetadataILi3EEENS1_24PointwiseOpScalarFunctorIaLi3ELi3ELi0EEEJSt10multipliesIaEaEEEvT_T0_DpT1_
                                        ; -- End function
	.set _ZN2at6native12_GLOBAL__N_125multi_tensor_apply_kernelINS1_18TensorListMetadataILi3EEENS1_24PointwiseOpScalarFunctorIaLi3ELi3ELi0EEEJSt10multipliesIaEaEEEvT_T0_DpT1_.num_vgpr, 46
	.set _ZN2at6native12_GLOBAL__N_125multi_tensor_apply_kernelINS1_18TensorListMetadataILi3EEENS1_24PointwiseOpScalarFunctorIaLi3ELi3ELi0EEEJSt10multipliesIaEaEEEvT_T0_DpT1_.num_agpr, 0
	.set _ZN2at6native12_GLOBAL__N_125multi_tensor_apply_kernelINS1_18TensorListMetadataILi3EEENS1_24PointwiseOpScalarFunctorIaLi3ELi3ELi0EEEJSt10multipliesIaEaEEEvT_T0_DpT1_.numbered_sgpr, 31
	.set _ZN2at6native12_GLOBAL__N_125multi_tensor_apply_kernelINS1_18TensorListMetadataILi3EEENS1_24PointwiseOpScalarFunctorIaLi3ELi3ELi0EEEJSt10multipliesIaEaEEEvT_T0_DpT1_.num_named_barrier, 0
	.set _ZN2at6native12_GLOBAL__N_125multi_tensor_apply_kernelINS1_18TensorListMetadataILi3EEENS1_24PointwiseOpScalarFunctorIaLi3ELi3ELi0EEEJSt10multipliesIaEaEEEvT_T0_DpT1_.private_seg_size, 0
	.set _ZN2at6native12_GLOBAL__N_125multi_tensor_apply_kernelINS1_18TensorListMetadataILi3EEENS1_24PointwiseOpScalarFunctorIaLi3ELi3ELi0EEEJSt10multipliesIaEaEEEvT_T0_DpT1_.uses_vcc, 1
	.set _ZN2at6native12_GLOBAL__N_125multi_tensor_apply_kernelINS1_18TensorListMetadataILi3EEENS1_24PointwiseOpScalarFunctorIaLi3ELi3ELi0EEEJSt10multipliesIaEaEEEvT_T0_DpT1_.uses_flat_scratch, 0
	.set _ZN2at6native12_GLOBAL__N_125multi_tensor_apply_kernelINS1_18TensorListMetadataILi3EEENS1_24PointwiseOpScalarFunctorIaLi3ELi3ELi0EEEJSt10multipliesIaEaEEEvT_T0_DpT1_.has_dyn_sized_stack, 0
	.set _ZN2at6native12_GLOBAL__N_125multi_tensor_apply_kernelINS1_18TensorListMetadataILi3EEENS1_24PointwiseOpScalarFunctorIaLi3ELi3ELi0EEEJSt10multipliesIaEaEEEvT_T0_DpT1_.has_recursion, 0
	.set _ZN2at6native12_GLOBAL__N_125multi_tensor_apply_kernelINS1_18TensorListMetadataILi3EEENS1_24PointwiseOpScalarFunctorIaLi3ELi3ELi0EEEJSt10multipliesIaEaEEEvT_T0_DpT1_.has_indirect_call, 0
	.section	.AMDGPU.csdata,"",@progbits
; Kernel info:
; codeLenInByte = 1760
; TotalNumSgprs: 35
; NumVgprs: 46
; ScratchSize: 0
; MemoryBound: 0
; FloatMode: 240
; IeeeMode: 1
; LDSByteSize: 0 bytes/workgroup (compile time only)
; SGPRBlocks: 4
; VGPRBlocks: 11
; NumSGPRsForWavesPerEU: 35
; NumVGPRsForWavesPerEU: 46
; Occupancy: 5
; WaveLimiterHint : 0
; COMPUTE_PGM_RSRC2:SCRATCH_EN: 0
; COMPUTE_PGM_RSRC2:USER_SGPR: 6
; COMPUTE_PGM_RSRC2:TRAP_HANDLER: 0
; COMPUTE_PGM_RSRC2:TGID_X_EN: 1
; COMPUTE_PGM_RSRC2:TGID_Y_EN: 0
; COMPUTE_PGM_RSRC2:TGID_Z_EN: 0
; COMPUTE_PGM_RSRC2:TIDIG_COMP_CNT: 0
	.section	.text._ZN2at6native12_GLOBAL__N_125multi_tensor_apply_kernelINS1_18TensorListMetadataILi3EEENS1_24PointwiseOpScalarFunctorIiLi3ELi3ELi0EEEJSt10multipliesIiEiEEEvT_T0_DpT1_,"axG",@progbits,_ZN2at6native12_GLOBAL__N_125multi_tensor_apply_kernelINS1_18TensorListMetadataILi3EEENS1_24PointwiseOpScalarFunctorIiLi3ELi3ELi0EEEJSt10multipliesIiEiEEEvT_T0_DpT1_,comdat
	.globl	_ZN2at6native12_GLOBAL__N_125multi_tensor_apply_kernelINS1_18TensorListMetadataILi3EEENS1_24PointwiseOpScalarFunctorIiLi3ELi3ELi0EEEJSt10multipliesIiEiEEEvT_T0_DpT1_ ; -- Begin function _ZN2at6native12_GLOBAL__N_125multi_tensor_apply_kernelINS1_18TensorListMetadataILi3EEENS1_24PointwiseOpScalarFunctorIiLi3ELi3ELi0EEEJSt10multipliesIiEiEEEvT_T0_DpT1_
	.p2align	8
	.type	_ZN2at6native12_GLOBAL__N_125multi_tensor_apply_kernelINS1_18TensorListMetadataILi3EEENS1_24PointwiseOpScalarFunctorIiLi3ELi3ELi0EEEJSt10multipliesIiEiEEEvT_T0_DpT1_,@function
_ZN2at6native12_GLOBAL__N_125multi_tensor_apply_kernelINS1_18TensorListMetadataILi3EEENS1_24PointwiseOpScalarFunctorIiLi3ELi3ELi0EEEJSt10multipliesIiEiEEEvT_T0_DpT1_: ; @_ZN2at6native12_GLOBAL__N_125multi_tensor_apply_kernelINS1_18TensorListMetadataILi3EEENS1_24PointwiseOpScalarFunctorIiLi3ELi3ELi0EEEJSt10multipliesIiEiEEEvT_T0_DpT1_
; %bb.0:
	v_mov_b32_e32 v1, s6
	global_load_ubyte v1, v1, s[4:5] offset:1536
	s_add_u32 s0, s4, s6
	s_mul_hi_u32 s1, s6, 3
	s_mul_i32 s6, s6, 3
	s_addc_u32 s2, s5, 0
	s_add_u32 s0, s0, s6
	s_addc_u32 s1, s2, s1
	s_load_dword s8, s[0:1], 0x740
	s_load_dword s22, s[4:5], 0xc4c
	s_mov_b32 s15, 0
	s_mov_b32 s17, s15
	s_waitcnt lgkmcnt(0)
	s_ashr_i32 s9, s8, 31
	s_lshl_b64 s[12:13], s[8:9], 18
	s_waitcnt vmcnt(0)
	v_readfirstlane_b32 s0, v1
	s_lshl_b32 s10, s0, 3
	s_load_dwordx2 s[6:7], s[4:5], s10 offset:0x0
	s_load_dwordx2 s[18:19], s[4:5], s10 offset:0x480
	;; [unrolled: 1-line block ×4, first 2 shown]
	s_waitcnt lgkmcnt(0)
	s_add_u32 s23, s6, s12
	s_addc_u32 s24, s7, s13
	s_and_b32 s14, s23, 15
	s_add_u32 s25, s2, s12
	s_addc_u32 s26, s3, s13
	s_add_u32 s27, s0, s12
	s_addc_u32 s28, s1, s13
	s_or_b32 s10, s27, s25
	s_and_b32 s10, s10, 15
	s_cmp_eq_u32 s10, 0
	s_cselect_b64 s[20:21], -1, 0
	s_lshl_b64 s[8:9], s[8:9], 16
	s_sub_u32 s10, s18, s8
	s_subb_u32 s11, s19, s9
	s_and_b32 s16, s18, 3
	s_or_b64 s[8:9], s[14:15], s[16:17]
	s_cmp_eq_u64 s[8:9], 0
	s_cselect_b64 s[8:9], -1, 0
	s_and_b64 s[14:15], s[20:21], s[8:9]
	s_mov_b64 s[8:9], -1
	s_and_b64 vcc, exec, s[14:15]
	s_cbranch_vccnz .LBB24_29
; %bb.1:
	v_cmp_lt_i64_e64 s[8:9], s[10:11], 1
	s_and_b64 vcc, exec, s[8:9]
	s_cbranch_vccnz .LBB24_28
; %bb.2:
	v_mov_b32_e32 v1, 0x10000
	s_load_dword s16, s[4:5], 0xc5c
	v_mov_b32_e32 v2, 0
	v_cmp_lt_i64_e32 vcc, s[10:11], v[1:2]
	v_mov_b32_e32 v3, 0
	s_and_b64 s[8:9], vcc, exec
	s_cselect_b32 s15, s11, 0
	s_cselect_b32 s14, s10, 0x10000
	v_cmp_lt_u64_e32 vcc, s[10:11], v[1:2]
	s_waitcnt lgkmcnt(0)
	s_and_b32 s18, s16, 0xffff
	v_lshlrev_b32_e32 v2, 2, v0
	v_mad_u64_u32 v[3:4], s[8:9], s18, 12, v[2:3]
	s_and_b64 s[8:9], vcc, exec
	v_mov_b32_e32 v6, s7
	v_add_co_u32_e32 v5, vcc, s6, v3
	v_addc_co_u32_e32 v6, vcc, v6, v4, vcc
	v_mov_b32_e32 v8, s3
	v_add_co_u32_e32 v7, vcc, s2, v3
	v_addc_co_u32_e32 v8, vcc, v8, v4, vcc
	v_mov_b32_e32 v10, s1
	v_add_co_u32_e32 v9, vcc, s0, v3
	s_cselect_b32 s17, s11, 0
	s_cselect_b32 s16, s10, 0x10000
	v_addc_co_u32_e32 v10, vcc, v10, v4, vcc
	s_lshl_b32 s8, s18, 3
	v_add_co_u32_e32 v3, vcc, s8, v2
	v_addc_co_u32_e64 v4, s[8:9], 0, 0, vcc
	v_mov_b32_e32 v12, s7
	v_add_co_u32_e32 v11, vcc, s6, v3
	v_addc_co_u32_e32 v12, vcc, v12, v4, vcc
	v_mov_b32_e32 v14, s3
	v_add_co_u32_e32 v13, vcc, s2, v3
	v_addc_co_u32_e32 v14, vcc, v14, v4, vcc
	;; [unrolled: 3-line block ×6, first 2 shown]
	v_add_co_u32_e32 v23, vcc, s18, v0
	v_lshlrev_b32_e32 v1, 2, v23
	v_addc_co_u32_e64 v24, s[8:9], 0, 0, vcc
	v_mov_b32_e32 v2, s7
	v_add_co_u32_e32 v25, vcc, s6, v1
	v_addc_co_u32_e32 v26, vcc, 0, v2, vcc
	v_mov_b32_e32 v2, s3
	v_add_co_u32_e32 v27, vcc, s2, v1
	v_addc_co_u32_e32 v28, vcc, 0, v2, vcc
	v_mov_b32_e32 v2, s1
	v_add_co_u32_e32 v29, vcc, s0, v1
	s_mul_i32 s21, s18, 3
	v_addc_co_u32_e32 v30, vcc, 0, v2, vcc
	s_lshl_b32 s20, s18, 1
	v_add_co_u32_e32 v31, vcc, s21, v0
	v_addc_co_u32_e64 v32, s[0:1], 0, 0, vcc
	v_add_co_u32_e32 v33, vcc, s20, v0
	s_lshl_b32 s29, s18, 2
	s_lshl_b32 s30, s18, 4
	s_mov_b64 s[18:19], 0
	v_addc_co_u32_e64 v34, s[0:1], 0, 0, vcc
	s_branch .LBB24_4
.LBB24_3:                               ;   in Loop: Header=BB24_4 Depth=1
	s_or_b64 exec, exec, s[0:1]
	v_add_co_u32_e32 v17, vcc, s30, v17
	v_addc_co_u32_e32 v18, vcc, 0, v18, vcc
	v_add_co_u32_e32 v19, vcc, s30, v19
	v_addc_co_u32_e32 v20, vcc, 0, v20, vcc
	;; [unrolled: 2-line block ×10, first 2 shown]
	s_add_u32 s18, s18, s29
	v_add_co_u32_e32 v27, vcc, s30, v27
	s_waitcnt vmcnt(1)
	v_mov_b32_e32 v1, s14
	s_addc_u32 s19, s19, 0
	v_addc_co_u32_e32 v28, vcc, 0, v28, vcc
	v_mov_b32_e32 v2, s15
	v_cmp_lt_i64_e32 vcc, s[18:19], v[1:2]
	v_add_co_u32_e64 v29, s[0:1], s30, v29
	v_addc_co_u32_e64 v30, s[0:1], 0, v30, s[0:1]
	s_cbranch_vccz .LBB24_28
.LBB24_4:                               ; =>This Inner Loop Header: Depth=1
	v_mov_b32_e32 v2, s19
	v_add_co_u32_e32 v1, vcc, s18, v0
	v_addc_co_u32_e32 v2, vcc, 0, v2, vcc
	v_cmp_gt_u64_e32 vcc, s[16:17], v[1:2]
	s_waitcnt vmcnt(0)
	v_mov_b32_e32 v35, 0
	v_mov_b32_e32 v1, 0
	s_and_saveexec_b64 s[2:3], vcc
	s_cbranch_execz .LBB24_6
; %bb.5:                                ;   in Loop: Header=BB24_4 Depth=1
	v_mov_b32_e32 v1, s13
	v_add_co_u32_e64 v2, s[0:1], s12, v17
	v_addc_co_u32_e64 v3, s[0:1], v18, v1, s[0:1]
	v_add_co_u32_e64 v36, s[0:1], s12, v19
	v_addc_co_u32_e64 v37, s[0:1], v20, v1, s[0:1]
	global_load_dword v1, v[2:3], off
	global_load_dword v35, v[36:37], off
.LBB24_6:                               ;   in Loop: Header=BB24_4 Depth=1
	s_or_b64 exec, exec, s[2:3]
	v_mov_b32_e32 v36, 0
	v_mov_b32_e32 v37, 0
	s_and_saveexec_b64 s[2:3], vcc
	s_cbranch_execz .LBB24_8
; %bb.7:                                ;   in Loop: Header=BB24_4 Depth=1
	v_mov_b32_e32 v3, s13
	v_add_co_u32_e64 v2, s[0:1], s12, v21
	v_addc_co_u32_e64 v3, s[0:1], v22, v3, s[0:1]
	global_load_dword v37, v[2:3], off
.LBB24_8:                               ;   in Loop: Header=BB24_4 Depth=1
	s_or_b64 exec, exec, s[2:3]
	v_mov_b32_e32 v3, s19
	v_add_co_u32_e64 v2, s[0:1], s18, v23
	v_addc_co_u32_e64 v3, s[0:1], v24, v3, s[0:1]
	v_cmp_gt_u64_e64 s[0:1], s[16:17], v[2:3]
	v_mov_b32_e32 v2, 0
	s_and_saveexec_b64 s[6:7], s[0:1]
	s_cbranch_execz .LBB24_10
; %bb.9:                                ;   in Loop: Header=BB24_4 Depth=1
	v_mov_b32_e32 v2, s13
	v_add_co_u32_e64 v3, s[2:3], s12, v25
	v_addc_co_u32_e64 v4, s[2:3], v26, v2, s[2:3]
	v_add_co_u32_e64 v38, s[2:3], s12, v27
	v_addc_co_u32_e64 v39, s[2:3], v28, v2, s[2:3]
	global_load_dword v2, v[3:4], off
	global_load_dword v36, v[38:39], off
.LBB24_10:                              ;   in Loop: Header=BB24_4 Depth=1
	s_or_b64 exec, exec, s[6:7]
	v_mov_b32_e32 v38, 0
	v_mov_b32_e32 v39, 0
	s_and_saveexec_b64 s[6:7], s[0:1]
	s_cbranch_execz .LBB24_12
; %bb.11:                               ;   in Loop: Header=BB24_4 Depth=1
	v_mov_b32_e32 v4, s13
	v_add_co_u32_e64 v3, s[2:3], s12, v29
	v_addc_co_u32_e64 v4, s[2:3], v30, v4, s[2:3]
	global_load_dword v39, v[3:4], off
.LBB24_12:                              ;   in Loop: Header=BB24_4 Depth=1
	s_or_b64 exec, exec, s[6:7]
	v_mov_b32_e32 v4, s19
	v_add_co_u32_e64 v3, s[2:3], s18, v33
	v_addc_co_u32_e64 v4, s[2:3], v34, v4, s[2:3]
	v_cmp_gt_u64_e64 s[2:3], s[16:17], v[3:4]
	v_mov_b32_e32 v3, 0
	s_and_saveexec_b64 s[8:9], s[2:3]
	s_cbranch_execz .LBB24_14
; %bb.13:                               ;   in Loop: Header=BB24_4 Depth=1
	v_mov_b32_e32 v3, s13
	v_add_co_u32_e64 v40, s[6:7], s12, v11
	v_addc_co_u32_e64 v41, s[6:7], v12, v3, s[6:7]
	v_add_co_u32_e64 v42, s[6:7], s12, v13
	v_addc_co_u32_e64 v43, s[6:7], v14, v3, s[6:7]
	global_load_dword v3, v[40:41], off
	global_load_dword v38, v[42:43], off
.LBB24_14:                              ;   in Loop: Header=BB24_4 Depth=1
	s_or_b64 exec, exec, s[8:9]
	v_mov_b32_e32 v40, 0
	v_mov_b32_e32 v41, 0
	s_and_saveexec_b64 s[8:9], s[2:3]
	s_cbranch_execz .LBB24_16
; %bb.15:                               ;   in Loop: Header=BB24_4 Depth=1
	v_mov_b32_e32 v4, s13
	v_add_co_u32_e64 v41, s[6:7], s12, v15
	v_addc_co_u32_e64 v42, s[6:7], v16, v4, s[6:7]
	global_load_dword v41, v[41:42], off
.LBB24_16:                              ;   in Loop: Header=BB24_4 Depth=1
	s_or_b64 exec, exec, s[8:9]
	v_mov_b32_e32 v4, s19
	v_add_co_u32_e64 v42, s[6:7], s18, v31
	v_addc_co_u32_e64 v43, s[6:7], v32, v4, s[6:7]
	v_cmp_gt_u64_e64 s[6:7], s[16:17], v[42:43]
	v_mov_b32_e32 v4, 0
	s_and_saveexec_b64 s[20:21], s[6:7]
	s_cbranch_execnz .LBB24_22
; %bb.17:                               ;   in Loop: Header=BB24_4 Depth=1
	s_or_b64 exec, exec, s[20:21]
	v_mov_b32_e32 v42, 0
	s_and_saveexec_b64 s[20:21], s[6:7]
	s_cbranch_execnz .LBB24_23
.LBB24_18:                              ;   in Loop: Header=BB24_4 Depth=1
	s_or_b64 exec, exec, s[20:21]
	s_and_saveexec_b64 s[8:9], vcc
	s_cbranch_execnz .LBB24_24
.LBB24_19:                              ;   in Loop: Header=BB24_4 Depth=1
	s_or_b64 exec, exec, s[8:9]
	s_and_saveexec_b64 s[8:9], s[0:1]
	s_cbranch_execnz .LBB24_25
.LBB24_20:                              ;   in Loop: Header=BB24_4 Depth=1
	s_or_b64 exec, exec, s[8:9]
	s_and_saveexec_b64 s[0:1], s[2:3]
	s_cbranch_execnz .LBB24_26
.LBB24_21:                              ;   in Loop: Header=BB24_4 Depth=1
	s_or_b64 exec, exec, s[0:1]
	s_and_saveexec_b64 s[0:1], s[6:7]
	s_cbranch_execz .LBB24_3
	s_branch .LBB24_27
.LBB24_22:                              ;   in Loop: Header=BB24_4 Depth=1
	v_mov_b32_e32 v4, s13
	v_add_co_u32_e64 v42, s[8:9], s12, v5
	v_addc_co_u32_e64 v43, s[8:9], v6, v4, s[8:9]
	v_add_co_u32_e64 v44, s[8:9], s12, v7
	v_addc_co_u32_e64 v45, s[8:9], v8, v4, s[8:9]
	global_load_dword v4, v[42:43], off
	global_load_dword v40, v[44:45], off
	s_or_b64 exec, exec, s[20:21]
	v_mov_b32_e32 v42, 0
	s_and_saveexec_b64 s[20:21], s[6:7]
	s_cbranch_execz .LBB24_18
.LBB24_23:                              ;   in Loop: Header=BB24_4 Depth=1
	v_mov_b32_e32 v43, s13
	v_add_co_u32_e64 v42, s[8:9], s12, v9
	v_addc_co_u32_e64 v43, s[8:9], v10, v43, s[8:9]
	global_load_dword v42, v[42:43], off
	s_or_b64 exec, exec, s[20:21]
	s_and_saveexec_b64 s[8:9], vcc
	s_cbranch_execz .LBB24_19
.LBB24_24:                              ;   in Loop: Header=BB24_4 Depth=1
	s_waitcnt vmcnt(0)
	v_mul_lo_u32 v35, v35, s22
	v_mov_b32_e32 v45, s13
	v_mad_u64_u32 v[43:44], s[20:21], v35, v37, v[1:2]
	v_add_co_u32_e32 v44, vcc, s12, v17
	v_addc_co_u32_e32 v45, vcc, v18, v45, vcc
	global_store_dword v[44:45], v43, off
	s_or_b64 exec, exec, s[8:9]
	s_and_saveexec_b64 s[8:9], s[0:1]
	s_cbranch_execz .LBB24_20
.LBB24_25:                              ;   in Loop: Header=BB24_4 Depth=1
	s_waitcnt vmcnt(0)
	v_mul_lo_u32 v1, v36, s22
	v_mov_b32_e32 v36, s13
	v_add_co_u32_e32 v35, vcc, s12, v25
	v_mad_u64_u32 v[1:2], s[0:1], v1, v39, v[2:3]
	v_addc_co_u32_e32 v36, vcc, v26, v36, vcc
	global_store_dword v[35:36], v1, off
	s_or_b64 exec, exec, s[8:9]
	s_and_saveexec_b64 s[0:1], s[2:3]
	s_cbranch_execz .LBB24_21
.LBB24_26:                              ;   in Loop: Header=BB24_4 Depth=1
	s_waitcnt vmcnt(0)
	v_mul_lo_u32 v1, v38, s22
	v_mov_b32_e32 v35, s13
	v_mad_u64_u32 v[1:2], s[2:3], v1, v41, v[3:4]
	v_add_co_u32_e32 v2, vcc, s12, v11
	v_addc_co_u32_e32 v3, vcc, v12, v35, vcc
	global_store_dword v[2:3], v1, off
	s_or_b64 exec, exec, s[0:1]
	s_and_saveexec_b64 s[0:1], s[6:7]
	s_cbranch_execz .LBB24_3
.LBB24_27:                              ;   in Loop: Header=BB24_4 Depth=1
	s_waitcnt vmcnt(0)
	v_mul_lo_u32 v1, v40, s22
	v_mov_b32_e32 v3, s13
	v_mad_u64_u32 v[1:2], s[2:3], v1, v42, v[4:5]
	v_add_co_u32_e32 v2, vcc, s12, v5
	v_addc_co_u32_e32 v3, vcc, v6, v3, vcc
	global_store_dword v[2:3], v1, off
	s_branch .LBB24_3
.LBB24_28:
	s_mov_b64 s[8:9], 0
.LBB24_29:
	s_andn2_b64 vcc, exec, s[8:9]
	s_cbranch_vccnz .LBB24_33
; %bb.30:
	v_mov_b32_e32 v1, 0x10000
	v_mov_b32_e32 v2, 0
	v_cmp_lt_i64_e32 vcc, s[10:11], v[1:2]
	v_mov_b32_e32 v2, 0
	s_and_b64 s[0:1], vcc, exec
	s_cselect_b32 s7, s11, 0
	s_cselect_b32 s6, s10, 0x10000
	v_lshlrev_b32_e32 v1, 2, v0
	v_cmp_gt_i64_e32 vcc, s[6:7], v[1:2]
	s_and_saveexec_b64 s[0:1], vcc
	s_cbranch_execz .LBB24_33
; %bb.31:
	s_load_dword s0, s[4:5], 0xc5c
	v_mov_b32_e32 v1, v2
	v_lshlrev_b32_e32 v2, 4, v0
	s_mov_b64 s[4:5], 0
	s_waitcnt lgkmcnt(0)
	s_and_b32 s8, s0, 0xffff
	s_lshl_b32 s9, s8, 4
.LBB24_32:                              ; =>This Inner Loop Header: Depth=1
	v_mov_b32_e32 v4, s26
	v_add_co_u32_e32 v15, vcc, s25, v2
	v_mov_b32_e32 v3, s24
	v_mov_b32_e32 v5, s28
	v_add_co_u32_e64 v17, s[0:1], s27, v2
	v_add_co_u32_e64 v19, s[2:3], s23, v2
	v_addc_co_u32_e32 v16, vcc, 0, v4, vcc
	v_addc_co_u32_e64 v20, s[2:3], 0, v3, s[2:3]
	v_addc_co_u32_e64 v18, vcc, 0, v5, s[0:1]
	global_load_dwordx4 v[3:6], v[15:16], off
	global_load_dwordx4 v[7:10], v[19:20], off
	;; [unrolled: 1-line block ×3, first 2 shown]
	v_add_co_u32_e32 v0, vcc, s8, v0
	v_addc_co_u32_e32 v1, vcc, 0, v1, vcc
	v_lshlrev_b64 v[15:16], 2, v[0:1]
	s_add_u32 s27, s27, s9
	v_cmp_le_i64_e32 vcc, s[6:7], v[15:16]
	s_addc_u32 s28, s28, 0
	s_add_u32 s23, s23, s9
	s_addc_u32 s24, s24, 0
	s_add_u32 s25, s25, s9
	s_addc_u32 s26, s26, 0
	s_or_b64 s[4:5], vcc, s[4:5]
	s_waitcnt vmcnt(2)
	v_mul_lo_u32 v3, v3, s22
	v_mul_lo_u32 v16, v4, s22
	;; [unrolled: 1-line block ×4, first 2 shown]
	s_waitcnt vmcnt(1)
	v_mov_b32_e32 v5, v10
	s_waitcnt vmcnt(0)
	v_mad_u64_u32 v[3:4], s[0:1], v3, v11, v[7:8]
	v_mad_u64_u32 v[14:15], s[0:1], v6, v14, v[5:6]
	;; [unrolled: 1-line block ×4, first 2 shown]
	v_mov_b32_e32 v6, v14
	global_store_dwordx4 v[19:20], v[3:6], off
	s_andn2_b64 exec, exec, s[4:5]
	s_cbranch_execnz .LBB24_32
.LBB24_33:
	s_endpgm
	.section	.rodata,"a",@progbits
	.p2align	6, 0x0
	.amdhsa_kernel _ZN2at6native12_GLOBAL__N_125multi_tensor_apply_kernelINS1_18TensorListMetadataILi3EEENS1_24PointwiseOpScalarFunctorIiLi3ELi3ELi0EEEJSt10multipliesIiEiEEEvT_T0_DpT1_
		.amdhsa_group_segment_fixed_size 0
		.amdhsa_private_segment_fixed_size 0
		.amdhsa_kernarg_size 3408
		.amdhsa_user_sgpr_count 6
		.amdhsa_user_sgpr_private_segment_buffer 1
		.amdhsa_user_sgpr_dispatch_ptr 0
		.amdhsa_user_sgpr_queue_ptr 0
		.amdhsa_user_sgpr_kernarg_segment_ptr 1
		.amdhsa_user_sgpr_dispatch_id 0
		.amdhsa_user_sgpr_flat_scratch_init 0
		.amdhsa_user_sgpr_private_segment_size 0
		.amdhsa_uses_dynamic_stack 0
		.amdhsa_system_sgpr_private_segment_wavefront_offset 0
		.amdhsa_system_sgpr_workgroup_id_x 1
		.amdhsa_system_sgpr_workgroup_id_y 0
		.amdhsa_system_sgpr_workgroup_id_z 0
		.amdhsa_system_sgpr_workgroup_info 0
		.amdhsa_system_vgpr_workitem_id 0
		.amdhsa_next_free_vgpr 46
		.amdhsa_next_free_sgpr 31
		.amdhsa_reserve_vcc 1
		.amdhsa_reserve_flat_scratch 0
		.amdhsa_float_round_mode_32 0
		.amdhsa_float_round_mode_16_64 0
		.amdhsa_float_denorm_mode_32 3
		.amdhsa_float_denorm_mode_16_64 3
		.amdhsa_dx10_clamp 1
		.amdhsa_ieee_mode 1
		.amdhsa_fp16_overflow 0
		.amdhsa_exception_fp_ieee_invalid_op 0
		.amdhsa_exception_fp_denorm_src 0
		.amdhsa_exception_fp_ieee_div_zero 0
		.amdhsa_exception_fp_ieee_overflow 0
		.amdhsa_exception_fp_ieee_underflow 0
		.amdhsa_exception_fp_ieee_inexact 0
		.amdhsa_exception_int_div_zero 0
	.end_amdhsa_kernel
	.section	.text._ZN2at6native12_GLOBAL__N_125multi_tensor_apply_kernelINS1_18TensorListMetadataILi3EEENS1_24PointwiseOpScalarFunctorIiLi3ELi3ELi0EEEJSt10multipliesIiEiEEEvT_T0_DpT1_,"axG",@progbits,_ZN2at6native12_GLOBAL__N_125multi_tensor_apply_kernelINS1_18TensorListMetadataILi3EEENS1_24PointwiseOpScalarFunctorIiLi3ELi3ELi0EEEJSt10multipliesIiEiEEEvT_T0_DpT1_,comdat
.Lfunc_end24:
	.size	_ZN2at6native12_GLOBAL__N_125multi_tensor_apply_kernelINS1_18TensorListMetadataILi3EEENS1_24PointwiseOpScalarFunctorIiLi3ELi3ELi0EEEJSt10multipliesIiEiEEEvT_T0_DpT1_, .Lfunc_end24-_ZN2at6native12_GLOBAL__N_125multi_tensor_apply_kernelINS1_18TensorListMetadataILi3EEENS1_24PointwiseOpScalarFunctorIiLi3ELi3ELi0EEEJSt10multipliesIiEiEEEvT_T0_DpT1_
                                        ; -- End function
	.set _ZN2at6native12_GLOBAL__N_125multi_tensor_apply_kernelINS1_18TensorListMetadataILi3EEENS1_24PointwiseOpScalarFunctorIiLi3ELi3ELi0EEEJSt10multipliesIiEiEEEvT_T0_DpT1_.num_vgpr, 46
	.set _ZN2at6native12_GLOBAL__N_125multi_tensor_apply_kernelINS1_18TensorListMetadataILi3EEENS1_24PointwiseOpScalarFunctorIiLi3ELi3ELi0EEEJSt10multipliesIiEiEEEvT_T0_DpT1_.num_agpr, 0
	.set _ZN2at6native12_GLOBAL__N_125multi_tensor_apply_kernelINS1_18TensorListMetadataILi3EEENS1_24PointwiseOpScalarFunctorIiLi3ELi3ELi0EEEJSt10multipliesIiEiEEEvT_T0_DpT1_.numbered_sgpr, 31
	.set _ZN2at6native12_GLOBAL__N_125multi_tensor_apply_kernelINS1_18TensorListMetadataILi3EEENS1_24PointwiseOpScalarFunctorIiLi3ELi3ELi0EEEJSt10multipliesIiEiEEEvT_T0_DpT1_.num_named_barrier, 0
	.set _ZN2at6native12_GLOBAL__N_125multi_tensor_apply_kernelINS1_18TensorListMetadataILi3EEENS1_24PointwiseOpScalarFunctorIiLi3ELi3ELi0EEEJSt10multipliesIiEiEEEvT_T0_DpT1_.private_seg_size, 0
	.set _ZN2at6native12_GLOBAL__N_125multi_tensor_apply_kernelINS1_18TensorListMetadataILi3EEENS1_24PointwiseOpScalarFunctorIiLi3ELi3ELi0EEEJSt10multipliesIiEiEEEvT_T0_DpT1_.uses_vcc, 1
	.set _ZN2at6native12_GLOBAL__N_125multi_tensor_apply_kernelINS1_18TensorListMetadataILi3EEENS1_24PointwiseOpScalarFunctorIiLi3ELi3ELi0EEEJSt10multipliesIiEiEEEvT_T0_DpT1_.uses_flat_scratch, 0
	.set _ZN2at6native12_GLOBAL__N_125multi_tensor_apply_kernelINS1_18TensorListMetadataILi3EEENS1_24PointwiseOpScalarFunctorIiLi3ELi3ELi0EEEJSt10multipliesIiEiEEEvT_T0_DpT1_.has_dyn_sized_stack, 0
	.set _ZN2at6native12_GLOBAL__N_125multi_tensor_apply_kernelINS1_18TensorListMetadataILi3EEENS1_24PointwiseOpScalarFunctorIiLi3ELi3ELi0EEEJSt10multipliesIiEiEEEvT_T0_DpT1_.has_recursion, 0
	.set _ZN2at6native12_GLOBAL__N_125multi_tensor_apply_kernelINS1_18TensorListMetadataILi3EEENS1_24PointwiseOpScalarFunctorIiLi3ELi3ELi0EEEJSt10multipliesIiEiEEEvT_T0_DpT1_.has_indirect_call, 0
	.section	.AMDGPU.csdata,"",@progbits
; Kernel info:
; codeLenInByte = 1844
; TotalNumSgprs: 35
; NumVgprs: 46
; ScratchSize: 0
; MemoryBound: 0
; FloatMode: 240
; IeeeMode: 1
; LDSByteSize: 0 bytes/workgroup (compile time only)
; SGPRBlocks: 4
; VGPRBlocks: 11
; NumSGPRsForWavesPerEU: 35
; NumVGPRsForWavesPerEU: 46
; Occupancy: 5
; WaveLimiterHint : 0
; COMPUTE_PGM_RSRC2:SCRATCH_EN: 0
; COMPUTE_PGM_RSRC2:USER_SGPR: 6
; COMPUTE_PGM_RSRC2:TRAP_HANDLER: 0
; COMPUTE_PGM_RSRC2:TGID_X_EN: 1
; COMPUTE_PGM_RSRC2:TGID_Y_EN: 0
; COMPUTE_PGM_RSRC2:TGID_Z_EN: 0
; COMPUTE_PGM_RSRC2:TIDIG_COMP_CNT: 0
	.section	.text._ZN2at6native12_GLOBAL__N_125multi_tensor_apply_kernelINS1_18TensorListMetadataILi3EEENS1_24PointwiseOpScalarFunctorIlLi3ELi3ELi0EEEJSt10multipliesIlElEEEvT_T0_DpT1_,"axG",@progbits,_ZN2at6native12_GLOBAL__N_125multi_tensor_apply_kernelINS1_18TensorListMetadataILi3EEENS1_24PointwiseOpScalarFunctorIlLi3ELi3ELi0EEEJSt10multipliesIlElEEEvT_T0_DpT1_,comdat
	.globl	_ZN2at6native12_GLOBAL__N_125multi_tensor_apply_kernelINS1_18TensorListMetadataILi3EEENS1_24PointwiseOpScalarFunctorIlLi3ELi3ELi0EEEJSt10multipliesIlElEEEvT_T0_DpT1_ ; -- Begin function _ZN2at6native12_GLOBAL__N_125multi_tensor_apply_kernelINS1_18TensorListMetadataILi3EEENS1_24PointwiseOpScalarFunctorIlLi3ELi3ELi0EEEJSt10multipliesIlElEEEvT_T0_DpT1_
	.p2align	8
	.type	_ZN2at6native12_GLOBAL__N_125multi_tensor_apply_kernelINS1_18TensorListMetadataILi3EEENS1_24PointwiseOpScalarFunctorIlLi3ELi3ELi0EEEJSt10multipliesIlElEEEvT_T0_DpT1_,@function
_ZN2at6native12_GLOBAL__N_125multi_tensor_apply_kernelINS1_18TensorListMetadataILi3EEENS1_24PointwiseOpScalarFunctorIlLi3ELi3ELi0EEEJSt10multipliesIlElEEEvT_T0_DpT1_: ; @_ZN2at6native12_GLOBAL__N_125multi_tensor_apply_kernelINS1_18TensorListMetadataILi3EEENS1_24PointwiseOpScalarFunctorIlLi3ELi3ELi0EEEJSt10multipliesIlElEEEvT_T0_DpT1_
; %bb.0:
	v_mov_b32_e32 v1, s6
	global_load_ubyte v1, v1, s[4:5] offset:1536
	s_add_u32 s0, s4, s6
	s_mul_hi_u32 s1, s6, 3
	s_mul_i32 s6, s6, 3
	s_addc_u32 s2, s5, 0
	s_add_u32 s0, s0, s6
	s_addc_u32 s1, s2, s1
	s_load_dword s8, s[0:1], 0x740
	s_load_dwordx2 s[10:11], s[4:5], 0xc50
	s_mov_b32 s17, 0
	s_mov_b32 s19, s17
	s_waitcnt lgkmcnt(0)
	s_ashr_i32 s9, s8, 31
	s_lshl_b64 s[14:15], s[8:9], 19
	s_waitcnt vmcnt(0)
	v_readfirstlane_b32 s0, v1
	s_lshl_b32 s12, s0, 3
	s_load_dwordx2 s[6:7], s[4:5], s12 offset:0x0
	s_load_dwordx2 s[20:21], s[4:5], s12 offset:0x480
	;; [unrolled: 1-line block ×4, first 2 shown]
	s_waitcnt lgkmcnt(0)
	s_add_u32 s24, s6, s14
	s_addc_u32 s25, s7, s15
	s_and_b32 s16, s24, 31
	s_add_u32 s26, s2, s14
	s_addc_u32 s27, s3, s15
	s_add_u32 s28, s0, s14
	s_addc_u32 s29, s1, s15
	s_or_b32 s12, s28, s26
	s_and_b32 s12, s12, 31
	s_cmp_eq_u32 s12, 0
	s_cselect_b64 s[22:23], -1, 0
	s_lshl_b64 s[8:9], s[8:9], 16
	s_sub_u32 s12, s20, s8
	s_subb_u32 s13, s21, s9
	s_and_b32 s18, s20, 3
	s_or_b64 s[8:9], s[16:17], s[18:19]
	s_cmp_eq_u64 s[8:9], 0
	s_cselect_b64 s[8:9], -1, 0
	s_and_b64 s[16:17], s[22:23], s[8:9]
	s_mov_b64 s[8:9], -1
	s_and_b64 vcc, exec, s[16:17]
	s_cbranch_vccnz .LBB25_29
; %bb.1:
	v_cmp_lt_i64_e64 s[8:9], s[12:13], 1
	s_and_b64 vcc, exec, s[8:9]
	s_cbranch_vccnz .LBB25_28
; %bb.2:
	v_mov_b32_e32 v1, 0x10000
	s_load_dword s18, s[4:5], 0xc64
	v_mov_b32_e32 v2, 0
	v_cmp_lt_i64_e32 vcc, s[12:13], v[1:2]
	v_mov_b32_e32 v3, 0
	s_and_b64 s[8:9], vcc, exec
	s_cselect_b32 s17, s13, 0
	s_cselect_b32 s16, s12, 0x10000
	v_cmp_lt_u64_e32 vcc, s[12:13], v[1:2]
	s_waitcnt lgkmcnt(0)
	s_and_b32 s20, s18, 0xffff
	v_lshlrev_b32_e32 v2, 3, v0
	v_mad_u64_u32 v[3:4], s[8:9], s20, 24, v[2:3]
	s_and_b64 s[8:9], vcc, exec
	v_mov_b32_e32 v7, s7
	v_add_co_u32_e32 v25, vcc, s6, v3
	v_addc_co_u32_e32 v26, vcc, v7, v4, vcc
	v_mov_b32_e32 v7, s3
	v_add_co_u32_e32 v27, vcc, s2, v3
	v_addc_co_u32_e32 v28, vcc, v7, v4, vcc
	v_mov_b32_e32 v7, s1
	v_add_co_u32_e32 v29, vcc, s0, v3
	s_cselect_b32 s19, s13, 0
	s_cselect_b32 s18, s12, 0x10000
	v_addc_co_u32_e32 v30, vcc, v7, v4, vcc
	s_lshl_b32 s8, s20, 4
	v_add_co_u32_e32 v3, vcc, s8, v2
	v_addc_co_u32_e64 v4, s[8:9], 0, 0, vcc
	v_mov_b32_e32 v7, s7
	v_add_co_u32_e32 v31, vcc, s6, v3
	v_addc_co_u32_e32 v32, vcc, v7, v4, vcc
	v_mov_b32_e32 v7, s3
	v_add_co_u32_e32 v33, vcc, s2, v3
	v_addc_co_u32_e32 v34, vcc, v7, v4, vcc
	;; [unrolled: 3-line block ×6, first 2 shown]
	v_add_co_u32_e32 v43, vcc, s20, v0
	v_lshlrev_b32_e32 v1, 3, v43
	v_addc_co_u32_e64 v44, s[8:9], 0, 0, vcc
	v_mov_b32_e32 v2, s7
	v_add_co_u32_e32 v45, vcc, s6, v1
	v_addc_co_u32_e32 v46, vcc, 0, v2, vcc
	v_mov_b32_e32 v2, s3
	v_add_co_u32_e32 v47, vcc, s2, v1
	v_addc_co_u32_e32 v48, vcc, 0, v2, vcc
	v_mov_b32_e32 v2, s1
	v_add_co_u32_e32 v49, vcc, s0, v1
	s_mul_i32 s23, s20, 3
	v_addc_co_u32_e32 v50, vcc, 0, v2, vcc
	s_lshl_b32 s22, s20, 1
	v_add_co_u32_e32 v51, vcc, s23, v0
	v_addc_co_u32_e64 v52, s[0:1], 0, 0, vcc
	v_add_co_u32_e32 v53, vcc, s22, v0
	s_lshl_b32 s30, s20, 2
	s_lshl_b32 s31, s20, 5
	s_mov_b64 s[20:21], 0
	v_addc_co_u32_e64 v54, s[0:1], 0, 0, vcc
	s_branch .LBB25_4
.LBB25_3:                               ;   in Loop: Header=BB25_4 Depth=1
	s_or_b64 exec, exec, s[0:1]
	v_add_co_u32_e32 v37, vcc, s31, v37
	v_addc_co_u32_e32 v38, vcc, 0, v38, vcc
	v_add_co_u32_e32 v39, vcc, s31, v39
	v_addc_co_u32_e32 v40, vcc, 0, v40, vcc
	;; [unrolled: 2-line block ×10, first 2 shown]
	s_add_u32 s20, s20, s30
	v_add_co_u32_e32 v47, vcc, s31, v47
	s_waitcnt vmcnt(0)
	v_mov_b32_e32 v1, s16
	s_addc_u32 s21, s21, 0
	v_addc_co_u32_e32 v48, vcc, 0, v48, vcc
	v_mov_b32_e32 v2, s17
	v_cmp_lt_i64_e32 vcc, s[20:21], v[1:2]
	v_add_co_u32_e64 v49, s[0:1], s31, v49
	v_addc_co_u32_e64 v50, s[0:1], 0, v50, s[0:1]
	s_cbranch_vccz .LBB25_28
.LBB25_4:                               ; =>This Inner Loop Header: Depth=1
	v_mov_b32_e32 v2, s21
	v_add_co_u32_e32 v1, vcc, s20, v0
	v_addc_co_u32_e32 v2, vcc, 0, v2, vcc
	v_cmp_gt_u64_e32 vcc, s[18:19], v[1:2]
	v_mov_b32_e32 v1, 0
	v_mov_b32_e32 v5, 0
	;; [unrolled: 1-line block ×6, first 2 shown]
	s_and_saveexec_b64 s[2:3], vcc
	s_cbranch_execz .LBB25_6
; %bb.5:                                ;   in Loop: Header=BB25_4 Depth=1
	v_mov_b32_e32 v3, s15
	v_add_co_u32_e64 v7, s[0:1], s14, v37
	v_addc_co_u32_e64 v8, s[0:1], v38, v3, s[0:1]
	v_add_co_u32_e64 v9, s[0:1], s14, v39
	v_addc_co_u32_e64 v10, s[0:1], v40, v3, s[0:1]
	global_load_dwordx2 v[3:4], v[7:8], off
	global_load_dwordx2 v[5:6], v[9:10], off
.LBB25_6:                               ;   in Loop: Header=BB25_4 Depth=1
	s_or_b64 exec, exec, s[2:3]
	s_and_saveexec_b64 s[2:3], vcc
	s_cbranch_execz .LBB25_8
; %bb.7:                                ;   in Loop: Header=BB25_4 Depth=1
	v_mov_b32_e32 v2, s15
	v_add_co_u32_e64 v1, s[0:1], s14, v41
	v_addc_co_u32_e64 v2, s[0:1], v42, v2, s[0:1]
	global_load_dwordx2 v[1:2], v[1:2], off
.LBB25_8:                               ;   in Loop: Header=BB25_4 Depth=1
	s_or_b64 exec, exec, s[2:3]
	v_mov_b32_e32 v8, s21
	v_add_co_u32_e64 v7, s[0:1], s20, v43
	v_addc_co_u32_e64 v8, s[0:1], v44, v8, s[0:1]
	v_cmp_gt_u64_e64 s[0:1], s[18:19], v[7:8]
	v_mov_b32_e32 v7, 0
	v_mov_b32_e32 v11, 0
	;; [unrolled: 1-line block ×6, first 2 shown]
	s_and_saveexec_b64 s[6:7], s[0:1]
	s_cbranch_execz .LBB25_10
; %bb.9:                                ;   in Loop: Header=BB25_4 Depth=1
	v_mov_b32_e32 v9, s15
	v_add_co_u32_e64 v13, s[2:3], s14, v45
	v_addc_co_u32_e64 v14, s[2:3], v46, v9, s[2:3]
	v_add_co_u32_e64 v15, s[2:3], s14, v47
	v_addc_co_u32_e64 v16, s[2:3], v48, v9, s[2:3]
	global_load_dwordx2 v[9:10], v[13:14], off
	global_load_dwordx2 v[11:12], v[15:16], off
.LBB25_10:                              ;   in Loop: Header=BB25_4 Depth=1
	s_or_b64 exec, exec, s[6:7]
	s_and_saveexec_b64 s[6:7], s[0:1]
	s_cbranch_execz .LBB25_12
; %bb.11:                               ;   in Loop: Header=BB25_4 Depth=1
	v_mov_b32_e32 v8, s15
	v_add_co_u32_e64 v7, s[2:3], s14, v49
	v_addc_co_u32_e64 v8, s[2:3], v50, v8, s[2:3]
	global_load_dwordx2 v[7:8], v[7:8], off
.LBB25_12:                              ;   in Loop: Header=BB25_4 Depth=1
	s_or_b64 exec, exec, s[6:7]
	v_mov_b32_e32 v14, s21
	v_add_co_u32_e64 v13, s[2:3], s20, v53
	v_addc_co_u32_e64 v14, s[2:3], v54, v14, s[2:3]
	v_cmp_gt_u64_e64 s[2:3], s[18:19], v[13:14]
	v_mov_b32_e32 v13, 0
	v_mov_b32_e32 v17, 0
	;; [unrolled: 1-line block ×6, first 2 shown]
	s_and_saveexec_b64 s[8:9], s[2:3]
	s_cbranch_execz .LBB25_14
; %bb.13:                               ;   in Loop: Header=BB25_4 Depth=1
	v_mov_b32_e32 v15, s15
	v_add_co_u32_e64 v19, s[6:7], s14, v31
	v_addc_co_u32_e64 v20, s[6:7], v32, v15, s[6:7]
	v_add_co_u32_e64 v21, s[6:7], s14, v33
	v_addc_co_u32_e64 v22, s[6:7], v34, v15, s[6:7]
	global_load_dwordx2 v[15:16], v[19:20], off
	global_load_dwordx2 v[17:18], v[21:22], off
.LBB25_14:                              ;   in Loop: Header=BB25_4 Depth=1
	s_or_b64 exec, exec, s[8:9]
	s_and_saveexec_b64 s[8:9], s[2:3]
	s_cbranch_execz .LBB25_16
; %bb.15:                               ;   in Loop: Header=BB25_4 Depth=1
	v_mov_b32_e32 v14, s15
	v_add_co_u32_e64 v13, s[6:7], s14, v35
	v_addc_co_u32_e64 v14, s[6:7], v36, v14, s[6:7]
	global_load_dwordx2 v[13:14], v[13:14], off
.LBB25_16:                              ;   in Loop: Header=BB25_4 Depth=1
	s_or_b64 exec, exec, s[8:9]
	v_mov_b32_e32 v20, s21
	v_add_co_u32_e64 v19, s[6:7], s20, v51
	v_addc_co_u32_e64 v20, s[6:7], v52, v20, s[6:7]
	v_cmp_gt_u64_e64 s[6:7], s[18:19], v[19:20]
	v_mov_b32_e32 v19, 0
	v_mov_b32_e32 v23, 0
	;; [unrolled: 1-line block ×6, first 2 shown]
	s_and_saveexec_b64 s[22:23], s[6:7]
	s_cbranch_execnz .LBB25_22
; %bb.17:                               ;   in Loop: Header=BB25_4 Depth=1
	s_or_b64 exec, exec, s[22:23]
	s_and_saveexec_b64 s[22:23], s[6:7]
	s_cbranch_execnz .LBB25_23
.LBB25_18:                              ;   in Loop: Header=BB25_4 Depth=1
	s_or_b64 exec, exec, s[22:23]
	s_and_saveexec_b64 s[8:9], vcc
	s_cbranch_execnz .LBB25_24
.LBB25_19:                              ;   in Loop: Header=BB25_4 Depth=1
	s_or_b64 exec, exec, s[8:9]
	s_and_saveexec_b64 s[8:9], s[0:1]
	s_cbranch_execnz .LBB25_25
.LBB25_20:                              ;   in Loop: Header=BB25_4 Depth=1
	s_or_b64 exec, exec, s[8:9]
	s_and_saveexec_b64 s[0:1], s[2:3]
	s_cbranch_execnz .LBB25_26
.LBB25_21:                              ;   in Loop: Header=BB25_4 Depth=1
	s_or_b64 exec, exec, s[0:1]
	s_and_saveexec_b64 s[0:1], s[6:7]
	s_cbranch_execz .LBB25_3
	s_branch .LBB25_27
.LBB25_22:                              ;   in Loop: Header=BB25_4 Depth=1
	v_mov_b32_e32 v21, s15
	v_add_co_u32_e64 v55, s[8:9], s14, v25
	v_addc_co_u32_e64 v56, s[8:9], v26, v21, s[8:9]
	v_add_co_u32_e64 v57, s[8:9], s14, v27
	v_addc_co_u32_e64 v58, s[8:9], v28, v21, s[8:9]
	global_load_dwordx2 v[21:22], v[55:56], off
	global_load_dwordx2 v[23:24], v[57:58], off
	s_or_b64 exec, exec, s[22:23]
	s_and_saveexec_b64 s[22:23], s[6:7]
	s_cbranch_execz .LBB25_18
.LBB25_23:                              ;   in Loop: Header=BB25_4 Depth=1
	v_mov_b32_e32 v20, s15
	v_add_co_u32_e64 v19, s[8:9], s14, v29
	v_addc_co_u32_e64 v20, s[8:9], v30, v20, s[8:9]
	global_load_dwordx2 v[19:20], v[19:20], off
	s_or_b64 exec, exec, s[22:23]
	s_and_saveexec_b64 s[8:9], vcc
	s_cbranch_execz .LBB25_19
.LBB25_24:                              ;   in Loop: Header=BB25_4 Depth=1
	s_waitcnt vmcnt(0)
	v_mul_lo_u32 v55, v6, s10
	v_mul_lo_u32 v56, v5, s11
	v_mad_u64_u32 v[5:6], s[22:23], v5, s10, 0
	v_mov_b32_e32 v57, s15
	v_add3_u32 v6, v6, v56, v55
	v_mul_lo_u32 v6, v6, v1
	v_mul_lo_u32 v55, v5, v2
	v_mad_u64_u32 v[1:2], s[22:23], v5, v1, v[3:4]
	v_add_co_u32_e32 v3, vcc, s14, v37
	v_addc_co_u32_e32 v4, vcc, v38, v57, vcc
	v_add3_u32 v2, v6, v2, v55
	global_store_dwordx2 v[3:4], v[1:2], off
	s_or_b64 exec, exec, s[8:9]
	s_and_saveexec_b64 s[8:9], s[0:1]
	s_cbranch_execz .LBB25_20
.LBB25_25:                              ;   in Loop: Header=BB25_4 Depth=1
	s_waitcnt vmcnt(0)
	v_mul_lo_u32 v3, v12, s10
	v_mul_lo_u32 v4, v11, s11
	v_mad_u64_u32 v[1:2], s[0:1], v11, s10, 0
	v_add3_u32 v3, v2, v4, v3
	v_mul_lo_u32 v4, v1, v8
	v_mad_u64_u32 v[1:2], s[0:1], v1, v7, v[9:10]
	v_mul_lo_u32 v3, v3, v7
	v_add3_u32 v2, v3, v2, v4
	v_mov_b32_e32 v4, s15
	v_add_co_u32_e32 v3, vcc, s14, v45
	v_addc_co_u32_e32 v4, vcc, v46, v4, vcc
	global_store_dwordx2 v[3:4], v[1:2], off
	s_or_b64 exec, exec, s[8:9]
	s_and_saveexec_b64 s[0:1], s[2:3]
	s_cbranch_execz .LBB25_21
.LBB25_26:                              ;   in Loop: Header=BB25_4 Depth=1
	s_waitcnt vmcnt(0)
	v_mul_lo_u32 v3, v18, s10
	v_mul_lo_u32 v4, v17, s11
	v_mad_u64_u32 v[1:2], s[2:3], v17, s10, 0
	v_add3_u32 v3, v2, v4, v3
	v_mul_lo_u32 v4, v1, v14
	v_mad_u64_u32 v[1:2], s[2:3], v1, v13, v[15:16]
	v_mul_lo_u32 v3, v3, v13
	v_add3_u32 v2, v3, v2, v4
	v_mov_b32_e32 v4, s15
	v_add_co_u32_e32 v3, vcc, s14, v31
	v_addc_co_u32_e32 v4, vcc, v32, v4, vcc
	global_store_dwordx2 v[3:4], v[1:2], off
	s_or_b64 exec, exec, s[0:1]
	s_and_saveexec_b64 s[0:1], s[6:7]
	s_cbranch_execz .LBB25_3
.LBB25_27:                              ;   in Loop: Header=BB25_4 Depth=1
	s_waitcnt vmcnt(0)
	v_mul_lo_u32 v3, v24, s10
	v_mul_lo_u32 v4, v23, s11
	v_mad_u64_u32 v[1:2], s[2:3], v23, s10, 0
	v_add3_u32 v3, v2, v4, v3
	v_mul_lo_u32 v4, v1, v20
	v_mad_u64_u32 v[1:2], s[2:3], v1, v19, v[21:22]
	v_mul_lo_u32 v3, v3, v19
	v_add3_u32 v2, v3, v2, v4
	v_mov_b32_e32 v4, s15
	v_add_co_u32_e32 v3, vcc, s14, v25
	v_addc_co_u32_e32 v4, vcc, v26, v4, vcc
	global_store_dwordx2 v[3:4], v[1:2], off
	s_branch .LBB25_3
.LBB25_28:
	s_mov_b64 s[8:9], 0
.LBB25_29:
	s_andn2_b64 vcc, exec, s[8:9]
	s_cbranch_vccnz .LBB25_33
; %bb.30:
	v_mov_b32_e32 v1, 0x10000
	v_mov_b32_e32 v2, 0
	v_cmp_lt_i64_e32 vcc, s[12:13], v[1:2]
	v_mov_b32_e32 v2, 0
	s_and_b64 s[0:1], vcc, exec
	s_cselect_b32 s7, s13, 0
	s_cselect_b32 s6, s12, 0x10000
	v_lshlrev_b32_e32 v1, 2, v0
	v_cmp_gt_i64_e32 vcc, s[6:7], v[1:2]
	s_and_saveexec_b64 s[0:1], vcc
	s_cbranch_execz .LBB25_33
; %bb.31:
	s_load_dword s0, s[4:5], 0xc64
	v_mov_b32_e32 v1, v2
	v_lshlrev_b32_e32 v2, 5, v0
	s_mov_b64 s[4:5], 0
	s_waitcnt lgkmcnt(0)
	s_and_b32 s8, s0, 0xffff
	s_lshl_b32 s9, s8, 5
.LBB25_32:                              ; =>This Inner Loop Header: Depth=1
	v_mov_b32_e32 v4, s27
	v_add_co_u32_e32 v27, vcc, s26, v2
	v_mov_b32_e32 v3, s25
	v_mov_b32_e32 v5, s29
	v_add_co_u32_e64 v29, s[0:1], s28, v2
	v_add_co_u32_e64 v31, s[2:3], s24, v2
	v_addc_co_u32_e32 v28, vcc, 0, v4, vcc
	v_addc_co_u32_e64 v32, s[2:3], 0, v3, s[2:3]
	v_addc_co_u32_e64 v30, vcc, 0, v5, s[0:1]
	global_load_dwordx4 v[3:6], v[27:28], off
	global_load_dwordx4 v[7:10], v[27:28], off offset:16
	global_load_dwordx4 v[11:14], v[29:30], off
	global_load_dwordx4 v[15:18], v[31:32], off
	global_load_dwordx4 v[19:22], v[29:30], off offset:16
	global_load_dwordx4 v[23:26], v[31:32], off offset:16
	v_add_co_u32_e32 v0, vcc, s8, v0
	v_addc_co_u32_e32 v1, vcc, 0, v1, vcc
	v_lshlrev_b64 v[27:28], 2, v[0:1]
	s_add_u32 s28, s28, s9
	v_cmp_le_i64_e32 vcc, s[6:7], v[27:28]
	s_addc_u32 s29, s29, 0
	s_add_u32 s24, s24, s9
	s_addc_u32 s25, s25, 0
	s_add_u32 s26, s26, s9
	s_addc_u32 s27, s27, 0
	s_or_b64 s[4:5], vcc, s[4:5]
	s_waitcnt vmcnt(5)
	v_mul_lo_u32 v27, v4, s10
	v_mul_lo_u32 v28, v3, s11
	v_mad_u64_u32 v[3:4], s[0:1], v3, s10, 0
	v_mul_lo_u32 v29, v6, s10
	v_mul_lo_u32 v30, v5, s11
	v_mad_u64_u32 v[5:6], s[0:1], v5, s10, 0
	s_waitcnt vmcnt(4)
	v_mul_lo_u32 v33, v8, s10
	v_mul_lo_u32 v34, v7, s11
	v_mad_u64_u32 v[7:8], s[0:1], v7, s10, 0
	v_mul_lo_u32 v35, v10, s10
	v_mul_lo_u32 v36, v9, s11
	v_mad_u64_u32 v[9:10], s[0:1], v9, s10, 0
	v_add3_u32 v27, v4, v28, v27
	s_waitcnt vmcnt(3)
	v_mul_lo_u32 v12, v3, v12
	s_waitcnt vmcnt(2)
	v_mad_u64_u32 v[3:4], s[0:1], v3, v11, v[15:16]
	v_add3_u32 v15, v6, v30, v29
	v_mul_lo_u32 v14, v5, v14
	v_mad_u64_u32 v[5:6], s[0:1], v5, v13, v[17:18]
	v_add3_u32 v16, v8, v34, v33
	v_add3_u32 v18, v10, v36, v35
	v_mul_lo_u32 v11, v27, v11
	v_mul_lo_u32 v13, v15, v13
	s_waitcnt vmcnt(1)
	v_mul_lo_u32 v17, v7, v20
	s_waitcnt vmcnt(0)
	v_mad_u64_u32 v[7:8], s[0:1], v7, v19, v[23:24]
	v_mul_lo_u32 v20, v9, v22
	v_mad_u64_u32 v[9:10], s[0:1], v9, v21, v[25:26]
	v_mul_lo_u32 v15, v16, v19
	v_mul_lo_u32 v16, v18, v21
	v_add3_u32 v4, v11, v4, v12
	v_add3_u32 v6, v13, v6, v14
	;; [unrolled: 1-line block ×4, first 2 shown]
	global_store_dwordx4 v[31:32], v[3:6], off
	global_store_dwordx4 v[31:32], v[7:10], off offset:16
	s_andn2_b64 exec, exec, s[4:5]
	s_cbranch_execnz .LBB25_32
.LBB25_33:
	s_endpgm
	.section	.rodata,"a",@progbits
	.p2align	6, 0x0
	.amdhsa_kernel _ZN2at6native12_GLOBAL__N_125multi_tensor_apply_kernelINS1_18TensorListMetadataILi3EEENS1_24PointwiseOpScalarFunctorIlLi3ELi3ELi0EEEJSt10multipliesIlElEEEvT_T0_DpT1_
		.amdhsa_group_segment_fixed_size 0
		.amdhsa_private_segment_fixed_size 0
		.amdhsa_kernarg_size 3416
		.amdhsa_user_sgpr_count 6
		.amdhsa_user_sgpr_private_segment_buffer 1
		.amdhsa_user_sgpr_dispatch_ptr 0
		.amdhsa_user_sgpr_queue_ptr 0
		.amdhsa_user_sgpr_kernarg_segment_ptr 1
		.amdhsa_user_sgpr_dispatch_id 0
		.amdhsa_user_sgpr_flat_scratch_init 0
		.amdhsa_user_sgpr_private_segment_size 0
		.amdhsa_uses_dynamic_stack 0
		.amdhsa_system_sgpr_private_segment_wavefront_offset 0
		.amdhsa_system_sgpr_workgroup_id_x 1
		.amdhsa_system_sgpr_workgroup_id_y 0
		.amdhsa_system_sgpr_workgroup_id_z 0
		.amdhsa_system_sgpr_workgroup_info 0
		.amdhsa_system_vgpr_workitem_id 0
		.amdhsa_next_free_vgpr 59
		.amdhsa_next_free_sgpr 32
		.amdhsa_reserve_vcc 1
		.amdhsa_reserve_flat_scratch 0
		.amdhsa_float_round_mode_32 0
		.amdhsa_float_round_mode_16_64 0
		.amdhsa_float_denorm_mode_32 3
		.amdhsa_float_denorm_mode_16_64 3
		.amdhsa_dx10_clamp 1
		.amdhsa_ieee_mode 1
		.amdhsa_fp16_overflow 0
		.amdhsa_exception_fp_ieee_invalid_op 0
		.amdhsa_exception_fp_denorm_src 0
		.amdhsa_exception_fp_ieee_div_zero 0
		.amdhsa_exception_fp_ieee_overflow 0
		.amdhsa_exception_fp_ieee_underflow 0
		.amdhsa_exception_fp_ieee_inexact 0
		.amdhsa_exception_int_div_zero 0
	.end_amdhsa_kernel
	.section	.text._ZN2at6native12_GLOBAL__N_125multi_tensor_apply_kernelINS1_18TensorListMetadataILi3EEENS1_24PointwiseOpScalarFunctorIlLi3ELi3ELi0EEEJSt10multipliesIlElEEEvT_T0_DpT1_,"axG",@progbits,_ZN2at6native12_GLOBAL__N_125multi_tensor_apply_kernelINS1_18TensorListMetadataILi3EEENS1_24PointwiseOpScalarFunctorIlLi3ELi3ELi0EEEJSt10multipliesIlElEEEvT_T0_DpT1_,comdat
.Lfunc_end25:
	.size	_ZN2at6native12_GLOBAL__N_125multi_tensor_apply_kernelINS1_18TensorListMetadataILi3EEENS1_24PointwiseOpScalarFunctorIlLi3ELi3ELi0EEEJSt10multipliesIlElEEEvT_T0_DpT1_, .Lfunc_end25-_ZN2at6native12_GLOBAL__N_125multi_tensor_apply_kernelINS1_18TensorListMetadataILi3EEENS1_24PointwiseOpScalarFunctorIlLi3ELi3ELi0EEEJSt10multipliesIlElEEEvT_T0_DpT1_
                                        ; -- End function
	.set _ZN2at6native12_GLOBAL__N_125multi_tensor_apply_kernelINS1_18TensorListMetadataILi3EEENS1_24PointwiseOpScalarFunctorIlLi3ELi3ELi0EEEJSt10multipliesIlElEEEvT_T0_DpT1_.num_vgpr, 59
	.set _ZN2at6native12_GLOBAL__N_125multi_tensor_apply_kernelINS1_18TensorListMetadataILi3EEENS1_24PointwiseOpScalarFunctorIlLi3ELi3ELi0EEEJSt10multipliesIlElEEEvT_T0_DpT1_.num_agpr, 0
	.set _ZN2at6native12_GLOBAL__N_125multi_tensor_apply_kernelINS1_18TensorListMetadataILi3EEENS1_24PointwiseOpScalarFunctorIlLi3ELi3ELi0EEEJSt10multipliesIlElEEEvT_T0_DpT1_.numbered_sgpr, 32
	.set _ZN2at6native12_GLOBAL__N_125multi_tensor_apply_kernelINS1_18TensorListMetadataILi3EEENS1_24PointwiseOpScalarFunctorIlLi3ELi3ELi0EEEJSt10multipliesIlElEEEvT_T0_DpT1_.num_named_barrier, 0
	.set _ZN2at6native12_GLOBAL__N_125multi_tensor_apply_kernelINS1_18TensorListMetadataILi3EEENS1_24PointwiseOpScalarFunctorIlLi3ELi3ELi0EEEJSt10multipliesIlElEEEvT_T0_DpT1_.private_seg_size, 0
	.set _ZN2at6native12_GLOBAL__N_125multi_tensor_apply_kernelINS1_18TensorListMetadataILi3EEENS1_24PointwiseOpScalarFunctorIlLi3ELi3ELi0EEEJSt10multipliesIlElEEEvT_T0_DpT1_.uses_vcc, 1
	.set _ZN2at6native12_GLOBAL__N_125multi_tensor_apply_kernelINS1_18TensorListMetadataILi3EEENS1_24PointwiseOpScalarFunctorIlLi3ELi3ELi0EEEJSt10multipliesIlElEEEvT_T0_DpT1_.uses_flat_scratch, 0
	.set _ZN2at6native12_GLOBAL__N_125multi_tensor_apply_kernelINS1_18TensorListMetadataILi3EEENS1_24PointwiseOpScalarFunctorIlLi3ELi3ELi0EEEJSt10multipliesIlElEEEvT_T0_DpT1_.has_dyn_sized_stack, 0
	.set _ZN2at6native12_GLOBAL__N_125multi_tensor_apply_kernelINS1_18TensorListMetadataILi3EEENS1_24PointwiseOpScalarFunctorIlLi3ELi3ELi0EEEJSt10multipliesIlElEEEvT_T0_DpT1_.has_recursion, 0
	.set _ZN2at6native12_GLOBAL__N_125multi_tensor_apply_kernelINS1_18TensorListMetadataILi3EEENS1_24PointwiseOpScalarFunctorIlLi3ELi3ELi0EEEJSt10multipliesIlElEEEvT_T0_DpT1_.has_indirect_call, 0
	.section	.AMDGPU.csdata,"",@progbits
; Kernel info:
; codeLenInByte = 2304
; TotalNumSgprs: 36
; NumVgprs: 59
; ScratchSize: 0
; MemoryBound: 0
; FloatMode: 240
; IeeeMode: 1
; LDSByteSize: 0 bytes/workgroup (compile time only)
; SGPRBlocks: 4
; VGPRBlocks: 14
; NumSGPRsForWavesPerEU: 36
; NumVGPRsForWavesPerEU: 59
; Occupancy: 4
; WaveLimiterHint : 0
; COMPUTE_PGM_RSRC2:SCRATCH_EN: 0
; COMPUTE_PGM_RSRC2:USER_SGPR: 6
; COMPUTE_PGM_RSRC2:TRAP_HANDLER: 0
; COMPUTE_PGM_RSRC2:TGID_X_EN: 1
; COMPUTE_PGM_RSRC2:TGID_Y_EN: 0
; COMPUTE_PGM_RSRC2:TGID_Z_EN: 0
; COMPUTE_PGM_RSRC2:TIDIG_COMP_CNT: 0
	.section	.text._ZN2at6native12_GLOBAL__N_125multi_tensor_apply_kernelINS1_18TensorListMetadataILi3EEENS1_24PointwiseOpScalarFunctorIsLi3ELi3ELi0EEEJSt10multipliesIsEsEEEvT_T0_DpT1_,"axG",@progbits,_ZN2at6native12_GLOBAL__N_125multi_tensor_apply_kernelINS1_18TensorListMetadataILi3EEENS1_24PointwiseOpScalarFunctorIsLi3ELi3ELi0EEEJSt10multipliesIsEsEEEvT_T0_DpT1_,comdat
	.globl	_ZN2at6native12_GLOBAL__N_125multi_tensor_apply_kernelINS1_18TensorListMetadataILi3EEENS1_24PointwiseOpScalarFunctorIsLi3ELi3ELi0EEEJSt10multipliesIsEsEEEvT_T0_DpT1_ ; -- Begin function _ZN2at6native12_GLOBAL__N_125multi_tensor_apply_kernelINS1_18TensorListMetadataILi3EEENS1_24PointwiseOpScalarFunctorIsLi3ELi3ELi0EEEJSt10multipliesIsEsEEEvT_T0_DpT1_
	.p2align	8
	.type	_ZN2at6native12_GLOBAL__N_125multi_tensor_apply_kernelINS1_18TensorListMetadataILi3EEENS1_24PointwiseOpScalarFunctorIsLi3ELi3ELi0EEEJSt10multipliesIsEsEEEvT_T0_DpT1_,@function
_ZN2at6native12_GLOBAL__N_125multi_tensor_apply_kernelINS1_18TensorListMetadataILi3EEENS1_24PointwiseOpScalarFunctorIsLi3ELi3ELi0EEEJSt10multipliesIsEsEEEvT_T0_DpT1_: ; @_ZN2at6native12_GLOBAL__N_125multi_tensor_apply_kernelINS1_18TensorListMetadataILi3EEENS1_24PointwiseOpScalarFunctorIsLi3ELi3ELi0EEEJSt10multipliesIsEsEEEvT_T0_DpT1_
; %bb.0:
	v_mov_b32_e32 v1, s6
	global_load_ubyte v1, v1, s[4:5] offset:1536
	s_load_dword s0, s[4:5], 0xc48
	s_mul_i32 s7, s6, 3
	s_mul_hi_u32 s2, s6, 3
	s_mov_b32 s1, 0
	s_mov_b32 s3, s1
	s_waitcnt lgkmcnt(0)
	s_lshr_b32 s28, s0, 16
	s_add_u32 s0, s4, s6
	s_addc_u32 s8, s5, 0
	s_add_u32 s6, s0, s7
	s_addc_u32 s7, s8, s2
	s_load_dword s6, s[6:7], 0x740
	s_waitcnt lgkmcnt(0)
	s_ashr_i32 s7, s6, 31
	s_lshl_b64 s[16:17], s[6:7], 17
	s_waitcnt vmcnt(0)
	v_readfirstlane_b32 s0, v1
	s_lshl_b32 s0, s0, 3
	s_load_dwordx2 s[8:9], s[4:5], s0 offset:0x480
	s_load_dwordx2 s[10:11], s[4:5], s0 offset:0x0
	;; [unrolled: 1-line block ×4, first 2 shown]
	s_waitcnt lgkmcnt(0)
	s_and_b32 s0, s10, 7
	s_add_u32 s2, s12, s16
	s_or_b32 s2, s14, s2
	s_and_b32 s2, s2, 7
	s_cmp_eq_u32 s2, 0
	s_cselect_b64 s[20:21], -1, 0
	s_lshl_b64 s[6:7], s[6:7], 16
	s_sub_u32 s18, s8, s6
	s_subb_u32 s19, s9, s7
	s_and_b32 s2, s8, 3
	s_or_b64 s[0:1], s[0:1], s[2:3]
	s_cmp_eq_u64 s[0:1], 0
	s_cselect_b64 s[0:1], -1, 0
	s_and_b64 s[2:3], s[20:21], s[0:1]
	s_mov_b64 s[0:1], -1
	s_and_b64 vcc, exec, s[2:3]
	s_cbranch_vccnz .LBB26_29
; %bb.1:
	v_cmp_lt_i64_e64 s[0:1], s[18:19], 1
	s_and_b64 vcc, exec, s[0:1]
	s_cbranch_vccnz .LBB26_28
; %bb.2:
	v_mov_b32_e32 v1, 0x10000
	s_load_dword s2, s[4:5], 0xc5c
	v_mov_b32_e32 v2, 0
	v_cmp_lt_i64_e32 vcc, s[18:19], v[1:2]
	v_mov_b32_e32 v18, 0
	s_and_b64 s[0:1], vcc, exec
	s_cselect_b32 s21, s19, 0
	s_cselect_b32 s20, s18, 0x10000
	s_waitcnt lgkmcnt(0)
	s_and_b32 s2, s2, 0xffff
	v_lshlrev_b32_e32 v17, 1, v0
	v_mad_u64_u32 v[5:6], s[0:1], s2, 6, v[17:18]
	v_cmp_lt_u64_e32 vcc, s[18:19], v[1:2]
	v_mov_b32_e32 v2, s11
	s_and_b64 s[0:1], vcc, exec
	v_add_co_u32_e32 v1, vcc, s10, v5
	v_addc_co_u32_e32 v2, vcc, v2, v6, vcc
	v_mov_b32_e32 v4, s13
	v_add_co_u32_e32 v3, vcc, s12, v5
	v_addc_co_u32_e32 v4, vcc, v4, v6, vcc
	v_mov_b32_e32 v7, s15
	v_add_co_u32_e32 v5, vcc, s14, v5
	s_cselect_b32 s23, s19, 0
	s_cselect_b32 s22, s18, 0x10000
	s_lshl_b32 s29, s2, 2
	v_addc_co_u32_e32 v6, vcc, v7, v6, vcc
	v_add_co_u32_e32 v11, vcc, s29, v17
	v_addc_co_u32_e64 v12, s[0:1], 0, 0, vcc
	v_mov_b32_e32 v8, s11
	v_add_co_u32_e32 v7, vcc, s10, v11
	v_addc_co_u32_e32 v8, vcc, v8, v12, vcc
	v_mov_b32_e32 v10, s13
	v_add_co_u32_e32 v9, vcc, s12, v11
	v_addc_co_u32_e32 v10, vcc, v10, v12, vcc
	;; [unrolled: 3-line block ×6, first 2 shown]
	v_add_co_u32_e32 v19, vcc, s2, v0
	v_lshlrev_b32_e32 v25, 1, v19
	v_addc_co_u32_e64 v20, s[0:1], 0, 0, vcc
	v_mov_b32_e32 v22, s11
	v_add_co_u32_e32 v21, vcc, s10, v25
	v_addc_co_u32_e32 v22, vcc, 0, v22, vcc
	v_mov_b32_e32 v24, s13
	v_add_co_u32_e32 v23, vcc, s12, v25
	v_addc_co_u32_e32 v24, vcc, 0, v24, vcc
	v_mov_b32_e32 v26, s15
	v_add_co_u32_e32 v25, vcc, s14, v25
	s_mul_i32 s6, s2, 3
	v_addc_co_u32_e32 v26, vcc, 0, v26, vcc
	s_lshl_b32 s3, s2, 1
	v_add_co_u32_e32 v27, vcc, s6, v0
	v_addc_co_u32_e64 v28, s[0:1], 0, 0, vcc
	v_add_co_u32_e32 v29, vcc, s3, v0
	s_lshl_b32 s30, s2, 3
	s_mov_b64 s[24:25], 0
	v_addc_co_u32_e64 v30, s[0:1], 0, 0, vcc
	s_branch .LBB26_4
.LBB26_3:                               ;   in Loop: Header=BB26_4 Depth=1
	s_or_b64 exec, exec, s[0:1]
	v_add_co_u32_e32 v13, vcc, s30, v13
	v_addc_co_u32_e32 v14, vcc, 0, v14, vcc
	v_add_co_u32_e32 v15, vcc, s30, v15
	v_addc_co_u32_e32 v16, vcc, 0, v16, vcc
	;; [unrolled: 2-line block ×10, first 2 shown]
	s_add_u32 s24, s24, s29
	v_add_co_u32_e32 v23, vcc, s30, v23
	s_waitcnt vmcnt(0)
	v_mov_b32_e32 v32, s21
	s_addc_u32 s25, s25, 0
	v_addc_co_u32_e32 v24, vcc, 0, v24, vcc
	v_mov_b32_e32 v31, s20
	v_cmp_lt_i64_e32 vcc, s[24:25], v[31:32]
	v_add_co_u32_e64 v25, s[0:1], s30, v25
	v_addc_co_u32_e64 v26, s[0:1], 0, v26, s[0:1]
	s_cbranch_vccz .LBB26_28
.LBB26_4:                               ; =>This Inner Loop Header: Depth=1
	v_mov_b32_e32 v32, s25
	v_add_co_u32_e32 v31, vcc, s24, v0
	v_addc_co_u32_e32 v32, vcc, 0, v32, vcc
	v_cmp_gt_u64_e32 vcc, s[22:23], v[31:32]
	v_mov_b32_e32 v32, 0
	v_mov_b32_e32 v31, 0
	s_and_saveexec_b64 s[2:3], vcc
	s_cbranch_execz .LBB26_6
; %bb.5:                                ;   in Loop: Header=BB26_4 Depth=1
	v_mov_b32_e32 v31, s17
	v_add_co_u32_e64 v33, s[0:1], s16, v13
	v_addc_co_u32_e64 v34, s[0:1], v14, v31, s[0:1]
	v_add_co_u32_e64 v35, s[0:1], s16, v15
	v_addc_co_u32_e64 v36, s[0:1], v16, v31, s[0:1]
	global_load_ushort v31, v[33:34], off
	global_load_ushort v32, v[35:36], off
.LBB26_6:                               ;   in Loop: Header=BB26_4 Depth=1
	s_or_b64 exec, exec, s[2:3]
	v_mov_b32_e32 v33, 0
	v_mov_b32_e32 v34, 0
	s_and_saveexec_b64 s[2:3], vcc
	s_cbranch_execz .LBB26_8
; %bb.7:                                ;   in Loop: Header=BB26_4 Depth=1
	v_mov_b32_e32 v35, s17
	v_add_co_u32_e64 v34, s[0:1], s16, v17
	v_addc_co_u32_e64 v35, s[0:1], v18, v35, s[0:1]
	global_load_ushort v34, v[34:35], off
.LBB26_8:                               ;   in Loop: Header=BB26_4 Depth=1
	s_or_b64 exec, exec, s[2:3]
	v_mov_b32_e32 v36, s25
	v_add_co_u32_e64 v35, s[0:1], s24, v19
	v_addc_co_u32_e64 v36, s[0:1], v20, v36, s[0:1]
	v_cmp_gt_u64_e64 s[0:1], s[22:23], v[35:36]
	v_mov_b32_e32 v35, 0
	s_and_saveexec_b64 s[6:7], s[0:1]
	s_cbranch_execz .LBB26_10
; %bb.9:                                ;   in Loop: Header=BB26_4 Depth=1
	v_mov_b32_e32 v33, s17
	v_add_co_u32_e64 v36, s[2:3], s16, v23
	v_addc_co_u32_e64 v37, s[2:3], v24, v33, s[2:3]
	v_add_co_u32_e64 v38, s[2:3], s16, v21
	v_addc_co_u32_e64 v39, s[2:3], v22, v33, s[2:3]
	global_load_ushort v35, v[38:39], off
	global_load_ushort v33, v[36:37], off
.LBB26_10:                              ;   in Loop: Header=BB26_4 Depth=1
	s_or_b64 exec, exec, s[6:7]
	v_mov_b32_e32 v36, 0
	v_mov_b32_e32 v37, 0
	s_and_saveexec_b64 s[6:7], s[0:1]
	s_cbranch_execz .LBB26_12
; %bb.11:                               ;   in Loop: Header=BB26_4 Depth=1
	v_mov_b32_e32 v38, s17
	v_add_co_u32_e64 v37, s[2:3], s16, v25
	v_addc_co_u32_e64 v38, s[2:3], v26, v38, s[2:3]
	global_load_ushort v37, v[37:38], off
.LBB26_12:                              ;   in Loop: Header=BB26_4 Depth=1
	s_or_b64 exec, exec, s[6:7]
	v_mov_b32_e32 v39, s25
	v_add_co_u32_e64 v38, s[2:3], s24, v29
	v_addc_co_u32_e64 v39, s[2:3], v30, v39, s[2:3]
	v_cmp_gt_u64_e64 s[2:3], s[22:23], v[38:39]
	v_mov_b32_e32 v38, 0
	s_and_saveexec_b64 s[8:9], s[2:3]
	s_cbranch_execz .LBB26_14
; %bb.13:                               ;   in Loop: Header=BB26_4 Depth=1
	v_mov_b32_e32 v36, s17
	v_add_co_u32_e64 v39, s[6:7], s16, v9
	v_addc_co_u32_e64 v40, s[6:7], v10, v36, s[6:7]
	v_add_co_u32_e64 v41, s[6:7], s16, v7
	v_addc_co_u32_e64 v42, s[6:7], v8, v36, s[6:7]
	global_load_ushort v38, v[41:42], off
	global_load_ushort v36, v[39:40], off
.LBB26_14:                              ;   in Loop: Header=BB26_4 Depth=1
	s_or_b64 exec, exec, s[8:9]
	v_mov_b32_e32 v39, 0
	v_mov_b32_e32 v40, 0
	s_and_saveexec_b64 s[8:9], s[2:3]
	s_cbranch_execz .LBB26_16
; %bb.15:                               ;   in Loop: Header=BB26_4 Depth=1
	v_mov_b32_e32 v41, s17
	v_add_co_u32_e64 v40, s[6:7], s16, v11
	v_addc_co_u32_e64 v41, s[6:7], v12, v41, s[6:7]
	global_load_ushort v40, v[40:41], off
.LBB26_16:                              ;   in Loop: Header=BB26_4 Depth=1
	s_or_b64 exec, exec, s[8:9]
	v_mov_b32_e32 v42, s25
	v_add_co_u32_e64 v41, s[6:7], s24, v27
	v_addc_co_u32_e64 v42, s[6:7], v28, v42, s[6:7]
	v_cmp_gt_u64_e64 s[6:7], s[22:23], v[41:42]
	v_mov_b32_e32 v41, 0
	s_and_saveexec_b64 s[26:27], s[6:7]
	s_cbranch_execnz .LBB26_22
; %bb.17:                               ;   in Loop: Header=BB26_4 Depth=1
	s_or_b64 exec, exec, s[26:27]
	v_mov_b32_e32 v42, 0
	s_and_saveexec_b64 s[26:27], s[6:7]
	s_cbranch_execnz .LBB26_23
.LBB26_18:                              ;   in Loop: Header=BB26_4 Depth=1
	s_or_b64 exec, exec, s[26:27]
	s_and_saveexec_b64 s[8:9], vcc
	s_cbranch_execnz .LBB26_24
.LBB26_19:                              ;   in Loop: Header=BB26_4 Depth=1
	s_or_b64 exec, exec, s[8:9]
	s_and_saveexec_b64 s[8:9], s[0:1]
	s_cbranch_execnz .LBB26_25
.LBB26_20:                              ;   in Loop: Header=BB26_4 Depth=1
	s_or_b64 exec, exec, s[8:9]
	s_and_saveexec_b64 s[0:1], s[2:3]
	s_cbranch_execnz .LBB26_26
.LBB26_21:                              ;   in Loop: Header=BB26_4 Depth=1
	s_or_b64 exec, exec, s[0:1]
	s_and_saveexec_b64 s[0:1], s[6:7]
	s_cbranch_execz .LBB26_3
	s_branch .LBB26_27
.LBB26_22:                              ;   in Loop: Header=BB26_4 Depth=1
	v_mov_b32_e32 v39, s17
	v_add_co_u32_e64 v42, s[8:9], s16, v3
	v_addc_co_u32_e64 v43, s[8:9], v4, v39, s[8:9]
	v_add_co_u32_e64 v44, s[8:9], s16, v1
	v_addc_co_u32_e64 v45, s[8:9], v2, v39, s[8:9]
	global_load_ushort v41, v[44:45], off
	global_load_ushort v39, v[42:43], off
	s_or_b64 exec, exec, s[26:27]
	v_mov_b32_e32 v42, 0
	s_and_saveexec_b64 s[26:27], s[6:7]
	s_cbranch_execz .LBB26_18
.LBB26_23:                              ;   in Loop: Header=BB26_4 Depth=1
	v_mov_b32_e32 v43, s17
	v_add_co_u32_e64 v42, s[8:9], s16, v5
	v_addc_co_u32_e64 v43, s[8:9], v6, v43, s[8:9]
	global_load_ushort v42, v[42:43], off
	s_or_b64 exec, exec, s[26:27]
	s_and_saveexec_b64 s[8:9], vcc
	s_cbranch_execz .LBB26_19
.LBB26_24:                              ;   in Loop: Header=BB26_4 Depth=1
	s_waitcnt vmcnt(0)
	v_mul_lo_u16_e32 v32, s28, v32
	v_mad_legacy_u16 v34, v32, v34, v31
	v_mov_b32_e32 v32, s17
	v_add_co_u32_e32 v31, vcc, s16, v13
	v_addc_co_u32_e32 v32, vcc, v14, v32, vcc
	global_store_short v[31:32], v34, off
	s_or_b64 exec, exec, s[8:9]
	s_and_saveexec_b64 s[8:9], s[0:1]
	s_cbranch_execz .LBB26_20
.LBB26_25:                              ;   in Loop: Header=BB26_4 Depth=1
	s_waitcnt vmcnt(0)
	v_mul_lo_u16_e32 v31, s28, v33
	v_mad_legacy_u16 v33, v31, v37, v35
	v_mov_b32_e32 v32, s17
	v_add_co_u32_e32 v31, vcc, s16, v21
	v_addc_co_u32_e32 v32, vcc, v22, v32, vcc
	global_store_short v[31:32], v33, off
	s_or_b64 exec, exec, s[8:9]
	s_and_saveexec_b64 s[0:1], s[2:3]
	s_cbranch_execz .LBB26_21
.LBB26_26:                              ;   in Loop: Header=BB26_4 Depth=1
	s_waitcnt vmcnt(0)
	v_mul_lo_u16_e32 v31, s28, v36
	v_mad_legacy_u16 v33, v31, v40, v38
	v_mov_b32_e32 v32, s17
	v_add_co_u32_e32 v31, vcc, s16, v7
	v_addc_co_u32_e32 v32, vcc, v8, v32, vcc
	global_store_short v[31:32], v33, off
	s_or_b64 exec, exec, s[0:1]
	s_and_saveexec_b64 s[0:1], s[6:7]
	s_cbranch_execz .LBB26_3
.LBB26_27:                              ;   in Loop: Header=BB26_4 Depth=1
	s_waitcnt vmcnt(0)
	v_mul_lo_u16_e32 v31, s28, v39
	v_mad_legacy_u16 v33, v31, v42, v41
	v_mov_b32_e32 v32, s17
	v_add_co_u32_e32 v31, vcc, s16, v1
	v_addc_co_u32_e32 v32, vcc, v2, v32, vcc
	global_store_short v[31:32], v33, off
	s_branch .LBB26_3
.LBB26_28:
	s_mov_b64 s[0:1], 0
.LBB26_29:
	s_andn2_b64 vcc, exec, s[0:1]
	s_cbranch_vccnz .LBB26_33
; %bb.30:
	v_mov_b32_e32 v1, 0x10000
	v_mov_b32_e32 v2, 0
	v_cmp_lt_i64_e32 vcc, s[18:19], v[1:2]
	v_mov_b32_e32 v2, 0
	s_and_b64 s[0:1], vcc, exec
	s_cselect_b32 s1, s19, 0
	s_cselect_b32 s0, s18, 0x10000
	v_lshlrev_b32_e32 v1, 2, v0
	v_cmp_gt_i64_e32 vcc, s[0:1], v[1:2]
	s_and_saveexec_b64 s[2:3], vcc
	s_cbranch_execz .LBB26_33
; %bb.31:
	s_load_dword s2, s[4:5], 0xc5c
	v_mov_b32_e32 v1, v2
	v_lshlrev_b32_e32 v2, 3, v0
	v_mov_b32_e32 v3, s17
	v_add_co_u32_e32 v2, vcc, s16, v2
	s_waitcnt lgkmcnt(0)
	s_and_b32 s4, s2, 0xffff
	v_addc_co_u32_e32 v3, vcc, 0, v3, vcc
	s_lshl_b32 s5, s4, 3
	s_mov_b64 s[2:3], 0
	v_mov_b32_e32 v4, s11
	v_mov_b32_e32 v5, s13
	;; [unrolled: 1-line block ×3, first 2 shown]
.LBB26_32:                              ; =>This Inner Loop Header: Depth=1
	v_add_co_u32_e32 v7, vcc, s10, v2
	v_addc_co_u32_e32 v8, vcc, v4, v3, vcc
	v_add_co_u32_e32 v9, vcc, s12, v2
	v_addc_co_u32_e32 v10, vcc, v5, v3, vcc
	;; [unrolled: 2-line block ×3, first 2 shown]
	global_load_dwordx2 v[13:14], v[9:10], off
	global_load_dwordx2 v[15:16], v[7:8], off
	;; [unrolled: 1-line block ×3, first 2 shown]
	v_add_co_u32_e32 v0, vcc, s4, v0
	v_addc_co_u32_e32 v1, vcc, 0, v1, vcc
	v_add_co_u32_e32 v2, vcc, s5, v2
	v_lshlrev_b64 v[9:10], 2, v[0:1]
	v_addc_co_u32_e32 v3, vcc, 0, v3, vcc
	v_cmp_le_i64_e32 vcc, s[0:1], v[9:10]
	s_or_b64 s[2:3], vcc, s[2:3]
	s_waitcnt vmcnt(2)
	v_mul_lo_u16_e32 v9, s28, v13
	s_waitcnt vmcnt(1)
	v_lshrrev_b32_e32 v10, 16, v15
	s_waitcnt vmcnt(0)
	v_lshrrev_b32_e32 v11, 16, v17
	v_mul_lo_u16_sdwa v12, s28, v13 dst_sel:DWORD dst_unused:UNUSED_PAD src0_sel:DWORD src1_sel:WORD_1
	v_mul_lo_u16_e32 v13, s28, v14
	v_lshrrev_b32_e32 v19, 16, v16
	v_lshrrev_b32_e32 v20, 16, v18
	v_mul_lo_u16_sdwa v14, s28, v14 dst_sel:DWORD dst_unused:UNUSED_PAD src0_sel:DWORD src1_sel:WORD_1
	v_mul_lo_u16_e32 v9, v9, v17
	v_mad_legacy_u16 v10, v12, v11, v10
	v_mad_legacy_u16 v12, v14, v20, v19
	v_add_u16_e32 v9, v9, v15
	v_lshlrev_b32_e32 v10, 16, v10
	v_mad_legacy_u16 v11, v13, v18, v16
	v_lshlrev_b32_e32 v12, 16, v12
	v_or_b32_e32 v9, v10, v9
	v_or3_b32 v10, 0, v11, v12
	v_or3_b32 v9, v9, 0, 0
	global_store_dwordx2 v[7:8], v[9:10], off
	s_andn2_b64 exec, exec, s[2:3]
	s_cbranch_execnz .LBB26_32
.LBB26_33:
	s_endpgm
	.section	.rodata,"a",@progbits
	.p2align	6, 0x0
	.amdhsa_kernel _ZN2at6native12_GLOBAL__N_125multi_tensor_apply_kernelINS1_18TensorListMetadataILi3EEENS1_24PointwiseOpScalarFunctorIsLi3ELi3ELi0EEEJSt10multipliesIsEsEEEvT_T0_DpT1_
		.amdhsa_group_segment_fixed_size 0
		.amdhsa_private_segment_fixed_size 0
		.amdhsa_kernarg_size 3408
		.amdhsa_user_sgpr_count 6
		.amdhsa_user_sgpr_private_segment_buffer 1
		.amdhsa_user_sgpr_dispatch_ptr 0
		.amdhsa_user_sgpr_queue_ptr 0
		.amdhsa_user_sgpr_kernarg_segment_ptr 1
		.amdhsa_user_sgpr_dispatch_id 0
		.amdhsa_user_sgpr_flat_scratch_init 0
		.amdhsa_user_sgpr_private_segment_size 0
		.amdhsa_uses_dynamic_stack 0
		.amdhsa_system_sgpr_private_segment_wavefront_offset 0
		.amdhsa_system_sgpr_workgroup_id_x 1
		.amdhsa_system_sgpr_workgroup_id_y 0
		.amdhsa_system_sgpr_workgroup_id_z 0
		.amdhsa_system_sgpr_workgroup_info 0
		.amdhsa_system_vgpr_workitem_id 0
		.amdhsa_next_free_vgpr 46
		.amdhsa_next_free_sgpr 31
		.amdhsa_reserve_vcc 1
		.amdhsa_reserve_flat_scratch 0
		.amdhsa_float_round_mode_32 0
		.amdhsa_float_round_mode_16_64 0
		.amdhsa_float_denorm_mode_32 3
		.amdhsa_float_denorm_mode_16_64 3
		.amdhsa_dx10_clamp 1
		.amdhsa_ieee_mode 1
		.amdhsa_fp16_overflow 0
		.amdhsa_exception_fp_ieee_invalid_op 0
		.amdhsa_exception_fp_denorm_src 0
		.amdhsa_exception_fp_ieee_div_zero 0
		.amdhsa_exception_fp_ieee_overflow 0
		.amdhsa_exception_fp_ieee_underflow 0
		.amdhsa_exception_fp_ieee_inexact 0
		.amdhsa_exception_int_div_zero 0
	.end_amdhsa_kernel
	.section	.text._ZN2at6native12_GLOBAL__N_125multi_tensor_apply_kernelINS1_18TensorListMetadataILi3EEENS1_24PointwiseOpScalarFunctorIsLi3ELi3ELi0EEEJSt10multipliesIsEsEEEvT_T0_DpT1_,"axG",@progbits,_ZN2at6native12_GLOBAL__N_125multi_tensor_apply_kernelINS1_18TensorListMetadataILi3EEENS1_24PointwiseOpScalarFunctorIsLi3ELi3ELi0EEEJSt10multipliesIsEsEEEvT_T0_DpT1_,comdat
.Lfunc_end26:
	.size	_ZN2at6native12_GLOBAL__N_125multi_tensor_apply_kernelINS1_18TensorListMetadataILi3EEENS1_24PointwiseOpScalarFunctorIsLi3ELi3ELi0EEEJSt10multipliesIsEsEEEvT_T0_DpT1_, .Lfunc_end26-_ZN2at6native12_GLOBAL__N_125multi_tensor_apply_kernelINS1_18TensorListMetadataILi3EEENS1_24PointwiseOpScalarFunctorIsLi3ELi3ELi0EEEJSt10multipliesIsEsEEEvT_T0_DpT1_
                                        ; -- End function
	.set _ZN2at6native12_GLOBAL__N_125multi_tensor_apply_kernelINS1_18TensorListMetadataILi3EEENS1_24PointwiseOpScalarFunctorIsLi3ELi3ELi0EEEJSt10multipliesIsEsEEEvT_T0_DpT1_.num_vgpr, 46
	.set _ZN2at6native12_GLOBAL__N_125multi_tensor_apply_kernelINS1_18TensorListMetadataILi3EEENS1_24PointwiseOpScalarFunctorIsLi3ELi3ELi0EEEJSt10multipliesIsEsEEEvT_T0_DpT1_.num_agpr, 0
	.set _ZN2at6native12_GLOBAL__N_125multi_tensor_apply_kernelINS1_18TensorListMetadataILi3EEENS1_24PointwiseOpScalarFunctorIsLi3ELi3ELi0EEEJSt10multipliesIsEsEEEvT_T0_DpT1_.numbered_sgpr, 31
	.set _ZN2at6native12_GLOBAL__N_125multi_tensor_apply_kernelINS1_18TensorListMetadataILi3EEENS1_24PointwiseOpScalarFunctorIsLi3ELi3ELi0EEEJSt10multipliesIsEsEEEvT_T0_DpT1_.num_named_barrier, 0
	.set _ZN2at6native12_GLOBAL__N_125multi_tensor_apply_kernelINS1_18TensorListMetadataILi3EEENS1_24PointwiseOpScalarFunctorIsLi3ELi3ELi0EEEJSt10multipliesIsEsEEEvT_T0_DpT1_.private_seg_size, 0
	.set _ZN2at6native12_GLOBAL__N_125multi_tensor_apply_kernelINS1_18TensorListMetadataILi3EEENS1_24PointwiseOpScalarFunctorIsLi3ELi3ELi0EEEJSt10multipliesIsEsEEEvT_T0_DpT1_.uses_vcc, 1
	.set _ZN2at6native12_GLOBAL__N_125multi_tensor_apply_kernelINS1_18TensorListMetadataILi3EEENS1_24PointwiseOpScalarFunctorIsLi3ELi3ELi0EEEJSt10multipliesIsEsEEEvT_T0_DpT1_.uses_flat_scratch, 0
	.set _ZN2at6native12_GLOBAL__N_125multi_tensor_apply_kernelINS1_18TensorListMetadataILi3EEENS1_24PointwiseOpScalarFunctorIsLi3ELi3ELi0EEEJSt10multipliesIsEsEEEvT_T0_DpT1_.has_dyn_sized_stack, 0
	.set _ZN2at6native12_GLOBAL__N_125multi_tensor_apply_kernelINS1_18TensorListMetadataILi3EEENS1_24PointwiseOpScalarFunctorIsLi3ELi3ELi0EEEJSt10multipliesIsEsEEEvT_T0_DpT1_.has_recursion, 0
	.set _ZN2at6native12_GLOBAL__N_125multi_tensor_apply_kernelINS1_18TensorListMetadataILi3EEENS1_24PointwiseOpScalarFunctorIsLi3ELi3ELi0EEEJSt10multipliesIsEsEEEvT_T0_DpT1_.has_indirect_call, 0
	.section	.AMDGPU.csdata,"",@progbits
; Kernel info:
; codeLenInByte = 1816
; TotalNumSgprs: 35
; NumVgprs: 46
; ScratchSize: 0
; MemoryBound: 0
; FloatMode: 240
; IeeeMode: 1
; LDSByteSize: 0 bytes/workgroup (compile time only)
; SGPRBlocks: 4
; VGPRBlocks: 11
; NumSGPRsForWavesPerEU: 35
; NumVGPRsForWavesPerEU: 46
; Occupancy: 5
; WaveLimiterHint : 0
; COMPUTE_PGM_RSRC2:SCRATCH_EN: 0
; COMPUTE_PGM_RSRC2:USER_SGPR: 6
; COMPUTE_PGM_RSRC2:TRAP_HANDLER: 0
; COMPUTE_PGM_RSRC2:TGID_X_EN: 1
; COMPUTE_PGM_RSRC2:TGID_Y_EN: 0
; COMPUTE_PGM_RSRC2:TGID_Z_EN: 0
; COMPUTE_PGM_RSRC2:TIDIG_COMP_CNT: 0
	.section	.text._ZN2at6native12_GLOBAL__N_125multi_tensor_apply_kernelINS1_18TensorListMetadataILi3EEENS1_24PointwiseOpScalarFunctorIdLi3ELi3ELi0EEEJSt10multipliesIdEdEEEvT_T0_DpT1_,"axG",@progbits,_ZN2at6native12_GLOBAL__N_125multi_tensor_apply_kernelINS1_18TensorListMetadataILi3EEENS1_24PointwiseOpScalarFunctorIdLi3ELi3ELi0EEEJSt10multipliesIdEdEEEvT_T0_DpT1_,comdat
	.globl	_ZN2at6native12_GLOBAL__N_125multi_tensor_apply_kernelINS1_18TensorListMetadataILi3EEENS1_24PointwiseOpScalarFunctorIdLi3ELi3ELi0EEEJSt10multipliesIdEdEEEvT_T0_DpT1_ ; -- Begin function _ZN2at6native12_GLOBAL__N_125multi_tensor_apply_kernelINS1_18TensorListMetadataILi3EEENS1_24PointwiseOpScalarFunctorIdLi3ELi3ELi0EEEJSt10multipliesIdEdEEEvT_T0_DpT1_
	.p2align	8
	.type	_ZN2at6native12_GLOBAL__N_125multi_tensor_apply_kernelINS1_18TensorListMetadataILi3EEENS1_24PointwiseOpScalarFunctorIdLi3ELi3ELi0EEEJSt10multipliesIdEdEEEvT_T0_DpT1_,@function
_ZN2at6native12_GLOBAL__N_125multi_tensor_apply_kernelINS1_18TensorListMetadataILi3EEENS1_24PointwiseOpScalarFunctorIdLi3ELi3ELi0EEEJSt10multipliesIdEdEEEvT_T0_DpT1_: ; @_ZN2at6native12_GLOBAL__N_125multi_tensor_apply_kernelINS1_18TensorListMetadataILi3EEENS1_24PointwiseOpScalarFunctorIdLi3ELi3ELi0EEEJSt10multipliesIdEdEEEvT_T0_DpT1_
; %bb.0:
	v_mov_b32_e32 v1, s6
	global_load_ubyte v1, v1, s[4:5] offset:1536
	s_add_u32 s0, s4, s6
	s_mul_hi_u32 s1, s6, 3
	s_mul_i32 s6, s6, 3
	s_addc_u32 s2, s5, 0
	s_add_u32 s0, s0, s6
	s_addc_u32 s1, s2, s1
	s_load_dword s8, s[0:1], 0x740
	s_load_dwordx2 s[12:13], s[4:5], 0xc50
	s_mov_b32 s11, 0
	s_mov_b32 s19, s11
	s_waitcnt lgkmcnt(0)
	s_ashr_i32 s9, s8, 31
	s_lshl_b64 s[16:17], s[8:9], 19
	s_waitcnt vmcnt(0)
	v_readfirstlane_b32 s0, v1
	s_lshl_b32 s10, s0, 3
	s_load_dwordx2 s[6:7], s[4:5], s10 offset:0x0
	s_load_dwordx2 s[20:21], s[4:5], s10 offset:0x480
	;; [unrolled: 1-line block ×4, first 2 shown]
	s_waitcnt lgkmcnt(0)
	s_add_u32 s28, s6, s16
	s_addc_u32 s29, s7, s17
	s_and_b32 s10, s28, 31
	s_add_u32 s30, s2, s16
	s_addc_u32 s31, s3, s17
	s_add_u32 s33, s0, s16
	s_addc_u32 s34, s1, s17
	s_or_b32 s14, s33, s30
	s_and_b32 s14, s14, 31
	s_cmp_eq_u32 s14, 0
	s_cselect_b64 s[22:23], -1, 0
	s_lshl_b64 s[8:9], s[8:9], 16
	s_sub_u32 s14, s20, s8
	s_subb_u32 s15, s21, s9
	s_and_b32 s18, s20, 3
	s_or_b64 s[8:9], s[10:11], s[18:19]
	s_cmp_eq_u64 s[8:9], 0
	s_cselect_b64 s[8:9], -1, 0
	s_and_b64 s[10:11], s[22:23], s[8:9]
	s_mov_b64 s[8:9], -1
	s_and_b64 vcc, exec, s[10:11]
	s_cbranch_vccnz .LBB27_45
; %bb.1:
	v_cmp_lt_i64_e64 s[8:9], s[14:15], 1
	s_and_b64 vcc, exec, s[8:9]
	s_cbranch_vccnz .LBB27_44
; %bb.2:
	v_mov_b32_e32 v1, 0x10000
	s_load_dword s10, s[4:5], 0xc64
	v_mov_b32_e32 v2, 0
	v_cmp_lt_i64_e32 vcc, s[14:15], v[1:2]
	v_mov_b32_e32 v3, 0
	s_and_b64 s[8:9], vcc, exec
	s_cselect_b32 s19, s15, 0
	s_cselect_b32 s18, s14, 0x10000
	v_cmp_lt_u64_e32 vcc, s[14:15], v[1:2]
	s_waitcnt lgkmcnt(0)
	s_and_b32 s10, s10, 0xffff
	v_lshlrev_b32_e32 v2, 3, v0
	v_mad_u64_u32 v[3:4], s[8:9], s10, 24, v[2:3]
	s_and_b64 s[8:9], vcc, exec
	v_mov_b32_e32 v7, s7
	v_add_co_u32_e32 v27, vcc, s6, v3
	v_addc_co_u32_e32 v28, vcc, v7, v4, vcc
	v_mov_b32_e32 v7, s3
	v_add_co_u32_e32 v29, vcc, s2, v3
	v_addc_co_u32_e32 v30, vcc, v7, v4, vcc
	v_mov_b32_e32 v7, s1
	v_add_co_u32_e32 v31, vcc, s0, v3
	s_cselect_b32 s21, s15, 0
	s_cselect_b32 s20, s14, 0x10000
	v_addc_co_u32_e32 v32, vcc, v7, v4, vcc
	s_lshl_b32 s8, s10, 4
	v_add_co_u32_e32 v3, vcc, s8, v2
	v_addc_co_u32_e64 v4, s[8:9], 0, 0, vcc
	v_mov_b32_e32 v7, s7
	v_add_co_u32_e32 v33, vcc, s6, v3
	v_addc_co_u32_e32 v34, vcc, v7, v4, vcc
	v_mov_b32_e32 v7, s3
	v_add_co_u32_e32 v35, vcc, s2, v3
	v_addc_co_u32_e32 v36, vcc, v7, v4, vcc
	;; [unrolled: 3-line block ×6, first 2 shown]
	v_add_co_u32_e32 v45, vcc, s10, v0
	v_lshlrev_b32_e32 v1, 3, v45
	v_addc_co_u32_e64 v46, s[8:9], 0, 0, vcc
	v_mov_b32_e32 v2, s7
	v_add_co_u32_e32 v47, vcc, s6, v1
	v_cmp_neq_f64_e64 s[22:23], s[12:13], 1.0
	v_addc_co_u32_e32 v48, vcc, 0, v2, vcc
	v_mov_b32_e32 v2, s3
	v_add_co_u32_e32 v49, vcc, s2, v1
	v_addc_co_u32_e32 v50, vcc, 0, v2, vcc
	v_mov_b32_e32 v2, s1
	v_add_co_u32_e32 v51, vcc, s0, v1
	s_mul_i32 s26, s10, 3
	v_addc_co_u32_e32 v52, vcc, 0, v2, vcc
	s_lshl_b32 s11, s10, 1
	v_add_co_u32_e32 v53, vcc, s26, v0
	v_addc_co_u32_e64 v54, s[0:1], 0, 0, vcc
	v_add_co_u32_e32 v55, vcc, s11, v0
	s_lshl_b32 s35, s10, 2
	s_lshl_b32 s36, s10, 5
	s_mov_b64 s[24:25], 0
	v_addc_co_u32_e64 v56, s[0:1], 0, 0, vcc
	s_branch .LBB27_4
.LBB27_3:                               ;   in Loop: Header=BB27_4 Depth=1
	s_or_b64 exec, exec, s[0:1]
	v_add_co_u32_e32 v39, vcc, s36, v39
	v_addc_co_u32_e32 v40, vcc, 0, v40, vcc
	v_add_co_u32_e32 v41, vcc, s36, v41
	v_addc_co_u32_e32 v42, vcc, 0, v42, vcc
	;; [unrolled: 2-line block ×10, first 2 shown]
	s_add_u32 s24, s24, s35
	v_add_co_u32_e32 v49, vcc, s36, v49
	v_mov_b32_e32 v1, s18
	s_addc_u32 s25, s25, 0
	v_addc_co_u32_e32 v50, vcc, 0, v50, vcc
	v_mov_b32_e32 v2, s19
	v_cmp_ge_i64_e32 vcc, s[24:25], v[1:2]
	v_add_co_u32_e64 v51, s[0:1], s36, v51
	v_addc_co_u32_e64 v52, s[0:1], 0, v52, s[0:1]
	s_cbranch_vccnz .LBB27_44
.LBB27_4:                               ; =>This Inner Loop Header: Depth=1
	v_mov_b32_e32 v2, s25
	v_add_co_u32_e32 v1, vcc, s24, v0
	v_addc_co_u32_e32 v2, vcc, 0, v2, vcc
	v_cmp_gt_u64_e64 s[0:1], s[20:21], v[1:2]
	v_mov_b32_e32 v1, 0
	v_mov_b32_e32 v3, 0
	;; [unrolled: 1-line block ×6, first 2 shown]
	s_and_saveexec_b64 s[2:3], s[0:1]
	s_cbranch_execz .LBB27_6
; %bb.5:                                ;   in Loop: Header=BB27_4 Depth=1
	v_mov_b32_e32 v3, s17
	v_add_co_u32_e32 v7, vcc, s16, v39
	v_addc_co_u32_e32 v8, vcc, v40, v3, vcc
	v_add_co_u32_e32 v9, vcc, s16, v41
	v_addc_co_u32_e32 v10, vcc, v42, v3, vcc
	global_load_dwordx2 v[5:6], v[7:8], off
	global_load_dwordx2 v[3:4], v[9:10], off
.LBB27_6:                               ;   in Loop: Header=BB27_4 Depth=1
	s_or_b64 exec, exec, s[2:3]
	s_and_saveexec_b64 s[2:3], s[0:1]
	s_cbranch_execz .LBB27_8
; %bb.7:                                ;   in Loop: Header=BB27_4 Depth=1
	v_mov_b32_e32 v2, s17
	v_add_co_u32_e32 v1, vcc, s16, v43
	v_addc_co_u32_e32 v2, vcc, v44, v2, vcc
	global_load_dwordx2 v[1:2], v[1:2], off
.LBB27_8:                               ;   in Loop: Header=BB27_4 Depth=1
	s_or_b64 exec, exec, s[2:3]
	v_mov_b32_e32 v8, s25
	v_add_co_u32_e32 v7, vcc, s24, v45
	v_addc_co_u32_e32 v8, vcc, v46, v8, vcc
	v_cmp_gt_u64_e64 s[2:3], s[20:21], v[7:8]
	v_mov_b32_e32 v7, 0
	v_mov_b32_e32 v9, 0
	;; [unrolled: 1-line block ×6, first 2 shown]
	s_and_saveexec_b64 s[6:7], s[2:3]
	s_cbranch_execz .LBB27_10
; %bb.9:                                ;   in Loop: Header=BB27_4 Depth=1
	v_mov_b32_e32 v9, s17
	v_add_co_u32_e32 v13, vcc, s16, v47
	v_addc_co_u32_e32 v14, vcc, v48, v9, vcc
	v_add_co_u32_e32 v15, vcc, s16, v49
	v_addc_co_u32_e32 v16, vcc, v50, v9, vcc
	global_load_dwordx2 v[11:12], v[13:14], off
	global_load_dwordx2 v[9:10], v[15:16], off
.LBB27_10:                              ;   in Loop: Header=BB27_4 Depth=1
	s_or_b64 exec, exec, s[6:7]
	s_and_saveexec_b64 s[6:7], s[2:3]
	s_cbranch_execz .LBB27_12
; %bb.11:                               ;   in Loop: Header=BB27_4 Depth=1
	v_mov_b32_e32 v8, s17
	v_add_co_u32_e32 v7, vcc, s16, v51
	v_addc_co_u32_e32 v8, vcc, v52, v8, vcc
	global_load_dwordx2 v[7:8], v[7:8], off
.LBB27_12:                              ;   in Loop: Header=BB27_4 Depth=1
	s_or_b64 exec, exec, s[6:7]
	v_mov_b32_e32 v14, s25
	v_add_co_u32_e32 v13, vcc, s24, v55
	v_addc_co_u32_e32 v14, vcc, v56, v14, vcc
	v_cmp_gt_u64_e64 s[6:7], s[20:21], v[13:14]
	v_mov_b32_e32 v13, 0
	v_mov_b32_e32 v15, 0
	;; [unrolled: 1-line block ×6, first 2 shown]
	s_and_saveexec_b64 s[8:9], s[6:7]
	s_cbranch_execz .LBB27_14
; %bb.13:                               ;   in Loop: Header=BB27_4 Depth=1
	v_mov_b32_e32 v15, s17
	v_add_co_u32_e32 v19, vcc, s16, v33
	v_addc_co_u32_e32 v20, vcc, v34, v15, vcc
	v_add_co_u32_e32 v21, vcc, s16, v35
	v_addc_co_u32_e32 v22, vcc, v36, v15, vcc
	global_load_dwordx2 v[17:18], v[19:20], off
	global_load_dwordx2 v[15:16], v[21:22], off
.LBB27_14:                              ;   in Loop: Header=BB27_4 Depth=1
	s_or_b64 exec, exec, s[8:9]
	s_and_saveexec_b64 s[8:9], s[6:7]
	s_cbranch_execz .LBB27_16
; %bb.15:                               ;   in Loop: Header=BB27_4 Depth=1
	v_mov_b32_e32 v14, s17
	v_add_co_u32_e32 v13, vcc, s16, v37
	v_addc_co_u32_e32 v14, vcc, v38, v14, vcc
	global_load_dwordx2 v[13:14], v[13:14], off
.LBB27_16:                              ;   in Loop: Header=BB27_4 Depth=1
	s_or_b64 exec, exec, s[8:9]
	v_mov_b32_e32 v20, s25
	v_add_co_u32_e32 v19, vcc, s24, v53
	v_addc_co_u32_e32 v20, vcc, v54, v20, vcc
	v_cmp_gt_u64_e64 s[8:9], s[20:21], v[19:20]
	v_mov_b32_e32 v19, 0
	v_mov_b32_e32 v21, 0
	;; [unrolled: 1-line block ×6, first 2 shown]
	s_and_saveexec_b64 s[10:11], s[8:9]
	s_cbranch_execnz .LBB27_34
; %bb.17:                               ;   in Loop: Header=BB27_4 Depth=1
	s_or_b64 exec, exec, s[10:11]
	s_and_saveexec_b64 s[10:11], s[8:9]
	s_cbranch_execnz .LBB27_35
.LBB27_18:                              ;   in Loop: Header=BB27_4 Depth=1
	s_or_b64 exec, exec, s[10:11]
	s_and_b64 vcc, exec, s[22:23]
	s_cbranch_vccz .LBB27_36
.LBB27_19:                              ;   in Loop: Header=BB27_4 Depth=1
	s_waitcnt vmcnt(0)
	v_mul_f64 v[25:26], v[3:4], v[1:2]
	v_fma_f64 v[25:26], s[12:13], v[25:26], v[5:6]
	s_cbranch_execnz .LBB27_21
.LBB27_20:                              ;   in Loop: Header=BB27_4 Depth=1
	s_waitcnt vmcnt(0)
	v_fma_f64 v[25:26], v[3:4], v[1:2], v[5:6]
.LBB27_21:                              ;   in Loop: Header=BB27_4 Depth=1
	s_waitcnt vmcnt(0)
	v_cndmask_b32_e64 v1, 0, 1, s[22:23]
	v_cmp_ne_u32_e64 s[10:11], 1, v1
	s_andn2_b64 vcc, exec, s[22:23]
	s_cbranch_vccnz .LBB27_41
; %bb.22:                               ;   in Loop: Header=BB27_4 Depth=1
	v_mul_f64 v[1:2], v[9:10], v[7:8]
	v_fma_f64 v[1:2], s[12:13], v[1:2], v[11:12]
	s_cbranch_execnz .LBB27_24
.LBB27_23:                              ;   in Loop: Header=BB27_4 Depth=1
	v_fma_f64 v[1:2], v[9:10], v[7:8], v[11:12]
.LBB27_24:                              ;   in Loop: Header=BB27_4 Depth=1
	s_and_b64 vcc, exec, s[10:11]
	s_cbranch_vccnz .LBB27_42
; %bb.25:                               ;   in Loop: Header=BB27_4 Depth=1
	v_mul_f64 v[3:4], v[15:16], v[13:14]
	v_fma_f64 v[3:4], s[12:13], v[3:4], v[17:18]
	s_cbranch_execnz .LBB27_27
.LBB27_26:                              ;   in Loop: Header=BB27_4 Depth=1
	v_fma_f64 v[3:4], v[15:16], v[13:14], v[17:18]
.LBB27_27:                              ;   in Loop: Header=BB27_4 Depth=1
	s_and_b64 vcc, exec, s[10:11]
	s_cbranch_vccnz .LBB27_43
; %bb.28:                               ;   in Loop: Header=BB27_4 Depth=1
	v_mul_f64 v[5:6], v[21:22], v[19:20]
	v_fma_f64 v[5:6], s[12:13], v[5:6], v[23:24]
	s_cbranch_execnz .LBB27_30
.LBB27_29:                              ;   in Loop: Header=BB27_4 Depth=1
	v_fma_f64 v[5:6], v[21:22], v[19:20], v[23:24]
.LBB27_30:                              ;   in Loop: Header=BB27_4 Depth=1
	s_and_saveexec_b64 s[10:11], s[0:1]
	s_xor_b64 s[0:1], exec, s[10:11]
	s_cbranch_execnz .LBB27_37
; %bb.31:                               ;   in Loop: Header=BB27_4 Depth=1
	s_or_b64 exec, exec, s[0:1]
	s_and_saveexec_b64 s[0:1], s[2:3]
	s_cbranch_execnz .LBB27_38
.LBB27_32:                              ;   in Loop: Header=BB27_4 Depth=1
	s_or_b64 exec, exec, s[0:1]
	s_and_saveexec_b64 s[0:1], s[6:7]
	s_cbranch_execnz .LBB27_39
.LBB27_33:                              ;   in Loop: Header=BB27_4 Depth=1
	s_or_b64 exec, exec, s[0:1]
	s_and_saveexec_b64 s[0:1], s[8:9]
	s_cbranch_execz .LBB27_3
	s_branch .LBB27_40
.LBB27_34:                              ;   in Loop: Header=BB27_4 Depth=1
	v_mov_b32_e32 v21, s17
	v_add_co_u32_e32 v25, vcc, s16, v27
	v_addc_co_u32_e32 v26, vcc, v28, v21, vcc
	v_add_co_u32_e32 v57, vcc, s16, v29
	v_addc_co_u32_e32 v58, vcc, v30, v21, vcc
	global_load_dwordx2 v[23:24], v[25:26], off
	global_load_dwordx2 v[21:22], v[57:58], off
	s_or_b64 exec, exec, s[10:11]
	s_and_saveexec_b64 s[10:11], s[8:9]
	s_cbranch_execz .LBB27_18
.LBB27_35:                              ;   in Loop: Header=BB27_4 Depth=1
	v_mov_b32_e32 v20, s17
	v_add_co_u32_e32 v19, vcc, s16, v31
	v_addc_co_u32_e32 v20, vcc, v32, v20, vcc
	global_load_dwordx2 v[19:20], v[19:20], off
	s_or_b64 exec, exec, s[10:11]
	s_and_b64 vcc, exec, s[22:23]
	s_cbranch_vccnz .LBB27_19
.LBB27_36:                              ;   in Loop: Header=BB27_4 Depth=1
                                        ; implicit-def: $vgpr25_vgpr26
	s_branch .LBB27_20
.LBB27_37:                              ;   in Loop: Header=BB27_4 Depth=1
	v_mov_b32_e32 v8, s17
	v_add_co_u32_e32 v7, vcc, s16, v39
	v_addc_co_u32_e32 v8, vcc, v40, v8, vcc
	global_store_dwordx2 v[7:8], v[25:26], off
	s_or_b64 exec, exec, s[0:1]
	s_and_saveexec_b64 s[0:1], s[2:3]
	s_cbranch_execz .LBB27_32
.LBB27_38:                              ;   in Loop: Header=BB27_4 Depth=1
	v_mov_b32_e32 v8, s17
	v_add_co_u32_e32 v7, vcc, s16, v47
	v_addc_co_u32_e32 v8, vcc, v48, v8, vcc
	global_store_dwordx2 v[7:8], v[1:2], off
	s_or_b64 exec, exec, s[0:1]
	s_and_saveexec_b64 s[0:1], s[6:7]
	s_cbranch_execz .LBB27_33
.LBB27_39:                              ;   in Loop: Header=BB27_4 Depth=1
	v_mov_b32_e32 v2, s17
	v_add_co_u32_e32 v1, vcc, s16, v33
	v_addc_co_u32_e32 v2, vcc, v34, v2, vcc
	global_store_dwordx2 v[1:2], v[3:4], off
	s_or_b64 exec, exec, s[0:1]
	s_and_saveexec_b64 s[0:1], s[8:9]
	s_cbranch_execz .LBB27_3
.LBB27_40:                              ;   in Loop: Header=BB27_4 Depth=1
	v_mov_b32_e32 v2, s17
	v_add_co_u32_e32 v1, vcc, s16, v27
	v_addc_co_u32_e32 v2, vcc, v28, v2, vcc
	global_store_dwordx2 v[1:2], v[5:6], off
	s_branch .LBB27_3
.LBB27_41:                              ;   in Loop: Header=BB27_4 Depth=1
                                        ; implicit-def: $vgpr1_vgpr2
	s_branch .LBB27_23
.LBB27_42:                              ;   in Loop: Header=BB27_4 Depth=1
                                        ; implicit-def: $vgpr3_vgpr4
	s_branch .LBB27_26
.LBB27_43:                              ;   in Loop: Header=BB27_4 Depth=1
                                        ; implicit-def: $vgpr5_vgpr6
	s_branch .LBB27_29
.LBB27_44:
	s_mov_b64 s[8:9], 0
.LBB27_45:
	s_andn2_b64 vcc, exec, s[8:9]
	s_cbranch_vccnz .LBB27_65
; %bb.46:
	v_mov_b32_e32 v1, 0x10000
	v_mov_b32_e32 v2, 0
	v_cmp_lt_i64_e32 vcc, s[14:15], v[1:2]
	v_mov_b32_e32 v2, 0
	s_and_b64 s[0:1], vcc, exec
	s_cselect_b32 s3, s15, 0
	s_cselect_b32 s2, s14, 0x10000
	v_lshlrev_b32_e32 v1, 2, v0
	v_cmp_gt_i64_e32 vcc, s[2:3], v[1:2]
	s_and_saveexec_b64 s[0:1], vcc
	s_cbranch_execz .LBB27_65
; %bb.47:
	s_load_dword s0, s[4:5], 0xc64
	v_cmp_neq_f64_e64 s[4:5], s[12:13], 1.0
	v_mov_b32_e32 v1, v2
	v_lshlrev_b32_e32 v30, 5, v0
	s_mov_b64 s[6:7], 0
	s_waitcnt lgkmcnt(0)
	s_and_b32 s10, s0, 0xffff
	s_lshl_b32 s11, s10, 5
	s_branch .LBB27_49
.LBB27_48:                              ;   in Loop: Header=BB27_49 Depth=1
	v_add_co_u32_e32 v0, vcc, s10, v0
	s_add_u32 s33, s33, s11
	v_addc_co_u32_e32 v1, vcc, 0, v1, vcc
	s_addc_u32 s34, s34, 0
	v_lshlrev_b64 v[2:3], 2, v[0:1]
	s_add_u32 s28, s28, s11
	s_addc_u32 s29, s29, 0
	s_add_u32 s30, s30, s11
	v_cmp_le_i64_e32 vcc, s[2:3], v[2:3]
	s_addc_u32 s31, s31, 0
	s_or_b64 s[6:7], vcc, s[6:7]
	global_store_dwordx4 v[28:29], v[14:17], off
	s_waitcnt vmcnt(3)
	global_store_dwordx4 v[28:29], v[18:21], off offset:16
	s_andn2_b64 exec, exec, s[6:7]
	s_cbranch_execz .LBB27_65
.LBB27_49:                              ; =>This Inner Loop Header: Depth=1
	v_mov_b32_e32 v2, s29
	v_add_co_u32_e32 v28, vcc, s28, v30
	v_addc_co_u32_e32 v29, vcc, 0, v2, vcc
	v_mov_b32_e32 v6, s31
	s_waitcnt vmcnt(3)
	v_add_co_u32_e32 v10, vcc, s30, v30
	v_addc_co_u32_e32 v11, vcc, 0, v6, vcc
	global_load_dwordx4 v[2:5], v[28:29], off offset:16
	global_load_dwordx4 v[16:19], v[28:29], off
	global_load_dwordx4 v[6:9], v[10:11], off offset:16
	global_load_dwordx4 v[20:23], v[10:11], off
	v_mov_b32_e32 v10, s34
	v_add_co_u32_e32 v14, vcc, s33, v30
	v_addc_co_u32_e32 v15, vcc, 0, v10, vcc
	global_load_dwordx4 v[10:13], v[14:15], off offset:16
	global_load_dwordx4 v[24:27], v[14:15], off
	s_and_b64 vcc, exec, s[4:5]
	s_cbranch_vccz .LBB27_60
; %bb.50:                               ;   in Loop: Header=BB27_49 Depth=1
	s_waitcnt vmcnt(0)
	v_mul_f64 v[14:15], v[20:21], v[24:25]
	v_fma_f64 v[14:15], s[12:13], v[14:15], v[16:17]
	s_cbranch_execnz .LBB27_52
.LBB27_51:                              ;   in Loop: Header=BB27_49 Depth=1
	s_waitcnt vmcnt(0)
	v_fma_f64 v[14:15], v[20:21], v[24:25], v[16:17]
.LBB27_52:                              ;   in Loop: Header=BB27_49 Depth=1
	s_waitcnt vmcnt(4)
	v_cndmask_b32_e64 v16, 0, 1, s[4:5]
	v_cmp_ne_u32_e64 s[0:1], 1, v16
	s_andn2_b64 vcc, exec, s[4:5]
	s_cbranch_vccnz .LBB27_61
; %bb.53:                               ;   in Loop: Header=BB27_49 Depth=1
	s_waitcnt vmcnt(0)
	v_mul_f64 v[16:17], v[22:23], v[26:27]
	v_fma_f64 v[16:17], s[12:13], v[16:17], v[18:19]
	s_cbranch_execnz .LBB27_55
.LBB27_54:                              ;   in Loop: Header=BB27_49 Depth=1
	s_waitcnt vmcnt(0)
	v_fma_f64 v[16:17], v[22:23], v[26:27], v[18:19]
.LBB27_55:                              ;   in Loop: Header=BB27_49 Depth=1
	s_and_b64 vcc, exec, s[0:1]
	s_cbranch_vccnz .LBB27_62
; %bb.56:                               ;   in Loop: Header=BB27_49 Depth=1
	s_waitcnt vmcnt(1)
	v_mul_f64 v[18:19], v[6:7], v[10:11]
	v_fma_f64 v[18:19], s[12:13], v[18:19], v[2:3]
	s_cbranch_execnz .LBB27_58
.LBB27_57:                              ;   in Loop: Header=BB27_49 Depth=1
	s_waitcnt vmcnt(1)
	v_fma_f64 v[18:19], v[6:7], v[10:11], v[2:3]
.LBB27_58:                              ;   in Loop: Header=BB27_49 Depth=1
	s_and_b64 vcc, exec, s[0:1]
	s_cbranch_vccnz .LBB27_63
; %bb.59:                               ;   in Loop: Header=BB27_49 Depth=1
	s_waitcnt vmcnt(1)
	v_mul_f64 v[2:3], v[8:9], v[12:13]
	v_fma_f64 v[20:21], s[12:13], v[2:3], v[4:5]
	s_cbranch_execnz .LBB27_48
	s_branch .LBB27_64
.LBB27_60:                              ;   in Loop: Header=BB27_49 Depth=1
                                        ; implicit-def: $vgpr14_vgpr15
	s_branch .LBB27_51
.LBB27_61:                              ;   in Loop: Header=BB27_49 Depth=1
	s_branch .LBB27_54
.LBB27_62:                              ;   in Loop: Header=BB27_49 Depth=1
                                        ; implicit-def: $vgpr18_vgpr19
	s_branch .LBB27_57
.LBB27_63:                              ;   in Loop: Header=BB27_49 Depth=1
.LBB27_64:                              ;   in Loop: Header=BB27_49 Depth=1
	s_waitcnt vmcnt(1)
	v_fma_f64 v[20:21], v[8:9], v[12:13], v[4:5]
	s_branch .LBB27_48
.LBB27_65:
	s_endpgm
	.section	.rodata,"a",@progbits
	.p2align	6, 0x0
	.amdhsa_kernel _ZN2at6native12_GLOBAL__N_125multi_tensor_apply_kernelINS1_18TensorListMetadataILi3EEENS1_24PointwiseOpScalarFunctorIdLi3ELi3ELi0EEEJSt10multipliesIdEdEEEvT_T0_DpT1_
		.amdhsa_group_segment_fixed_size 0
		.amdhsa_private_segment_fixed_size 0
		.amdhsa_kernarg_size 3416
		.amdhsa_user_sgpr_count 6
		.amdhsa_user_sgpr_private_segment_buffer 1
		.amdhsa_user_sgpr_dispatch_ptr 0
		.amdhsa_user_sgpr_queue_ptr 0
		.amdhsa_user_sgpr_kernarg_segment_ptr 1
		.amdhsa_user_sgpr_dispatch_id 0
		.amdhsa_user_sgpr_flat_scratch_init 0
		.amdhsa_user_sgpr_private_segment_size 0
		.amdhsa_uses_dynamic_stack 0
		.amdhsa_system_sgpr_private_segment_wavefront_offset 0
		.amdhsa_system_sgpr_workgroup_id_x 1
		.amdhsa_system_sgpr_workgroup_id_y 0
		.amdhsa_system_sgpr_workgroup_id_z 0
		.amdhsa_system_sgpr_workgroup_info 0
		.amdhsa_system_vgpr_workitem_id 0
		.amdhsa_next_free_vgpr 59
		.amdhsa_next_free_sgpr 37
		.amdhsa_reserve_vcc 1
		.amdhsa_reserve_flat_scratch 0
		.amdhsa_float_round_mode_32 0
		.amdhsa_float_round_mode_16_64 0
		.amdhsa_float_denorm_mode_32 3
		.amdhsa_float_denorm_mode_16_64 3
		.amdhsa_dx10_clamp 1
		.amdhsa_ieee_mode 1
		.amdhsa_fp16_overflow 0
		.amdhsa_exception_fp_ieee_invalid_op 0
		.amdhsa_exception_fp_denorm_src 0
		.amdhsa_exception_fp_ieee_div_zero 0
		.amdhsa_exception_fp_ieee_overflow 0
		.amdhsa_exception_fp_ieee_underflow 0
		.amdhsa_exception_fp_ieee_inexact 0
		.amdhsa_exception_int_div_zero 0
	.end_amdhsa_kernel
	.section	.text._ZN2at6native12_GLOBAL__N_125multi_tensor_apply_kernelINS1_18TensorListMetadataILi3EEENS1_24PointwiseOpScalarFunctorIdLi3ELi3ELi0EEEJSt10multipliesIdEdEEEvT_T0_DpT1_,"axG",@progbits,_ZN2at6native12_GLOBAL__N_125multi_tensor_apply_kernelINS1_18TensorListMetadataILi3EEENS1_24PointwiseOpScalarFunctorIdLi3ELi3ELi0EEEJSt10multipliesIdEdEEEvT_T0_DpT1_,comdat
.Lfunc_end27:
	.size	_ZN2at6native12_GLOBAL__N_125multi_tensor_apply_kernelINS1_18TensorListMetadataILi3EEENS1_24PointwiseOpScalarFunctorIdLi3ELi3ELi0EEEJSt10multipliesIdEdEEEvT_T0_DpT1_, .Lfunc_end27-_ZN2at6native12_GLOBAL__N_125multi_tensor_apply_kernelINS1_18TensorListMetadataILi3EEENS1_24PointwiseOpScalarFunctorIdLi3ELi3ELi0EEEJSt10multipliesIdEdEEEvT_T0_DpT1_
                                        ; -- End function
	.set _ZN2at6native12_GLOBAL__N_125multi_tensor_apply_kernelINS1_18TensorListMetadataILi3EEENS1_24PointwiseOpScalarFunctorIdLi3ELi3ELi0EEEJSt10multipliesIdEdEEEvT_T0_DpT1_.num_vgpr, 59
	.set _ZN2at6native12_GLOBAL__N_125multi_tensor_apply_kernelINS1_18TensorListMetadataILi3EEENS1_24PointwiseOpScalarFunctorIdLi3ELi3ELi0EEEJSt10multipliesIdEdEEEvT_T0_DpT1_.num_agpr, 0
	.set _ZN2at6native12_GLOBAL__N_125multi_tensor_apply_kernelINS1_18TensorListMetadataILi3EEENS1_24PointwiseOpScalarFunctorIdLi3ELi3ELi0EEEJSt10multipliesIdEdEEEvT_T0_DpT1_.numbered_sgpr, 37
	.set _ZN2at6native12_GLOBAL__N_125multi_tensor_apply_kernelINS1_18TensorListMetadataILi3EEENS1_24PointwiseOpScalarFunctorIdLi3ELi3ELi0EEEJSt10multipliesIdEdEEEvT_T0_DpT1_.num_named_barrier, 0
	.set _ZN2at6native12_GLOBAL__N_125multi_tensor_apply_kernelINS1_18TensorListMetadataILi3EEENS1_24PointwiseOpScalarFunctorIdLi3ELi3ELi0EEEJSt10multipliesIdEdEEEvT_T0_DpT1_.private_seg_size, 0
	.set _ZN2at6native12_GLOBAL__N_125multi_tensor_apply_kernelINS1_18TensorListMetadataILi3EEENS1_24PointwiseOpScalarFunctorIdLi3ELi3ELi0EEEJSt10multipliesIdEdEEEvT_T0_DpT1_.uses_vcc, 1
	.set _ZN2at6native12_GLOBAL__N_125multi_tensor_apply_kernelINS1_18TensorListMetadataILi3EEENS1_24PointwiseOpScalarFunctorIdLi3ELi3ELi0EEEJSt10multipliesIdEdEEEvT_T0_DpT1_.uses_flat_scratch, 0
	.set _ZN2at6native12_GLOBAL__N_125multi_tensor_apply_kernelINS1_18TensorListMetadataILi3EEENS1_24PointwiseOpScalarFunctorIdLi3ELi3ELi0EEEJSt10multipliesIdEdEEEvT_T0_DpT1_.has_dyn_sized_stack, 0
	.set _ZN2at6native12_GLOBAL__N_125multi_tensor_apply_kernelINS1_18TensorListMetadataILi3EEENS1_24PointwiseOpScalarFunctorIdLi3ELi3ELi0EEEJSt10multipliesIdEdEEEvT_T0_DpT1_.has_recursion, 0
	.set _ZN2at6native12_GLOBAL__N_125multi_tensor_apply_kernelINS1_18TensorListMetadataILi3EEENS1_24PointwiseOpScalarFunctorIdLi3ELi3ELi0EEEJSt10multipliesIdEdEEEvT_T0_DpT1_.has_indirect_call, 0
	.section	.AMDGPU.csdata,"",@progbits
; Kernel info:
; codeLenInByte = 2052
; TotalNumSgprs: 41
; NumVgprs: 59
; ScratchSize: 0
; MemoryBound: 1
; FloatMode: 240
; IeeeMode: 1
; LDSByteSize: 0 bytes/workgroup (compile time only)
; SGPRBlocks: 5
; VGPRBlocks: 14
; NumSGPRsForWavesPerEU: 41
; NumVGPRsForWavesPerEU: 59
; Occupancy: 4
; WaveLimiterHint : 0
; COMPUTE_PGM_RSRC2:SCRATCH_EN: 0
; COMPUTE_PGM_RSRC2:USER_SGPR: 6
; COMPUTE_PGM_RSRC2:TRAP_HANDLER: 0
; COMPUTE_PGM_RSRC2:TGID_X_EN: 1
; COMPUTE_PGM_RSRC2:TGID_Y_EN: 0
; COMPUTE_PGM_RSRC2:TGID_Z_EN: 0
; COMPUTE_PGM_RSRC2:TIDIG_COMP_CNT: 0
	.section	.text._ZN2at6native12_GLOBAL__N_125multi_tensor_apply_kernelINS1_18TensorListMetadataILi3EEENS1_24PointwiseOpScalarFunctorIfLi3ELi3ELi0EEEJSt10multipliesIfEfEEEvT_T0_DpT1_,"axG",@progbits,_ZN2at6native12_GLOBAL__N_125multi_tensor_apply_kernelINS1_18TensorListMetadataILi3EEENS1_24PointwiseOpScalarFunctorIfLi3ELi3ELi0EEEJSt10multipliesIfEfEEEvT_T0_DpT1_,comdat
	.globl	_ZN2at6native12_GLOBAL__N_125multi_tensor_apply_kernelINS1_18TensorListMetadataILi3EEENS1_24PointwiseOpScalarFunctorIfLi3ELi3ELi0EEEJSt10multipliesIfEfEEEvT_T0_DpT1_ ; -- Begin function _ZN2at6native12_GLOBAL__N_125multi_tensor_apply_kernelINS1_18TensorListMetadataILi3EEENS1_24PointwiseOpScalarFunctorIfLi3ELi3ELi0EEEJSt10multipliesIfEfEEEvT_T0_DpT1_
	.p2align	8
	.type	_ZN2at6native12_GLOBAL__N_125multi_tensor_apply_kernelINS1_18TensorListMetadataILi3EEENS1_24PointwiseOpScalarFunctorIfLi3ELi3ELi0EEEJSt10multipliesIfEfEEEvT_T0_DpT1_,@function
_ZN2at6native12_GLOBAL__N_125multi_tensor_apply_kernelINS1_18TensorListMetadataILi3EEENS1_24PointwiseOpScalarFunctorIfLi3ELi3ELi0EEEJSt10multipliesIfEfEEEvT_T0_DpT1_: ; @_ZN2at6native12_GLOBAL__N_125multi_tensor_apply_kernelINS1_18TensorListMetadataILi3EEENS1_24PointwiseOpScalarFunctorIfLi3ELi3ELi0EEEJSt10multipliesIfEfEEEvT_T0_DpT1_
; %bb.0:
	v_mov_b32_e32 v1, s6
	global_load_ubyte v1, v1, s[4:5] offset:1536
	s_add_u32 s0, s4, s6
	s_mul_hi_u32 s1, s6, 3
	s_mul_i32 s6, s6, 3
	s_addc_u32 s2, s5, 0
	s_add_u32 s0, s0, s6
	s_addc_u32 s1, s2, s1
	s_load_dword s10, s[0:1], 0x740
	s_load_dword s24, s[4:5], 0xc4c
	s_mov_b32 s1, 0
	s_mov_b32 s17, s1
	s_waitcnt lgkmcnt(0)
	s_ashr_i32 s11, s10, 31
	s_lshl_b64 s[14:15], s[10:11], 18
	s_waitcnt vmcnt(0)
	v_readfirstlane_b32 s0, v1
	s_lshl_b32 s0, s0, 3
	s_load_dwordx2 s[8:9], s[4:5], s0 offset:0x0
	s_load_dwordx2 s[18:19], s[4:5], s0 offset:0x480
	;; [unrolled: 1-line block ×4, first 2 shown]
	s_waitcnt lgkmcnt(0)
	s_add_u32 s25, s8, s14
	s_addc_u32 s26, s9, s15
	s_and_b32 s0, s25, 15
	s_add_u32 s27, s6, s14
	s_addc_u32 s28, s7, s15
	s_add_u32 s29, s2, s14
	s_addc_u32 s30, s3, s15
	s_or_b32 s12, s29, s27
	s_and_b32 s12, s12, 15
	s_cmp_eq_u32 s12, 0
	s_cselect_b64 s[20:21], -1, 0
	s_lshl_b64 s[10:11], s[10:11], 16
	s_sub_u32 s12, s18, s10
	s_subb_u32 s13, s19, s11
	s_and_b32 s16, s18, 3
	s_or_b64 s[0:1], s[0:1], s[16:17]
	s_cmp_eq_u64 s[0:1], 0
	s_cselect_b64 s[0:1], -1, 0
	s_and_b64 s[10:11], s[20:21], s[0:1]
	s_mov_b64 s[0:1], -1
	s_and_b64 vcc, exec, s[10:11]
	s_cbranch_vccnz .LBB28_29
; %bb.1:
	v_cmp_lt_i64_e64 s[0:1], s[12:13], 1
	s_and_b64 vcc, exec, s[0:1]
	s_cbranch_vccnz .LBB28_28
; %bb.2:
	v_mov_b32_e32 v1, 0x10000
	s_load_dword s10, s[4:5], 0xc5c
	v_mov_b32_e32 v2, 0
	v_cmp_lt_i64_e32 vcc, s[12:13], v[1:2]
	v_mov_b32_e32 v18, 0
	s_and_b64 s[0:1], vcc, exec
	s_cselect_b32 s17, s13, 0
	s_cselect_b32 s16, s12, 0x10000
	s_waitcnt lgkmcnt(0)
	s_and_b32 s10, s10, 0xffff
	v_lshlrev_b32_e32 v17, 2, v0
	v_mad_u64_u32 v[5:6], s[0:1], s10, 12, v[17:18]
	v_cmp_lt_u64_e32 vcc, s[12:13], v[1:2]
	v_mov_b32_e32 v2, s9
	s_and_b64 s[0:1], vcc, exec
	v_add_co_u32_e32 v1, vcc, s8, v5
	v_addc_co_u32_e32 v2, vcc, v2, v6, vcc
	v_mov_b32_e32 v4, s7
	v_add_co_u32_e32 v3, vcc, s6, v5
	v_addc_co_u32_e32 v4, vcc, v4, v6, vcc
	v_mov_b32_e32 v7, s3
	v_add_co_u32_e32 v5, vcc, s2, v5
	s_cselect_b32 s19, s13, 0
	s_cselect_b32 s18, s12, 0x10000
	v_addc_co_u32_e32 v6, vcc, v7, v6, vcc
	s_lshl_b32 s0, s10, 3
	v_add_co_u32_e32 v11, vcc, s0, v17
	v_addc_co_u32_e64 v12, s[0:1], 0, 0, vcc
	v_mov_b32_e32 v8, s9
	v_add_co_u32_e32 v7, vcc, s8, v11
	v_addc_co_u32_e32 v8, vcc, v8, v12, vcc
	v_mov_b32_e32 v10, s7
	v_add_co_u32_e32 v9, vcc, s6, v11
	v_addc_co_u32_e32 v10, vcc, v10, v12, vcc
	;; [unrolled: 3-line block ×6, first 2 shown]
	v_add_co_u32_e32 v19, vcc, s10, v0
	v_lshlrev_b32_e32 v25, 2, v19
	s_lshl_b32 s22, s10, 1
	s_mul_i32 s23, s10, 3
	s_lshl_b32 s31, s10, 2
	s_lshl_b32 s33, s10, 4
	v_addc_co_u32_e64 v20, s[10:11], 0, 0, vcc
	v_mov_b32_e32 v22, s9
	v_add_co_u32_e32 v21, vcc, s8, v25
	v_addc_co_u32_e32 v22, vcc, 0, v22, vcc
	v_mov_b32_e32 v24, s7
	v_add_co_u32_e32 v23, vcc, s6, v25
	v_addc_co_u32_e32 v24, vcc, 0, v24, vcc
	;; [unrolled: 3-line block ×3, first 2 shown]
	v_add_co_u32_e32 v27, vcc, s23, v0
	v_addc_co_u32_e64 v28, s[2:3], 0, 0, vcc
	v_add_co_u32_e32 v29, vcc, s22, v0
	v_cmp_eq_f32_e64 s[0:1], s24, 1.0
	s_mov_b64 s[20:21], 0
	v_addc_co_u32_e64 v30, s[2:3], 0, 0, vcc
	s_branch .LBB28_4
.LBB28_3:                               ;   in Loop: Header=BB28_4 Depth=1
	s_or_b64 exec, exec, s[2:3]
	v_add_co_u32_e32 v13, vcc, s33, v13
	v_addc_co_u32_e32 v14, vcc, 0, v14, vcc
	v_add_co_u32_e32 v15, vcc, s33, v15
	v_addc_co_u32_e32 v16, vcc, 0, v16, vcc
	;; [unrolled: 2-line block ×10, first 2 shown]
	s_add_u32 s20, s20, s31
	v_add_co_u32_e32 v23, vcc, s33, v23
	s_waitcnt vmcnt(0)
	v_mov_b32_e32 v32, s17
	s_addc_u32 s21, s21, 0
	v_addc_co_u32_e32 v24, vcc, 0, v24, vcc
	v_mov_b32_e32 v31, s16
	v_cmp_lt_i64_e32 vcc, s[20:21], v[31:32]
	v_add_co_u32_e64 v25, s[2:3], s33, v25
	v_addc_co_u32_e64 v26, s[2:3], 0, v26, s[2:3]
	s_cbranch_vccz .LBB28_28
.LBB28_4:                               ; =>This Inner Loop Header: Depth=1
	v_mov_b32_e32 v32, s21
	v_add_co_u32_e32 v31, vcc, s20, v0
	v_addc_co_u32_e32 v32, vcc, 0, v32, vcc
	v_cmp_gt_u64_e32 vcc, s[18:19], v[31:32]
	v_mov_b32_e32 v32, 0
	v_mov_b32_e32 v31, 0
	s_and_saveexec_b64 s[6:7], vcc
	s_cbranch_execz .LBB28_6
; %bb.5:                                ;   in Loop: Header=BB28_4 Depth=1
	v_mov_b32_e32 v31, s15
	v_add_co_u32_e64 v33, s[2:3], s14, v13
	v_addc_co_u32_e64 v34, s[2:3], v14, v31, s[2:3]
	v_add_co_u32_e64 v35, s[2:3], s14, v15
	v_addc_co_u32_e64 v36, s[2:3], v16, v31, s[2:3]
	global_load_dword v31, v[33:34], off
	global_load_dword v32, v[35:36], off
.LBB28_6:                               ;   in Loop: Header=BB28_4 Depth=1
	s_or_b64 exec, exec, s[6:7]
	v_mov_b32_e32 v33, 0
	v_mov_b32_e32 v34, 0
	s_and_saveexec_b64 s[6:7], vcc
	s_cbranch_execz .LBB28_8
; %bb.7:                                ;   in Loop: Header=BB28_4 Depth=1
	v_mov_b32_e32 v35, s15
	v_add_co_u32_e64 v34, s[2:3], s14, v17
	v_addc_co_u32_e64 v35, s[2:3], v18, v35, s[2:3]
	global_load_dword v34, v[34:35], off
.LBB28_8:                               ;   in Loop: Header=BB28_4 Depth=1
	s_or_b64 exec, exec, s[6:7]
	v_mov_b32_e32 v36, s21
	v_add_co_u32_e64 v35, s[2:3], s20, v19
	v_addc_co_u32_e64 v36, s[2:3], v20, v36, s[2:3]
	v_cmp_gt_u64_e64 s[2:3], s[18:19], v[35:36]
	v_mov_b32_e32 v35, 0
	s_and_saveexec_b64 s[8:9], s[2:3]
	s_cbranch_execz .LBB28_10
; %bb.9:                                ;   in Loop: Header=BB28_4 Depth=1
	v_mov_b32_e32 v33, s15
	v_add_co_u32_e64 v36, s[6:7], s14, v21
	v_addc_co_u32_e64 v37, s[6:7], v22, v33, s[6:7]
	v_add_co_u32_e64 v38, s[6:7], s14, v23
	v_addc_co_u32_e64 v39, s[6:7], v24, v33, s[6:7]
	global_load_dword v35, v[36:37], off
	global_load_dword v33, v[38:39], off
.LBB28_10:                              ;   in Loop: Header=BB28_4 Depth=1
	s_or_b64 exec, exec, s[8:9]
	v_mov_b32_e32 v36, 0
	v_mov_b32_e32 v37, 0
	s_and_saveexec_b64 s[8:9], s[2:3]
	s_cbranch_execz .LBB28_12
; %bb.11:                               ;   in Loop: Header=BB28_4 Depth=1
	v_mov_b32_e32 v38, s15
	v_add_co_u32_e64 v37, s[6:7], s14, v25
	v_addc_co_u32_e64 v38, s[6:7], v26, v38, s[6:7]
	global_load_dword v37, v[37:38], off
.LBB28_12:                              ;   in Loop: Header=BB28_4 Depth=1
	s_or_b64 exec, exec, s[8:9]
	v_mov_b32_e32 v39, s21
	v_add_co_u32_e64 v38, s[6:7], s20, v29
	v_addc_co_u32_e64 v39, s[6:7], v30, v39, s[6:7]
	v_cmp_gt_u64_e64 s[6:7], s[18:19], v[38:39]
	v_mov_b32_e32 v38, 0
	s_and_saveexec_b64 s[10:11], s[6:7]
	s_cbranch_execz .LBB28_14
; %bb.13:                               ;   in Loop: Header=BB28_4 Depth=1
	v_mov_b32_e32 v36, s15
	v_add_co_u32_e64 v39, s[8:9], s14, v7
	v_addc_co_u32_e64 v40, s[8:9], v8, v36, s[8:9]
	v_add_co_u32_e64 v41, s[8:9], s14, v9
	v_addc_co_u32_e64 v42, s[8:9], v10, v36, s[8:9]
	global_load_dword v38, v[39:40], off
	global_load_dword v36, v[41:42], off
.LBB28_14:                              ;   in Loop: Header=BB28_4 Depth=1
	s_or_b64 exec, exec, s[10:11]
	v_mov_b32_e32 v39, 0
	v_mov_b32_e32 v40, 0
	s_and_saveexec_b64 s[10:11], s[6:7]
	s_cbranch_execz .LBB28_16
; %bb.15:                               ;   in Loop: Header=BB28_4 Depth=1
	v_mov_b32_e32 v41, s15
	v_add_co_u32_e64 v40, s[8:9], s14, v11
	v_addc_co_u32_e64 v41, s[8:9], v12, v41, s[8:9]
	global_load_dword v40, v[40:41], off
.LBB28_16:                              ;   in Loop: Header=BB28_4 Depth=1
	s_or_b64 exec, exec, s[10:11]
	v_mov_b32_e32 v42, s21
	v_add_co_u32_e64 v41, s[8:9], s20, v27
	v_addc_co_u32_e64 v42, s[8:9], v28, v42, s[8:9]
	v_cmp_gt_u64_e64 s[8:9], s[18:19], v[41:42]
	v_mov_b32_e32 v41, 0
	s_and_saveexec_b64 s[22:23], s[8:9]
	s_cbranch_execnz .LBB28_22
; %bb.17:                               ;   in Loop: Header=BB28_4 Depth=1
	s_or_b64 exec, exec, s[22:23]
	v_mov_b32_e32 v42, 0
	s_and_saveexec_b64 s[22:23], s[8:9]
	s_cbranch_execnz .LBB28_23
.LBB28_18:                              ;   in Loop: Header=BB28_4 Depth=1
	s_or_b64 exec, exec, s[22:23]
	s_and_saveexec_b64 s[10:11], vcc
	s_cbranch_execnz .LBB28_24
.LBB28_19:                              ;   in Loop: Header=BB28_4 Depth=1
	s_or_b64 exec, exec, s[10:11]
	s_and_saveexec_b64 s[10:11], s[2:3]
	s_cbranch_execnz .LBB28_25
.LBB28_20:                              ;   in Loop: Header=BB28_4 Depth=1
	s_or_b64 exec, exec, s[10:11]
	s_and_saveexec_b64 s[2:3], s[6:7]
	s_cbranch_execnz .LBB28_26
.LBB28_21:                              ;   in Loop: Header=BB28_4 Depth=1
	s_or_b64 exec, exec, s[2:3]
	s_and_saveexec_b64 s[2:3], s[8:9]
	s_cbranch_execz .LBB28_3
	s_branch .LBB28_27
.LBB28_22:                              ;   in Loop: Header=BB28_4 Depth=1
	v_mov_b32_e32 v39, s15
	v_add_co_u32_e64 v42, s[10:11], s14, v1
	v_addc_co_u32_e64 v43, s[10:11], v2, v39, s[10:11]
	v_add_co_u32_e64 v44, s[10:11], s14, v3
	v_addc_co_u32_e64 v45, s[10:11], v4, v39, s[10:11]
	global_load_dword v41, v[42:43], off
	global_load_dword v39, v[44:45], off
	s_or_b64 exec, exec, s[22:23]
	v_mov_b32_e32 v42, 0
	s_and_saveexec_b64 s[22:23], s[8:9]
	s_cbranch_execz .LBB28_18
.LBB28_23:                              ;   in Loop: Header=BB28_4 Depth=1
	v_mov_b32_e32 v43, s15
	v_add_co_u32_e64 v42, s[10:11], s14, v5
	v_addc_co_u32_e64 v43, s[10:11], v6, v43, s[10:11]
	global_load_dword v42, v[42:43], off
	s_or_b64 exec, exec, s[22:23]
	s_and_saveexec_b64 s[10:11], vcc
	s_cbranch_execz .LBB28_19
.LBB28_24:                              ;   in Loop: Header=BB28_4 Depth=1
	s_waitcnt vmcnt(0)
	v_fma_f32 v43, v32, v34, v31
	v_mul_f32_e32 v32, v32, v34
	v_fmac_f32_e32 v31, s24, v32
	v_cndmask_b32_e64 v34, v31, v43, s[0:1]
	v_mov_b32_e32 v32, s15
	v_add_co_u32_e32 v31, vcc, s14, v13
	v_addc_co_u32_e32 v32, vcc, v14, v32, vcc
	global_store_dword v[31:32], v34, off
	s_or_b64 exec, exec, s[10:11]
	s_and_saveexec_b64 s[10:11], s[2:3]
	s_cbranch_execz .LBB28_20
.LBB28_25:                              ;   in Loop: Header=BB28_4 Depth=1
	s_waitcnt vmcnt(0)
	v_mul_f32_e32 v32, v33, v37
	v_fma_f32 v31, v33, v37, v35
	v_fmac_f32_e32 v35, s24, v32
	v_cndmask_b32_e64 v33, v35, v31, s[0:1]
	v_mov_b32_e32 v32, s15
	v_add_co_u32_e32 v31, vcc, s14, v21
	v_addc_co_u32_e32 v32, vcc, v22, v32, vcc
	global_store_dword v[31:32], v33, off
	s_or_b64 exec, exec, s[10:11]
	s_and_saveexec_b64 s[2:3], s[6:7]
	s_cbranch_execz .LBB28_21
.LBB28_26:                              ;   in Loop: Header=BB28_4 Depth=1
	s_waitcnt vmcnt(0)
	v_mul_f32_e32 v32, v36, v40
	v_fma_f32 v31, v36, v40, v38
	v_fmac_f32_e32 v38, s24, v32
	v_cndmask_b32_e64 v33, v38, v31, s[0:1]
	v_mov_b32_e32 v32, s15
	v_add_co_u32_e32 v31, vcc, s14, v7
	v_addc_co_u32_e32 v32, vcc, v8, v32, vcc
	global_store_dword v[31:32], v33, off
	s_or_b64 exec, exec, s[2:3]
	s_and_saveexec_b64 s[2:3], s[8:9]
	s_cbranch_execz .LBB28_3
.LBB28_27:                              ;   in Loop: Header=BB28_4 Depth=1
	s_waitcnt vmcnt(0)
	v_mul_f32_e32 v32, v39, v42
	v_fma_f32 v31, v39, v42, v41
	v_fmac_f32_e32 v41, s24, v32
	v_cndmask_b32_e64 v33, v41, v31, s[0:1]
	v_mov_b32_e32 v32, s15
	v_add_co_u32_e32 v31, vcc, s14, v1
	v_addc_co_u32_e32 v32, vcc, v2, v32, vcc
	global_store_dword v[31:32], v33, off
	s_branch .LBB28_3
.LBB28_28:
	s_mov_b64 s[0:1], 0
.LBB28_29:
	s_andn2_b64 vcc, exec, s[0:1]
	s_cbranch_vccnz .LBB28_33
; %bb.30:
	v_mov_b32_e32 v1, 0x10000
	v_mov_b32_e32 v2, 0
	v_cmp_lt_i64_e32 vcc, s[12:13], v[1:2]
	v_mov_b32_e32 v2, 0
	s_and_b64 s[0:1], vcc, exec
	s_cselect_b32 s7, s13, 0
	s_cselect_b32 s6, s12, 0x10000
	v_lshlrev_b32_e32 v1, 2, v0
	v_cmp_gt_i64_e32 vcc, s[6:7], v[1:2]
	s_and_saveexec_b64 s[0:1], vcc
	s_cbranch_execz .LBB28_33
; %bb.31:
	s_load_dword s0, s[4:5], 0xc5c
	v_mov_b32_e32 v1, v2
	v_cmp_eq_f32_e64 vcc, s24, 1.0
	v_lshlrev_b32_e32 v2, 4, v0
	s_mov_b64 s[8:9], 0
	s_waitcnt lgkmcnt(0)
	s_and_b32 s10, s0, 0xffff
	s_lshl_b32 s11, s10, 4
.LBB28_32:                              ; =>This Inner Loop Header: Depth=1
	v_mov_b32_e32 v4, s28
	v_add_co_u32_e64 v15, s[0:1], s27, v2
	v_mov_b32_e32 v3, s26
	v_mov_b32_e32 v5, s30
	v_add_co_u32_e64 v17, s[2:3], s29, v2
	v_add_co_u32_e64 v19, s[4:5], s25, v2
	v_addc_co_u32_e64 v16, s[0:1], 0, v4, s[0:1]
	v_addc_co_u32_e64 v20, s[4:5], 0, v3, s[4:5]
	;; [unrolled: 1-line block ×3, first 2 shown]
	global_load_dwordx4 v[3:6], v[15:16], off
	global_load_dwordx4 v[7:10], v[17:18], off
	;; [unrolled: 1-line block ×3, first 2 shown]
	v_add_co_u32_e64 v0, s[0:1], s10, v0
	s_add_u32 s29, s29, s11
	v_addc_co_u32_e64 v1, s[0:1], 0, v1, s[0:1]
	s_addc_u32 s30, s30, 0
	v_lshlrev_b64 v[15:16], 2, v[0:1]
	s_add_u32 s25, s25, s11
	s_addc_u32 s26, s26, 0
	v_cmp_le_i64_e64 s[0:1], s[6:7], v[15:16]
	s_add_u32 s27, s27, s11
	s_addc_u32 s28, s28, 0
	s_or_b64 s[8:9], s[0:1], s[8:9]
	s_waitcnt vmcnt(0)
	v_fma_f32 v15, v3, v7, v11
	v_mul_f32_e32 v3, v3, v7
	v_fma_f32 v7, v4, v8, v12
	v_mul_f32_e32 v4, v4, v8
	;; [unrolled: 2-line block ×4, first 2 shown]
	v_fma_f32 v3, s24, v3, v11
	v_fma_f32 v4, s24, v4, v12
	v_fma_f32 v5, s24, v5, v13
	v_fmac_f32_e32 v14, s24, v6
	v_cndmask_b32_e32 v3, v3, v15, vcc
	v_cndmask_b32_e32 v4, v4, v7, vcc
	;; [unrolled: 1-line block ×4, first 2 shown]
	global_store_dwordx4 v[19:20], v[3:6], off
	s_andn2_b64 exec, exec, s[8:9]
	s_cbranch_execnz .LBB28_32
.LBB28_33:
	s_endpgm
	.section	.rodata,"a",@progbits
	.p2align	6, 0x0
	.amdhsa_kernel _ZN2at6native12_GLOBAL__N_125multi_tensor_apply_kernelINS1_18TensorListMetadataILi3EEENS1_24PointwiseOpScalarFunctorIfLi3ELi3ELi0EEEJSt10multipliesIfEfEEEvT_T0_DpT1_
		.amdhsa_group_segment_fixed_size 0
		.amdhsa_private_segment_fixed_size 0
		.amdhsa_kernarg_size 3408
		.amdhsa_user_sgpr_count 6
		.amdhsa_user_sgpr_private_segment_buffer 1
		.amdhsa_user_sgpr_dispatch_ptr 0
		.amdhsa_user_sgpr_queue_ptr 0
		.amdhsa_user_sgpr_kernarg_segment_ptr 1
		.amdhsa_user_sgpr_dispatch_id 0
		.amdhsa_user_sgpr_flat_scratch_init 0
		.amdhsa_user_sgpr_private_segment_size 0
		.amdhsa_uses_dynamic_stack 0
		.amdhsa_system_sgpr_private_segment_wavefront_offset 0
		.amdhsa_system_sgpr_workgroup_id_x 1
		.amdhsa_system_sgpr_workgroup_id_y 0
		.amdhsa_system_sgpr_workgroup_id_z 0
		.amdhsa_system_sgpr_workgroup_info 0
		.amdhsa_system_vgpr_workitem_id 0
		.amdhsa_next_free_vgpr 46
		.amdhsa_next_free_sgpr 34
		.amdhsa_reserve_vcc 1
		.amdhsa_reserve_flat_scratch 0
		.amdhsa_float_round_mode_32 0
		.amdhsa_float_round_mode_16_64 0
		.amdhsa_float_denorm_mode_32 3
		.amdhsa_float_denorm_mode_16_64 3
		.amdhsa_dx10_clamp 1
		.amdhsa_ieee_mode 1
		.amdhsa_fp16_overflow 0
		.amdhsa_exception_fp_ieee_invalid_op 0
		.amdhsa_exception_fp_denorm_src 0
		.amdhsa_exception_fp_ieee_div_zero 0
		.amdhsa_exception_fp_ieee_overflow 0
		.amdhsa_exception_fp_ieee_underflow 0
		.amdhsa_exception_fp_ieee_inexact 0
		.amdhsa_exception_int_div_zero 0
	.end_amdhsa_kernel
	.section	.text._ZN2at6native12_GLOBAL__N_125multi_tensor_apply_kernelINS1_18TensorListMetadataILi3EEENS1_24PointwiseOpScalarFunctorIfLi3ELi3ELi0EEEJSt10multipliesIfEfEEEvT_T0_DpT1_,"axG",@progbits,_ZN2at6native12_GLOBAL__N_125multi_tensor_apply_kernelINS1_18TensorListMetadataILi3EEENS1_24PointwiseOpScalarFunctorIfLi3ELi3ELi0EEEJSt10multipliesIfEfEEEvT_T0_DpT1_,comdat
.Lfunc_end28:
	.size	_ZN2at6native12_GLOBAL__N_125multi_tensor_apply_kernelINS1_18TensorListMetadataILi3EEENS1_24PointwiseOpScalarFunctorIfLi3ELi3ELi0EEEJSt10multipliesIfEfEEEvT_T0_DpT1_, .Lfunc_end28-_ZN2at6native12_GLOBAL__N_125multi_tensor_apply_kernelINS1_18TensorListMetadataILi3EEENS1_24PointwiseOpScalarFunctorIfLi3ELi3ELi0EEEJSt10multipliesIfEfEEEvT_T0_DpT1_
                                        ; -- End function
	.set _ZN2at6native12_GLOBAL__N_125multi_tensor_apply_kernelINS1_18TensorListMetadataILi3EEENS1_24PointwiseOpScalarFunctorIfLi3ELi3ELi0EEEJSt10multipliesIfEfEEEvT_T0_DpT1_.num_vgpr, 46
	.set _ZN2at6native12_GLOBAL__N_125multi_tensor_apply_kernelINS1_18TensorListMetadataILi3EEENS1_24PointwiseOpScalarFunctorIfLi3ELi3ELi0EEEJSt10multipliesIfEfEEEvT_T0_DpT1_.num_agpr, 0
	.set _ZN2at6native12_GLOBAL__N_125multi_tensor_apply_kernelINS1_18TensorListMetadataILi3EEENS1_24PointwiseOpScalarFunctorIfLi3ELi3ELi0EEEJSt10multipliesIfEfEEEvT_T0_DpT1_.numbered_sgpr, 34
	.set _ZN2at6native12_GLOBAL__N_125multi_tensor_apply_kernelINS1_18TensorListMetadataILi3EEENS1_24PointwiseOpScalarFunctorIfLi3ELi3ELi0EEEJSt10multipliesIfEfEEEvT_T0_DpT1_.num_named_barrier, 0
	.set _ZN2at6native12_GLOBAL__N_125multi_tensor_apply_kernelINS1_18TensorListMetadataILi3EEENS1_24PointwiseOpScalarFunctorIfLi3ELi3ELi0EEEJSt10multipliesIfEfEEEvT_T0_DpT1_.private_seg_size, 0
	.set _ZN2at6native12_GLOBAL__N_125multi_tensor_apply_kernelINS1_18TensorListMetadataILi3EEENS1_24PointwiseOpScalarFunctorIfLi3ELi3ELi0EEEJSt10multipliesIfEfEEEvT_T0_DpT1_.uses_vcc, 1
	.set _ZN2at6native12_GLOBAL__N_125multi_tensor_apply_kernelINS1_18TensorListMetadataILi3EEENS1_24PointwiseOpScalarFunctorIfLi3ELi3ELi0EEEJSt10multipliesIfEfEEEvT_T0_DpT1_.uses_flat_scratch, 0
	.set _ZN2at6native12_GLOBAL__N_125multi_tensor_apply_kernelINS1_18TensorListMetadataILi3EEENS1_24PointwiseOpScalarFunctorIfLi3ELi3ELi0EEEJSt10multipliesIfEfEEEvT_T0_DpT1_.has_dyn_sized_stack, 0
	.set _ZN2at6native12_GLOBAL__N_125multi_tensor_apply_kernelINS1_18TensorListMetadataILi3EEENS1_24PointwiseOpScalarFunctorIfLi3ELi3ELi0EEEJSt10multipliesIfEfEEEvT_T0_DpT1_.has_recursion, 0
	.set _ZN2at6native12_GLOBAL__N_125multi_tensor_apply_kernelINS1_18TensorListMetadataILi3EEENS1_24PointwiseOpScalarFunctorIfLi3ELi3ELi0EEEJSt10multipliesIfEfEEEvT_T0_DpT1_.has_indirect_call, 0
	.section	.AMDGPU.csdata,"",@progbits
; Kernel info:
; codeLenInByte = 1920
; TotalNumSgprs: 38
; NumVgprs: 46
; ScratchSize: 0
; MemoryBound: 0
; FloatMode: 240
; IeeeMode: 1
; LDSByteSize: 0 bytes/workgroup (compile time only)
; SGPRBlocks: 4
; VGPRBlocks: 11
; NumSGPRsForWavesPerEU: 38
; NumVGPRsForWavesPerEU: 46
; Occupancy: 5
; WaveLimiterHint : 0
; COMPUTE_PGM_RSRC2:SCRATCH_EN: 0
; COMPUTE_PGM_RSRC2:USER_SGPR: 6
; COMPUTE_PGM_RSRC2:TRAP_HANDLER: 0
; COMPUTE_PGM_RSRC2:TGID_X_EN: 1
; COMPUTE_PGM_RSRC2:TGID_Y_EN: 0
; COMPUTE_PGM_RSRC2:TGID_Z_EN: 0
; COMPUTE_PGM_RSRC2:TIDIG_COMP_CNT: 0
	.section	.text._ZN2at6native12_GLOBAL__N_125multi_tensor_apply_kernelINS1_18TensorListMetadataILi3EEENS1_24PointwiseOpScalarFunctorIN3c107complexIdEELi3ELi3ELi0EEEJSt10multipliesIS8_ES8_EEEvT_T0_DpT1_,"axG",@progbits,_ZN2at6native12_GLOBAL__N_125multi_tensor_apply_kernelINS1_18TensorListMetadataILi3EEENS1_24PointwiseOpScalarFunctorIN3c107complexIdEELi3ELi3ELi0EEEJSt10multipliesIS8_ES8_EEEvT_T0_DpT1_,comdat
	.globl	_ZN2at6native12_GLOBAL__N_125multi_tensor_apply_kernelINS1_18TensorListMetadataILi3EEENS1_24PointwiseOpScalarFunctorIN3c107complexIdEELi3ELi3ELi0EEEJSt10multipliesIS8_ES8_EEEvT_T0_DpT1_ ; -- Begin function _ZN2at6native12_GLOBAL__N_125multi_tensor_apply_kernelINS1_18TensorListMetadataILi3EEENS1_24PointwiseOpScalarFunctorIN3c107complexIdEELi3ELi3ELi0EEEJSt10multipliesIS8_ES8_EEEvT_T0_DpT1_
	.p2align	8
	.type	_ZN2at6native12_GLOBAL__N_125multi_tensor_apply_kernelINS1_18TensorListMetadataILi3EEENS1_24PointwiseOpScalarFunctorIN3c107complexIdEELi3ELi3ELi0EEEJSt10multipliesIS8_ES8_EEEvT_T0_DpT1_,@function
_ZN2at6native12_GLOBAL__N_125multi_tensor_apply_kernelINS1_18TensorListMetadataILi3EEENS1_24PointwiseOpScalarFunctorIN3c107complexIdEELi3ELi3ELi0EEEJSt10multipliesIS8_ES8_EEEvT_T0_DpT1_: ; @_ZN2at6native12_GLOBAL__N_125multi_tensor_apply_kernelINS1_18TensorListMetadataILi3EEENS1_24PointwiseOpScalarFunctorIN3c107complexIdEELi3ELi3ELi0EEEJSt10multipliesIS8_ES8_EEEvT_T0_DpT1_
; %bb.0:
	v_mov_b32_e32 v1, s6
	global_load_ubyte v1, v1, s[4:5] offset:1536
	s_add_u32 s0, s4, s6
	s_mul_hi_u32 s1, s6, 3
	s_mul_i32 s6, s6, 3
	s_addc_u32 s2, s5, 0
	s_add_u32 s0, s0, s6
	s_addc_u32 s1, s2, s1
	s_load_dword s2, s[0:1], 0x740
	s_load_dwordx4 s[12:15], s[4:5], 0xc50
	s_mov_b32 s1, 0
	s_mov_b32 s7, s1
	s_waitcnt lgkmcnt(0)
	s_ashr_i32 s3, s2, 31
	s_lshl_b64 s[10:11], s[2:3], 20
	s_waitcnt vmcnt(0)
	v_readfirstlane_b32 s0, v1
	s_lshl_b32 s0, s0, 3
	s_load_dwordx2 s[8:9], s[4:5], s0 offset:0x0
	s_load_dwordx2 s[16:17], s[4:5], s0 offset:0x180
	;; [unrolled: 1-line block ×4, first 2 shown]
	s_waitcnt lgkmcnt(0)
	s_add_u32 s26, s8, s10
	s_addc_u32 s27, s9, s11
	s_add_u32 s28, s16, s10
	s_addc_u32 s29, s17, s11
	;; [unrolled: 2-line block ×3, first 2 shown]
	s_or_b32 s6, s30, s28
	s_and_b32 s0, s26, 63
	s_and_b32 s6, s6, 63
	s_cmp_eq_u32 s6, 0
	s_cselect_b64 s[8:9], -1, 0
	s_lshl_b64 s[2:3], s[2:3], 16
	s_sub_u32 s16, s18, s2
	s_subb_u32 s17, s19, s3
	s_and_b32 s6, s18, 3
	s_or_b64 s[0:1], s[0:1], s[6:7]
	s_cmp_eq_u64 s[0:1], 0
	s_cselect_b64 s[0:1], -1, 0
	s_and_b64 s[2:3], s[8:9], s[0:1]
	s_mov_b64 s[0:1], -1
	s_and_b64 vcc, exec, s[2:3]
	s_cbranch_vccnz .LBB29_29
; %bb.1:
	v_cmp_lt_i64_e64 s[0:1], s[16:17], 1
	s_and_b64 vcc, exec, s[0:1]
	s_cbranch_vccnz .LBB29_28
; %bb.2:
	v_mov_b32_e32 v1, 0x10000
	v_mov_b32_e32 v2, 0
	v_cmp_lt_i64_e32 vcc, s[16:17], v[1:2]
	v_cmp_eq_f64_e64 s[2:3], s[14:15], 0
	s_and_b64 s[0:1], vcc, exec
	v_cmp_eq_f64_e64 s[0:1], s[12:13], 1.0
	s_load_dword s6, s[4:5], 0xc6c
	v_cmp_lt_u64_e32 vcc, s[16:17], v[1:2]
	s_cselect_b32 s19, s17, 0
	s_cselect_b32 s18, s16, 0x10000
	s_mov_b64 s[22:23], 0
	s_waitcnt lgkmcnt(0)
	s_and_b32 s33, s6, 0xffff
	s_and_b64 s[6:7], vcc, exec
	s_cselect_b32 s21, s17, 0
	s_cselect_b32 s20, s16, 0x10000
	s_lshl_b32 s34, s33, 1
	s_mul_i32 s35, s33, 3
	s_and_b64 s[0:1], s[0:1], s[2:3]
	s_lshl_b32 s36, s33, 2
	s_branch .LBB29_4
.LBB29_3:                               ;   in Loop: Header=BB29_4 Depth=1
	s_or_b64 exec, exec, s[2:3]
	s_add_u32 s22, s22, s36
	s_waitcnt vmcnt(1)
	v_mov_b32_e32 v1, s18
	s_addc_u32 s23, s23, 0
	v_mov_b32_e32 v2, s19
	v_cmp_lt_i64_e32 vcc, s[22:23], v[1:2]
	s_cbranch_vccz .LBB29_28
.LBB29_4:                               ; =>This Inner Loop Header: Depth=1
	v_mov_b32_e32 v1, s23
	v_add_co_u32_e32 v49, vcc, s22, v0
	v_addc_co_u32_e32 v50, vcc, 0, v1, vcc
	v_cmp_gt_u64_e32 vcc, s[20:21], v[49:50]
	s_waitcnt vmcnt(0)
	v_mov_b32_e32 v7, 0
	v_mov_b32_e32 v11, 0
	;; [unrolled: 1-line block ×10, first 2 shown]
	s_and_saveexec_b64 s[6:7], vcc
	s_cbranch_execz .LBB29_6
; %bb.5:                                ;   in Loop: Header=BB29_4 Depth=1
	v_lshlrev_b64 v[1:2], 4, v[49:50]
	v_mov_b32_e32 v3, s29
	v_add_co_u32_e64 v5, s[2:3], s28, v1
	v_addc_co_u32_e64 v6, s[2:3], v3, v2, s[2:3]
	v_mov_b32_e32 v3, s27
	v_add_co_u32_e64 v13, s[2:3], s26, v1
	v_addc_co_u32_e64 v14, s[2:3], v3, v2, s[2:3]
	global_load_dwordx4 v[1:4], v[13:14], off
	global_load_dwordx4 v[9:12], v[5:6], off
.LBB29_6:                               ;   in Loop: Header=BB29_4 Depth=1
	s_or_b64 exec, exec, s[6:7]
	v_mov_b32_e32 v5, 0
	v_mov_b32_e32 v6, 0
	s_and_saveexec_b64 s[6:7], vcc
	s_cbranch_execz .LBB29_8
; %bb.7:                                ;   in Loop: Header=BB29_4 Depth=1
	v_lshlrev_b64 v[5:6], 4, v[49:50]
	v_mov_b32_e32 v7, s31
	v_add_co_u32_e64 v5, s[2:3], s30, v5
	v_addc_co_u32_e64 v6, s[2:3], v7, v6, s[2:3]
	global_load_dwordx4 v[5:8], v[5:6], off
.LBB29_8:                               ;   in Loop: Header=BB29_4 Depth=1
	s_or_b64 exec, exec, s[6:7]
	v_add_co_u32_e64 v51, s[2:3], s33, v49
	v_addc_co_u32_e64 v52, s[2:3], 0, v50, s[2:3]
	v_cmp_gt_u64_e64 s[2:3], s[20:21], v[51:52]
	v_mov_b32_e32 v19, 0
	v_mov_b32_e32 v23, 0
	;; [unrolled: 1-line block ×10, first 2 shown]
	s_and_saveexec_b64 s[8:9], s[2:3]
	s_cbranch_execz .LBB29_10
; %bb.9:                                ;   in Loop: Header=BB29_4 Depth=1
	v_lshlrev_b64 v[13:14], 4, v[51:52]
	v_mov_b32_e32 v15, s29
	v_add_co_u32_e64 v17, s[6:7], s28, v13
	v_addc_co_u32_e64 v18, s[6:7], v15, v14, s[6:7]
	v_mov_b32_e32 v15, s27
	v_add_co_u32_e64 v25, s[6:7], s26, v13
	v_addc_co_u32_e64 v26, s[6:7], v15, v14, s[6:7]
	global_load_dwordx4 v[13:16], v[25:26], off
	global_load_dwordx4 v[21:24], v[17:18], off
.LBB29_10:                              ;   in Loop: Header=BB29_4 Depth=1
	s_or_b64 exec, exec, s[8:9]
	v_mov_b32_e32 v17, 0
	v_mov_b32_e32 v18, 0
	s_and_saveexec_b64 s[8:9], s[2:3]
	s_cbranch_execz .LBB29_12
; %bb.11:                               ;   in Loop: Header=BB29_4 Depth=1
	v_lshlrev_b64 v[17:18], 4, v[51:52]
	v_mov_b32_e32 v19, s31
	v_add_co_u32_e64 v17, s[6:7], s30, v17
	v_addc_co_u32_e64 v18, s[6:7], v19, v18, s[6:7]
	global_load_dwordx4 v[17:20], v[17:18], off
.LBB29_12:                              ;   in Loop: Header=BB29_4 Depth=1
	s_or_b64 exec, exec, s[8:9]
	v_add_co_u32_e64 v53, s[6:7], s34, v49
	v_addc_co_u32_e64 v54, s[6:7], 0, v50, s[6:7]
	v_cmp_gt_u64_e64 s[6:7], s[20:21], v[53:54]
	v_mov_b32_e32 v31, 0
	v_mov_b32_e32 v35, 0
	;; [unrolled: 1-line block ×10, first 2 shown]
	s_and_saveexec_b64 s[10:11], s[6:7]
	s_cbranch_execz .LBB29_14
; %bb.13:                               ;   in Loop: Header=BB29_4 Depth=1
	v_lshlrev_b64 v[25:26], 4, v[53:54]
	v_mov_b32_e32 v27, s29
	v_add_co_u32_e64 v29, s[8:9], s28, v25
	v_addc_co_u32_e64 v30, s[8:9], v27, v26, s[8:9]
	v_mov_b32_e32 v27, s27
	v_add_co_u32_e64 v37, s[8:9], s26, v25
	v_addc_co_u32_e64 v38, s[8:9], v27, v26, s[8:9]
	global_load_dwordx4 v[25:28], v[37:38], off
	global_load_dwordx4 v[33:36], v[29:30], off
.LBB29_14:                              ;   in Loop: Header=BB29_4 Depth=1
	s_or_b64 exec, exec, s[10:11]
	v_mov_b32_e32 v29, 0
	v_mov_b32_e32 v30, 0
	s_and_saveexec_b64 s[10:11], s[6:7]
	s_cbranch_execz .LBB29_16
; %bb.15:                               ;   in Loop: Header=BB29_4 Depth=1
	v_lshlrev_b64 v[29:30], 4, v[53:54]
	v_mov_b32_e32 v31, s31
	v_add_co_u32_e64 v29, s[8:9], s30, v29
	v_addc_co_u32_e64 v30, s[8:9], v31, v30, s[8:9]
	global_load_dwordx4 v[29:32], v[29:30], off
.LBB29_16:                              ;   in Loop: Header=BB29_4 Depth=1
	s_or_b64 exec, exec, s[10:11]
	v_add_co_u32_e64 v55, s[8:9], s35, v49
	v_addc_co_u32_e64 v56, s[8:9], 0, v50, s[8:9]
	v_cmp_gt_u64_e64 s[8:9], s[20:21], v[55:56]
	v_mov_b32_e32 v43, 0
	v_mov_b32_e32 v47, 0
	;; [unrolled: 1-line block ×10, first 2 shown]
	s_and_saveexec_b64 s[24:25], s[8:9]
	s_cbranch_execz .LBB29_18
; %bb.17:                               ;   in Loop: Header=BB29_4 Depth=1
	v_lshlrev_b64 v[37:38], 4, v[55:56]
	v_mov_b32_e32 v39, s29
	v_add_co_u32_e64 v41, s[10:11], s28, v37
	v_addc_co_u32_e64 v42, s[10:11], v39, v38, s[10:11]
	v_mov_b32_e32 v39, s27
	v_add_co_u32_e64 v57, s[10:11], s26, v37
	v_addc_co_u32_e64 v58, s[10:11], v39, v38, s[10:11]
	global_load_dwordx4 v[37:40], v[57:58], off
	global_load_dwordx4 v[45:48], v[41:42], off
.LBB29_18:                              ;   in Loop: Header=BB29_4 Depth=1
	s_or_b64 exec, exec, s[24:25]
	v_mov_b32_e32 v41, 0
	v_mov_b32_e32 v42, 0
	s_and_saveexec_b64 s[24:25], s[8:9]
	s_cbranch_execnz .LBB29_23
; %bb.19:                               ;   in Loop: Header=BB29_4 Depth=1
	s_or_b64 exec, exec, s[24:25]
	s_and_saveexec_b64 s[10:11], vcc
	s_cbranch_execnz .LBB29_24
.LBB29_20:                              ;   in Loop: Header=BB29_4 Depth=1
	s_or_b64 exec, exec, s[10:11]
	s_and_saveexec_b64 s[10:11], s[2:3]
	s_cbranch_execnz .LBB29_25
.LBB29_21:                              ;   in Loop: Header=BB29_4 Depth=1
	s_or_b64 exec, exec, s[10:11]
	s_and_saveexec_b64 s[2:3], s[6:7]
	s_cbranch_execnz .LBB29_26
.LBB29_22:                              ;   in Loop: Header=BB29_4 Depth=1
	s_or_b64 exec, exec, s[2:3]
	s_and_saveexec_b64 s[2:3], s[8:9]
	s_cbranch_execz .LBB29_3
	s_branch .LBB29_27
.LBB29_23:                              ;   in Loop: Header=BB29_4 Depth=1
	v_lshlrev_b64 v[41:42], 4, v[55:56]
	v_mov_b32_e32 v43, s31
	v_add_co_u32_e64 v41, s[10:11], s30, v41
	v_addc_co_u32_e64 v42, s[10:11], v43, v42, s[10:11]
	global_load_dwordx4 v[41:44], v[41:42], off
	s_or_b64 exec, exec, s[24:25]
	s_and_saveexec_b64 s[10:11], vcc
	s_cbranch_execz .LBB29_20
.LBB29_24:                              ;   in Loop: Header=BB29_4 Depth=1
	s_waitcnt vmcnt(0)
	v_mul_f64 v[57:58], v[11:12], v[5:6]
	v_mul_f64 v[11:12], v[11:12], v[7:8]
	v_fma_f64 v[7:8], v[9:10], v[7:8], v[57:58]
	v_fma_f64 v[5:6], v[9:10], v[5:6], -v[11:12]
	v_mul_f64 v[9:10], s[14:15], v[7:8]
	v_mul_f64 v[11:12], s[14:15], v[5:6]
	v_fma_f64 v[9:10], s[12:13], v[5:6], -v[9:10]
	v_fma_f64 v[11:12], s[12:13], v[7:8], v[11:12]
	v_cndmask_b32_e64 v6, v10, v6, s[0:1]
	v_cndmask_b32_e64 v5, v9, v5, s[0:1]
	;; [unrolled: 1-line block ×4, first 2 shown]
	v_add_f64 v[1:2], v[1:2], v[5:6]
	v_add_f64 v[3:4], v[3:4], v[7:8]
	v_lshlrev_b64 v[5:6], 4, v[49:50]
	v_mov_b32_e32 v7, s27
	v_add_co_u32_e32 v5, vcc, s26, v5
	v_addc_co_u32_e32 v6, vcc, v7, v6, vcc
	global_store_dwordx4 v[5:6], v[1:4], off
	s_or_b64 exec, exec, s[10:11]
	s_and_saveexec_b64 s[10:11], s[2:3]
	s_cbranch_execz .LBB29_21
.LBB29_25:                              ;   in Loop: Header=BB29_4 Depth=1
	s_waitcnt vmcnt(0)
	v_mul_f64 v[1:2], v[23:24], v[17:18]
	v_mul_f64 v[3:4], v[23:24], v[19:20]
	v_fma_f64 v[1:2], v[21:22], v[19:20], v[1:2]
	v_fma_f64 v[3:4], v[21:22], v[17:18], -v[3:4]
	v_mul_f64 v[5:6], s[14:15], v[1:2]
	v_mul_f64 v[7:8], s[14:15], v[3:4]
	v_fma_f64 v[5:6], s[12:13], v[3:4], -v[5:6]
	v_fma_f64 v[7:8], s[12:13], v[1:2], v[7:8]
	v_cndmask_b32_e64 v6, v6, v4, s[0:1]
	v_cndmask_b32_e64 v5, v5, v3, s[0:1]
	;; [unrolled: 1-line block ×4, first 2 shown]
	v_add_f64 v[3:4], v[15:16], v[1:2]
	v_add_f64 v[1:2], v[13:14], v[5:6]
	v_lshlrev_b64 v[5:6], 4, v[51:52]
	v_mov_b32_e32 v7, s27
	v_add_co_u32_e32 v5, vcc, s26, v5
	v_addc_co_u32_e32 v6, vcc, v7, v6, vcc
	global_store_dwordx4 v[5:6], v[1:4], off
	s_or_b64 exec, exec, s[10:11]
	s_and_saveexec_b64 s[2:3], s[6:7]
	s_cbranch_execz .LBB29_22
.LBB29_26:                              ;   in Loop: Header=BB29_4 Depth=1
	s_waitcnt vmcnt(0)
	v_mul_f64 v[1:2], v[35:36], v[29:30]
	v_mul_f64 v[3:4], v[35:36], v[31:32]
	v_fma_f64 v[1:2], v[33:34], v[31:32], v[1:2]
	v_fma_f64 v[3:4], v[33:34], v[29:30], -v[3:4]
	v_mul_f64 v[5:6], s[14:15], v[1:2]
	v_mul_f64 v[7:8], s[14:15], v[3:4]
	v_fma_f64 v[5:6], s[12:13], v[3:4], -v[5:6]
	v_fma_f64 v[7:8], s[12:13], v[1:2], v[7:8]
	v_cndmask_b32_e64 v6, v6, v4, s[0:1]
	v_cndmask_b32_e64 v5, v5, v3, s[0:1]
	;; [unrolled: 1-line block ×4, first 2 shown]
	v_add_f64 v[3:4], v[27:28], v[1:2]
	v_add_f64 v[1:2], v[25:26], v[5:6]
	v_lshlrev_b64 v[5:6], 4, v[53:54]
	v_mov_b32_e32 v7, s27
	v_add_co_u32_e32 v5, vcc, s26, v5
	v_addc_co_u32_e32 v6, vcc, v7, v6, vcc
	global_store_dwordx4 v[5:6], v[1:4], off
	s_or_b64 exec, exec, s[2:3]
	s_and_saveexec_b64 s[2:3], s[8:9]
	s_cbranch_execz .LBB29_3
.LBB29_27:                              ;   in Loop: Header=BB29_4 Depth=1
	s_waitcnt vmcnt(0)
	v_mul_f64 v[1:2], v[47:48], v[41:42]
	v_mul_f64 v[3:4], v[47:48], v[43:44]
	v_fma_f64 v[1:2], v[45:46], v[43:44], v[1:2]
	v_fma_f64 v[3:4], v[45:46], v[41:42], -v[3:4]
	v_mul_f64 v[5:6], s[14:15], v[1:2]
	v_mul_f64 v[7:8], s[14:15], v[3:4]
	v_fma_f64 v[5:6], s[12:13], v[3:4], -v[5:6]
	v_fma_f64 v[7:8], s[12:13], v[1:2], v[7:8]
	v_cndmask_b32_e64 v6, v6, v4, s[0:1]
	v_cndmask_b32_e64 v5, v5, v3, s[0:1]
	v_cndmask_b32_e64 v2, v8, v2, s[0:1]
	v_cndmask_b32_e64 v1, v7, v1, s[0:1]
	v_add_f64 v[3:4], v[39:40], v[1:2]
	v_add_f64 v[1:2], v[37:38], v[5:6]
	v_lshlrev_b64 v[5:6], 4, v[55:56]
	v_mov_b32_e32 v7, s27
	v_add_co_u32_e32 v5, vcc, s26, v5
	v_addc_co_u32_e32 v6, vcc, v7, v6, vcc
	global_store_dwordx4 v[5:6], v[1:4], off
	s_branch .LBB29_3
.LBB29_28:
	s_mov_b64 s[0:1], 0
.LBB29_29:
	s_andn2_b64 vcc, exec, s[0:1]
	s_cbranch_vccnz .LBB29_33
; %bb.30:
	v_mov_b32_e32 v1, 0x10000
	v_mov_b32_e32 v2, 0
	v_cmp_lt_i64_e32 vcc, s[16:17], v[1:2]
	v_mov_b32_e32 v2, 0
	s_and_b64 s[0:1], vcc, exec
	s_cselect_b32 s7, s17, 0
	s_cselect_b32 s6, s16, 0x10000
	v_lshlrev_b32_e32 v1, 2, v0
	v_cmp_gt_i64_e32 vcc, s[6:7], v[1:2]
	s_and_saveexec_b64 s[0:1], vcc
	s_cbranch_execz .LBB29_33
; %bb.31:
	v_cmp_eq_f64_e64 s[0:1], s[12:13], 1.0
	v_cmp_eq_f64_e64 s[2:3], s[14:15], 0
	s_load_dword s8, s[4:5], 0xc6c
	v_mov_b32_e32 v1, v2
	s_mov_b64 s[4:5], 0
	v_lshlrev_b32_e32 v2, 6, v0
	s_waitcnt lgkmcnt(0)
	s_and_b32 s8, s8, 0xffff
	s_lshl_b32 s9, s8, 6
	s_and_b64 vcc, s[0:1], s[2:3]
.LBB29_32:                              ; =>This Inner Loop Header: Depth=1
	v_mov_b32_e32 v4, s31
	s_waitcnt vmcnt(0)
	v_add_co_u32_e64 v35, s[0:1], s30, v2
	v_mov_b32_e32 v3, s29
	v_add_co_u32_e64 v37, s[2:3], s28, v2
	v_addc_co_u32_e64 v36, s[0:1], 0, v4, s[0:1]
	v_addc_co_u32_e64 v38, s[2:3], 0, v3, s[2:3]
	global_load_dwordx4 v[3:6], v[35:36], off
	global_load_dwordx4 v[7:10], v[37:38], off
	global_load_dwordx4 v[11:14], v[37:38], off offset:16
	global_load_dwordx4 v[15:18], v[35:36], off offset:16
	;; [unrolled: 1-line block ×6, first 2 shown]
	v_mov_b32_e32 v35, s27
	v_add_co_u32_e64 v51, s[0:1], s26, v2
	v_addc_co_u32_e64 v52, s[0:1], 0, v35, s[0:1]
	global_load_dwordx4 v[35:38], v[51:52], off
	global_load_dwordx4 v[39:42], v[51:52], off offset:16
	global_load_dwordx4 v[43:46], v[51:52], off offset:32
	;; [unrolled: 1-line block ×3, first 2 shown]
	v_add_co_u32_e64 v0, s[0:1], s8, v0
	s_add_u32 s30, s30, s9
	v_addc_co_u32_e64 v1, s[0:1], 0, v1, s[0:1]
	s_addc_u32 s31, s31, 0
	v_lshlrev_b64 v[53:54], 2, v[0:1]
	s_add_u32 s26, s26, s9
	s_addc_u32 s27, s27, 0
	v_cmp_le_i64_e64 s[0:1], s[6:7], v[53:54]
	s_add_u32 s28, s28, s9
	s_addc_u32 s29, s29, 0
	s_or_b64 s[4:5], s[0:1], s[4:5]
	s_waitcnt vmcnt(10)
	v_mul_f64 v[55:56], v[9:10], v[5:6]
	v_mul_f64 v[5:6], v[7:8], v[5:6]
	v_fma_f64 v[7:8], v[7:8], v[3:4], -v[55:56]
	v_fma_f64 v[3:4], v[9:10], v[3:4], v[5:6]
	s_waitcnt vmcnt(8)
	v_mul_f64 v[5:6], v[13:14], v[17:18]
	v_mul_f64 v[9:10], v[11:12], v[17:18]
	s_waitcnt vmcnt(6)
	v_mul_f64 v[17:18], v[25:26], v[21:22]
	v_mul_f64 v[21:22], v[23:24], v[21:22]
	v_fma_f64 v[5:6], v[11:12], v[15:16], -v[5:6]
	v_fma_f64 v[9:10], v[13:14], v[15:16], v[9:10]
	s_waitcnt vmcnt(4)
	v_mul_f64 v[11:12], v[27:28], v[33:34]
	v_mul_f64 v[13:14], v[29:30], v[33:34]
	v_fma_f64 v[15:16], v[25:26], v[19:20], v[21:22]
	v_fma_f64 v[17:18], v[23:24], v[19:20], -v[17:18]
	v_mul_f64 v[19:20], s[14:15], v[3:4]
	v_mul_f64 v[21:22], s[14:15], v[7:8]
	;; [unrolled: 1-line block ×4, first 2 shown]
	v_fma_f64 v[11:12], v[29:30], v[31:32], v[11:12]
	v_fma_f64 v[13:14], v[27:28], v[31:32], -v[13:14]
	v_mul_f64 v[27:28], s[14:15], v[15:16]
	v_mul_f64 v[29:30], s[14:15], v[17:18]
	v_fma_f64 v[19:20], s[12:13], v[7:8], -v[19:20]
	v_fma_f64 v[21:22], s[12:13], v[3:4], v[21:22]
	v_fma_f64 v[25:26], s[12:13], v[9:10], v[25:26]
	v_fma_f64 v[23:24], s[12:13], v[5:6], -v[23:24]
	v_mul_f64 v[31:32], s[14:15], v[11:12]
	v_mul_f64 v[33:34], s[14:15], v[13:14]
	v_fma_f64 v[27:28], s[12:13], v[17:18], -v[27:28]
	v_fma_f64 v[29:30], s[12:13], v[15:16], v[29:30]
	v_cndmask_b32_e32 v8, v20, v8, vcc
	v_cndmask_b32_e32 v7, v19, v7, vcc
	;; [unrolled: 1-line block ×4, first 2 shown]
	v_fma_f64 v[31:32], s[12:13], v[13:14], -v[31:32]
	v_fma_f64 v[33:34], s[12:13], v[11:12], v[33:34]
	v_cndmask_b32_e32 v20, v24, v6, vcc
	v_cndmask_b32_e32 v19, v23, v5, vcc
	v_cndmask_b32_e32 v10, v26, v10, vcc
	v_cndmask_b32_e32 v9, v25, v9, vcc
	s_waitcnt vmcnt(3)
	v_add_f64 v[5:6], v[37:38], v[3:4]
	v_add_f64 v[3:4], v[35:36], v[7:8]
	v_cndmask_b32_e32 v18, v28, v18, vcc
	v_cndmask_b32_e32 v17, v27, v17, vcc
	v_cndmask_b32_e32 v16, v30, v16, vcc
	v_cndmask_b32_e32 v15, v29, v15, vcc
	s_waitcnt vmcnt(2)
	v_add_f64 v[9:10], v[41:42], v[9:10]
	v_add_f64 v[7:8], v[39:40], v[19:20]
	;; [unrolled: 7-line block ×3, first 2 shown]
	s_waitcnt vmcnt(0)
	v_add_f64 v[17:18], v[49:50], v[23:24]
	v_add_f64 v[15:16], v[47:48], v[21:22]
	global_store_dwordx4 v[51:52], v[3:6], off
	global_store_dwordx4 v[51:52], v[7:10], off offset:16
	global_store_dwordx4 v[51:52], v[11:14], off offset:32
	;; [unrolled: 1-line block ×3, first 2 shown]
	s_andn2_b64 exec, exec, s[4:5]
	s_cbranch_execnz .LBB29_32
.LBB29_33:
	s_endpgm
	.section	.rodata,"a",@progbits
	.p2align	6, 0x0
	.amdhsa_kernel _ZN2at6native12_GLOBAL__N_125multi_tensor_apply_kernelINS1_18TensorListMetadataILi3EEENS1_24PointwiseOpScalarFunctorIN3c107complexIdEELi3ELi3ELi0EEEJSt10multipliesIS8_ES8_EEEvT_T0_DpT1_
		.amdhsa_group_segment_fixed_size 0
		.amdhsa_private_segment_fixed_size 0
		.amdhsa_kernarg_size 3424
		.amdhsa_user_sgpr_count 6
		.amdhsa_user_sgpr_private_segment_buffer 1
		.amdhsa_user_sgpr_dispatch_ptr 0
		.amdhsa_user_sgpr_queue_ptr 0
		.amdhsa_user_sgpr_kernarg_segment_ptr 1
		.amdhsa_user_sgpr_dispatch_id 0
		.amdhsa_user_sgpr_flat_scratch_init 0
		.amdhsa_user_sgpr_private_segment_size 0
		.amdhsa_uses_dynamic_stack 0
		.amdhsa_system_sgpr_private_segment_wavefront_offset 0
		.amdhsa_system_sgpr_workgroup_id_x 1
		.amdhsa_system_sgpr_workgroup_id_y 0
		.amdhsa_system_sgpr_workgroup_id_z 0
		.amdhsa_system_sgpr_workgroup_info 0
		.amdhsa_system_vgpr_workitem_id 0
		.amdhsa_next_free_vgpr 59
		.amdhsa_next_free_sgpr 37
		.amdhsa_reserve_vcc 1
		.amdhsa_reserve_flat_scratch 0
		.amdhsa_float_round_mode_32 0
		.amdhsa_float_round_mode_16_64 0
		.amdhsa_float_denorm_mode_32 3
		.amdhsa_float_denorm_mode_16_64 3
		.amdhsa_dx10_clamp 1
		.amdhsa_ieee_mode 1
		.amdhsa_fp16_overflow 0
		.amdhsa_exception_fp_ieee_invalid_op 0
		.amdhsa_exception_fp_denorm_src 0
		.amdhsa_exception_fp_ieee_div_zero 0
		.amdhsa_exception_fp_ieee_overflow 0
		.amdhsa_exception_fp_ieee_underflow 0
		.amdhsa_exception_fp_ieee_inexact 0
		.amdhsa_exception_int_div_zero 0
	.end_amdhsa_kernel
	.section	.text._ZN2at6native12_GLOBAL__N_125multi_tensor_apply_kernelINS1_18TensorListMetadataILi3EEENS1_24PointwiseOpScalarFunctorIN3c107complexIdEELi3ELi3ELi0EEEJSt10multipliesIS8_ES8_EEEvT_T0_DpT1_,"axG",@progbits,_ZN2at6native12_GLOBAL__N_125multi_tensor_apply_kernelINS1_18TensorListMetadataILi3EEENS1_24PointwiseOpScalarFunctorIN3c107complexIdEELi3ELi3ELi0EEEJSt10multipliesIS8_ES8_EEEvT_T0_DpT1_,comdat
.Lfunc_end29:
	.size	_ZN2at6native12_GLOBAL__N_125multi_tensor_apply_kernelINS1_18TensorListMetadataILi3EEENS1_24PointwiseOpScalarFunctorIN3c107complexIdEELi3ELi3ELi0EEEJSt10multipliesIS8_ES8_EEEvT_T0_DpT1_, .Lfunc_end29-_ZN2at6native12_GLOBAL__N_125multi_tensor_apply_kernelINS1_18TensorListMetadataILi3EEENS1_24PointwiseOpScalarFunctorIN3c107complexIdEELi3ELi3ELi0EEEJSt10multipliesIS8_ES8_EEEvT_T0_DpT1_
                                        ; -- End function
	.set _ZN2at6native12_GLOBAL__N_125multi_tensor_apply_kernelINS1_18TensorListMetadataILi3EEENS1_24PointwiseOpScalarFunctorIN3c107complexIdEELi3ELi3ELi0EEEJSt10multipliesIS8_ES8_EEEvT_T0_DpT1_.num_vgpr, 59
	.set _ZN2at6native12_GLOBAL__N_125multi_tensor_apply_kernelINS1_18TensorListMetadataILi3EEENS1_24PointwiseOpScalarFunctorIN3c107complexIdEELi3ELi3ELi0EEEJSt10multipliesIS8_ES8_EEEvT_T0_DpT1_.num_agpr, 0
	.set _ZN2at6native12_GLOBAL__N_125multi_tensor_apply_kernelINS1_18TensorListMetadataILi3EEENS1_24PointwiseOpScalarFunctorIN3c107complexIdEELi3ELi3ELi0EEEJSt10multipliesIS8_ES8_EEEvT_T0_DpT1_.numbered_sgpr, 37
	.set _ZN2at6native12_GLOBAL__N_125multi_tensor_apply_kernelINS1_18TensorListMetadataILi3EEENS1_24PointwiseOpScalarFunctorIN3c107complexIdEELi3ELi3ELi0EEEJSt10multipliesIS8_ES8_EEEvT_T0_DpT1_.num_named_barrier, 0
	.set _ZN2at6native12_GLOBAL__N_125multi_tensor_apply_kernelINS1_18TensorListMetadataILi3EEENS1_24PointwiseOpScalarFunctorIN3c107complexIdEELi3ELi3ELi0EEEJSt10multipliesIS8_ES8_EEEvT_T0_DpT1_.private_seg_size, 0
	.set _ZN2at6native12_GLOBAL__N_125multi_tensor_apply_kernelINS1_18TensorListMetadataILi3EEENS1_24PointwiseOpScalarFunctorIN3c107complexIdEELi3ELi3ELi0EEEJSt10multipliesIS8_ES8_EEEvT_T0_DpT1_.uses_vcc, 1
	.set _ZN2at6native12_GLOBAL__N_125multi_tensor_apply_kernelINS1_18TensorListMetadataILi3EEENS1_24PointwiseOpScalarFunctorIN3c107complexIdEELi3ELi3ELi0EEEJSt10multipliesIS8_ES8_EEEvT_T0_DpT1_.uses_flat_scratch, 0
	.set _ZN2at6native12_GLOBAL__N_125multi_tensor_apply_kernelINS1_18TensorListMetadataILi3EEENS1_24PointwiseOpScalarFunctorIN3c107complexIdEELi3ELi3ELi0EEEJSt10multipliesIS8_ES8_EEEvT_T0_DpT1_.has_dyn_sized_stack, 0
	.set _ZN2at6native12_GLOBAL__N_125multi_tensor_apply_kernelINS1_18TensorListMetadataILi3EEENS1_24PointwiseOpScalarFunctorIN3c107complexIdEELi3ELi3ELi0EEEJSt10multipliesIS8_ES8_EEEvT_T0_DpT1_.has_recursion, 0
	.set _ZN2at6native12_GLOBAL__N_125multi_tensor_apply_kernelINS1_18TensorListMetadataILi3EEENS1_24PointwiseOpScalarFunctorIN3c107complexIdEELi3ELi3ELi0EEEJSt10multipliesIS8_ES8_EEEvT_T0_DpT1_.has_indirect_call, 0
	.section	.AMDGPU.csdata,"",@progbits
; Kernel info:
; codeLenInByte = 2624
; TotalNumSgprs: 41
; NumVgprs: 59
; ScratchSize: 0
; MemoryBound: 1
; FloatMode: 240
; IeeeMode: 1
; LDSByteSize: 0 bytes/workgroup (compile time only)
; SGPRBlocks: 5
; VGPRBlocks: 14
; NumSGPRsForWavesPerEU: 41
; NumVGPRsForWavesPerEU: 59
; Occupancy: 4
; WaveLimiterHint : 0
; COMPUTE_PGM_RSRC2:SCRATCH_EN: 0
; COMPUTE_PGM_RSRC2:USER_SGPR: 6
; COMPUTE_PGM_RSRC2:TRAP_HANDLER: 0
; COMPUTE_PGM_RSRC2:TGID_X_EN: 1
; COMPUTE_PGM_RSRC2:TGID_Y_EN: 0
; COMPUTE_PGM_RSRC2:TGID_Z_EN: 0
; COMPUTE_PGM_RSRC2:TIDIG_COMP_CNT: 0
	.section	.text._ZN2at6native12_GLOBAL__N_125multi_tensor_apply_kernelINS1_18TensorListMetadataILi3EEENS1_24PointwiseOpScalarFunctorIN3c107complexIfEELi3ELi3ELi0EEEJSt10multipliesIS8_ES8_EEEvT_T0_DpT1_,"axG",@progbits,_ZN2at6native12_GLOBAL__N_125multi_tensor_apply_kernelINS1_18TensorListMetadataILi3EEENS1_24PointwiseOpScalarFunctorIN3c107complexIfEELi3ELi3ELi0EEEJSt10multipliesIS8_ES8_EEEvT_T0_DpT1_,comdat
	.globl	_ZN2at6native12_GLOBAL__N_125multi_tensor_apply_kernelINS1_18TensorListMetadataILi3EEENS1_24PointwiseOpScalarFunctorIN3c107complexIfEELi3ELi3ELi0EEEJSt10multipliesIS8_ES8_EEEvT_T0_DpT1_ ; -- Begin function _ZN2at6native12_GLOBAL__N_125multi_tensor_apply_kernelINS1_18TensorListMetadataILi3EEENS1_24PointwiseOpScalarFunctorIN3c107complexIfEELi3ELi3ELi0EEEJSt10multipliesIS8_ES8_EEEvT_T0_DpT1_
	.p2align	8
	.type	_ZN2at6native12_GLOBAL__N_125multi_tensor_apply_kernelINS1_18TensorListMetadataILi3EEENS1_24PointwiseOpScalarFunctorIN3c107complexIfEELi3ELi3ELi0EEEJSt10multipliesIS8_ES8_EEEvT_T0_DpT1_,@function
_ZN2at6native12_GLOBAL__N_125multi_tensor_apply_kernelINS1_18TensorListMetadataILi3EEENS1_24PointwiseOpScalarFunctorIN3c107complexIfEELi3ELi3ELi0EEEJSt10multipliesIS8_ES8_EEEvT_T0_DpT1_: ; @_ZN2at6native12_GLOBAL__N_125multi_tensor_apply_kernelINS1_18TensorListMetadataILi3EEENS1_24PointwiseOpScalarFunctorIN3c107complexIfEELi3ELi3ELi0EEEJSt10multipliesIS8_ES8_EEEvT_T0_DpT1_
; %bb.0:
	v_mov_b32_e32 v1, s6
	global_load_ubyte v1, v1, s[4:5] offset:1536
	s_add_u32 s0, s4, s6
	s_mul_hi_u32 s1, s6, 3
	s_mul_i32 s6, s6, 3
	s_addc_u32 s2, s5, 0
	s_add_u32 s0, s0, s6
	s_addc_u32 s1, s2, s1
	s_load_dword s10, s[0:1], 0x740
	s_load_dwordx2 s[12:13], s[4:5], 0xc50
	s_mov_b32 s1, 0
	s_mov_b32 s19, s1
	s_waitcnt lgkmcnt(0)
	s_ashr_i32 s11, s10, 31
	s_lshl_b64 s[16:17], s[10:11], 19
	s_waitcnt vmcnt(0)
	v_readfirstlane_b32 s0, v1
	s_lshl_b32 s0, s0, 3
	s_load_dwordx2 s[8:9], s[4:5], s0 offset:0x0
	s_load_dwordx2 s[6:7], s[4:5], s0 offset:0x180
	;; [unrolled: 1-line block ×4, first 2 shown]
	s_waitcnt lgkmcnt(0)
	s_add_u32 s26, s8, s16
	s_addc_u32 s27, s9, s17
	s_add_u32 s28, s6, s16
	s_addc_u32 s29, s7, s17
	;; [unrolled: 2-line block ×3, first 2 shown]
	s_or_b32 s14, s30, s28
	s_and_b32 s0, s26, 31
	s_and_b32 s14, s14, 31
	s_cmp_eq_u32 s14, 0
	s_cselect_b64 s[22:23], -1, 0
	s_lshl_b64 s[10:11], s[10:11], 16
	s_sub_u32 s14, s20, s10
	s_subb_u32 s15, s21, s11
	s_and_b32 s18, s20, 3
	s_or_b64 s[0:1], s[0:1], s[18:19]
	s_cmp_eq_u64 s[0:1], 0
	s_cselect_b64 s[0:1], -1, 0
	s_and_b64 s[10:11], s[22:23], s[0:1]
	s_mov_b64 s[0:1], -1
	s_and_b64 vcc, exec, s[10:11]
	s_cbranch_vccnz .LBB30_29
; %bb.1:
	v_cmp_lt_i64_e64 s[0:1], s[14:15], 1
	s_and_b64 vcc, exec, s[0:1]
	s_cbranch_vccnz .LBB30_28
; %bb.2:
	v_mov_b32_e32 v1, 0x10000
	s_load_dword s10, s[4:5], 0xc64
	v_mov_b32_e32 v2, 0
	v_cmp_lt_i64_e32 vcc, s[14:15], v[1:2]
	v_mov_b32_e32 v3, 0
	s_and_b64 s[0:1], vcc, exec
	s_cselect_b32 s19, s15, 0
	s_cselect_b32 s18, s14, 0x10000
	v_cmp_lt_u64_e32 vcc, s[14:15], v[1:2]
	s_waitcnt lgkmcnt(0)
	s_and_b32 s22, s10, 0xffff
	v_lshlrev_b32_e32 v2, 3, v0
	v_mad_u64_u32 v[3:4], s[10:11], s22, 24, v[2:3]
	s_and_b64 s[0:1], vcc, exec
	v_mov_b32_e32 v7, s9
	v_add_co_u32_e32 v25, vcc, s8, v3
	v_addc_co_u32_e32 v26, vcc, v7, v4, vcc
	v_mov_b32_e32 v7, s7
	v_add_co_u32_e32 v27, vcc, s6, v3
	s_cselect_b32 s21, s15, 0
	s_cselect_b32 s20, s14, 0x10000
	s_lshl_b32 s24, s22, 1
	s_and_b32 s0, s13, 0x7fffffff
	v_addc_co_u32_e32 v28, vcc, v7, v4, vcc
	s_cmp_eq_u32 s0, 0
	v_mov_b32_e32 v7, s3
	v_add_co_u32_e32 v29, vcc, s2, v3
	s_cselect_b64 s[0:1], -1, 0
	v_addc_co_u32_e32 v30, vcc, v7, v4, vcc
	s_lshl_b32 s10, s22, 4
	v_add_co_u32_e32 v3, vcc, s10, v2
	v_addc_co_u32_e64 v4, s[10:11], 0, 0, vcc
	v_mov_b32_e32 v7, s9
	v_add_co_u32_e32 v31, vcc, s8, v3
	v_addc_co_u32_e32 v32, vcc, v7, v4, vcc
	v_mov_b32_e32 v7, s7
	v_add_co_u32_e32 v33, vcc, s6, v3
	v_addc_co_u32_e32 v34, vcc, v7, v4, vcc
	;; [unrolled: 3-line block ×6, first 2 shown]
	v_add_co_u32_e32 v43, vcc, s22, v0
	v_cmp_eq_f32_e64 s[10:11], s12, 1.0
	v_lshlrev_b32_e32 v1, 3, v43
	s_and_b64 s[0:1], s[10:11], s[0:1]
	v_addc_co_u32_e64 v44, s[10:11], 0, 0, vcc
	v_mov_b32_e32 v2, s9
	v_add_co_u32_e32 v45, vcc, s8, v1
	v_addc_co_u32_e32 v46, vcc, 0, v2, vcc
	v_mov_b32_e32 v2, s7
	v_add_co_u32_e32 v47, vcc, s6, v1
	v_addc_co_u32_e32 v48, vcc, 0, v2, vcc
	v_mov_b32_e32 v2, s3
	v_add_co_u32_e32 v49, vcc, s2, v1
	s_mul_i32 s25, s22, 3
	v_addc_co_u32_e32 v50, vcc, 0, v2, vcc
	v_add_co_u32_e32 v51, vcc, s25, v0
	v_addc_co_u32_e64 v52, s[2:3], 0, 0, vcc
	v_add_co_u32_e32 v53, vcc, s24, v0
	s_lshl_b32 s33, s22, 2
	s_lshl_b32 s34, s22, 5
	s_mov_b64 s[22:23], 0
	v_addc_co_u32_e64 v54, s[2:3], 0, 0, vcc
	s_branch .LBB30_4
.LBB30_3:                               ;   in Loop: Header=BB30_4 Depth=1
	s_or_b64 exec, exec, s[2:3]
	v_add_co_u32_e32 v37, vcc, s34, v37
	v_addc_co_u32_e32 v38, vcc, 0, v38, vcc
	v_add_co_u32_e32 v39, vcc, s34, v39
	v_addc_co_u32_e32 v40, vcc, 0, v40, vcc
	;; [unrolled: 2-line block ×10, first 2 shown]
	s_add_u32 s22, s22, s33
	v_add_co_u32_e32 v47, vcc, s34, v47
	s_waitcnt vmcnt(1)
	v_mov_b32_e32 v1, s18
	s_addc_u32 s23, s23, 0
	v_addc_co_u32_e32 v48, vcc, 0, v48, vcc
	v_mov_b32_e32 v2, s19
	v_cmp_lt_i64_e32 vcc, s[22:23], v[1:2]
	v_add_co_u32_e64 v49, s[2:3], s34, v49
	v_addc_co_u32_e64 v50, s[2:3], 0, v50, s[2:3]
	s_cbranch_vccz .LBB30_28
.LBB30_4:                               ; =>This Inner Loop Header: Depth=1
	v_mov_b32_e32 v2, s23
	v_add_co_u32_e32 v1, vcc, s22, v0
	v_addc_co_u32_e32 v2, vcc, 0, v2, vcc
	v_cmp_gt_u64_e32 vcc, s[20:21], v[1:2]
	s_waitcnt vmcnt(0)
	v_mov_b32_e32 v4, 0
	v_mov_b32_e32 v3, 0
	v_mov_b32_e32 v2, 0
	v_mov_b32_e32 v1, 0
	s_and_saveexec_b64 s[6:7], vcc
	s_cbranch_execz .LBB30_6
; %bb.5:                                ;   in Loop: Header=BB30_4 Depth=1
	v_mov_b32_e32 v4, s17
	v_add_co_u32_e64 v1, s[2:3], s16, v37
	v_addc_co_u32_e64 v2, s[2:3], v38, v4, s[2:3]
	v_add_co_u32_e64 v3, s[2:3], s16, v39
	v_addc_co_u32_e64 v4, s[2:3], v40, v4, s[2:3]
	global_load_dwordx2 v[1:2], v[1:2], off
	s_nop 0
	global_load_dwordx2 v[3:4], v[3:4], off
.LBB30_6:                               ;   in Loop: Header=BB30_4 Depth=1
	s_or_b64 exec, exec, s[6:7]
	v_mov_b32_e32 v6, 0
	v_mov_b32_e32 v10, 0
	;; [unrolled: 1-line block ×3, first 2 shown]
	s_and_saveexec_b64 s[6:7], vcc
	s_cbranch_execz .LBB30_8
; %bb.7:                                ;   in Loop: Header=BB30_4 Depth=1
	v_mov_b32_e32 v5, s17
	v_add_co_u32_e64 v7, s[2:3], s16, v41
	v_addc_co_u32_e64 v8, s[2:3], v42, v5, s[2:3]
	global_load_dwordx2 v[9:10], v[7:8], off
.LBB30_8:                               ;   in Loop: Header=BB30_4 Depth=1
	s_or_b64 exec, exec, s[6:7]
	v_mov_b32_e32 v5, s23
	v_add_co_u32_e64 v7, s[2:3], s22, v43
	v_addc_co_u32_e64 v8, s[2:3], v44, v5, s[2:3]
	v_cmp_gt_u64_e64 s[2:3], s[20:21], v[7:8]
	v_mov_b32_e32 v5, 0
	v_mov_b32_e32 v8, 0
	;; [unrolled: 1-line block ×3, first 2 shown]
	s_and_saveexec_b64 s[8:9], s[2:3]
	s_cbranch_execz .LBB30_10
; %bb.9:                                ;   in Loop: Header=BB30_4 Depth=1
	v_mov_b32_e32 v11, s17
	v_add_co_u32_e64 v5, s[6:7], s16, v45
	v_addc_co_u32_e64 v6, s[6:7], v46, v11, s[6:7]
	global_load_dwordx2 v[7:8], v[5:6], off
	v_add_co_u32_e64 v5, s[6:7], s16, v47
	v_addc_co_u32_e64 v6, s[6:7], v48, v11, s[6:7]
	global_load_dwordx2 v[5:6], v[5:6], off
.LBB30_10:                              ;   in Loop: Header=BB30_4 Depth=1
	s_or_b64 exec, exec, s[8:9]
	v_mov_b32_e32 v12, 0
	v_mov_b32_e32 v16, 0
	;; [unrolled: 1-line block ×3, first 2 shown]
	s_and_saveexec_b64 s[8:9], s[2:3]
	s_cbranch_execz .LBB30_12
; %bb.11:                               ;   in Loop: Header=BB30_4 Depth=1
	v_mov_b32_e32 v11, s17
	v_add_co_u32_e64 v13, s[6:7], s16, v49
	v_addc_co_u32_e64 v14, s[6:7], v50, v11, s[6:7]
	global_load_dwordx2 v[15:16], v[13:14], off
.LBB30_12:                              ;   in Loop: Header=BB30_4 Depth=1
	s_or_b64 exec, exec, s[8:9]
	v_mov_b32_e32 v11, s23
	v_add_co_u32_e64 v13, s[6:7], s22, v53
	v_addc_co_u32_e64 v14, s[6:7], v54, v11, s[6:7]
	v_cmp_gt_u64_e64 s[6:7], s[20:21], v[13:14]
	v_mov_b32_e32 v11, 0
	v_mov_b32_e32 v14, 0
	;; [unrolled: 1-line block ×3, first 2 shown]
	s_and_saveexec_b64 s[10:11], s[6:7]
	s_cbranch_execz .LBB30_14
; %bb.13:                               ;   in Loop: Header=BB30_4 Depth=1
	v_mov_b32_e32 v17, s17
	v_add_co_u32_e64 v11, s[8:9], s16, v31
	v_addc_co_u32_e64 v12, s[8:9], v32, v17, s[8:9]
	global_load_dwordx2 v[13:14], v[11:12], off
	v_add_co_u32_e64 v11, s[8:9], s16, v33
	v_addc_co_u32_e64 v12, s[8:9], v34, v17, s[8:9]
	global_load_dwordx2 v[11:12], v[11:12], off
.LBB30_14:                              ;   in Loop: Header=BB30_4 Depth=1
	s_or_b64 exec, exec, s[10:11]
	v_mov_b32_e32 v18, 0
	v_mov_b32_e32 v22, 0
	;; [unrolled: 1-line block ×3, first 2 shown]
	s_and_saveexec_b64 s[10:11], s[6:7]
	s_cbranch_execz .LBB30_16
; %bb.15:                               ;   in Loop: Header=BB30_4 Depth=1
	v_mov_b32_e32 v17, s17
	v_add_co_u32_e64 v19, s[8:9], s16, v35
	v_addc_co_u32_e64 v20, s[8:9], v36, v17, s[8:9]
	global_load_dwordx2 v[21:22], v[19:20], off
.LBB30_16:                              ;   in Loop: Header=BB30_4 Depth=1
	s_or_b64 exec, exec, s[10:11]
	v_mov_b32_e32 v17, s23
	v_add_co_u32_e64 v19, s[8:9], s22, v51
	v_addc_co_u32_e64 v20, s[8:9], v52, v17, s[8:9]
	v_cmp_gt_u64_e64 s[8:9], s[20:21], v[19:20]
	v_mov_b32_e32 v17, 0
	v_mov_b32_e32 v20, 0
	v_mov_b32_e32 v19, 0
	s_and_saveexec_b64 s[24:25], s[8:9]
	s_cbranch_execz .LBB30_18
; %bb.17:                               ;   in Loop: Header=BB30_4 Depth=1
	v_mov_b32_e32 v23, s17
	v_add_co_u32_e64 v17, s[10:11], s16, v25
	v_addc_co_u32_e64 v18, s[10:11], v26, v23, s[10:11]
	global_load_dwordx2 v[19:20], v[17:18], off
	v_add_co_u32_e64 v17, s[10:11], s16, v27
	v_addc_co_u32_e64 v18, s[10:11], v28, v23, s[10:11]
	global_load_dwordx2 v[17:18], v[17:18], off
.LBB30_18:                              ;   in Loop: Header=BB30_4 Depth=1
	s_or_b64 exec, exec, s[24:25]
	v_mov_b32_e32 v24, 0
	v_mov_b32_e32 v23, 0
	s_and_saveexec_b64 s[24:25], s[8:9]
	s_cbranch_execnz .LBB30_23
; %bb.19:                               ;   in Loop: Header=BB30_4 Depth=1
	s_or_b64 exec, exec, s[24:25]
	s_and_saveexec_b64 s[10:11], vcc
	s_cbranch_execnz .LBB30_24
.LBB30_20:                              ;   in Loop: Header=BB30_4 Depth=1
	s_or_b64 exec, exec, s[10:11]
	s_and_saveexec_b64 s[10:11], s[2:3]
	s_cbranch_execnz .LBB30_25
.LBB30_21:                              ;   in Loop: Header=BB30_4 Depth=1
	s_or_b64 exec, exec, s[10:11]
	s_and_saveexec_b64 s[2:3], s[6:7]
	s_cbranch_execnz .LBB30_26
.LBB30_22:                              ;   in Loop: Header=BB30_4 Depth=1
	s_or_b64 exec, exec, s[2:3]
	s_and_saveexec_b64 s[2:3], s[8:9]
	s_cbranch_execz .LBB30_3
	s_branch .LBB30_27
.LBB30_23:                              ;   in Loop: Header=BB30_4 Depth=1
	v_mov_b32_e32 v24, s17
	v_add_co_u32_e64 v23, s[10:11], s16, v29
	v_addc_co_u32_e64 v24, s[10:11], v30, v24, s[10:11]
	global_load_dwordx2 v[23:24], v[23:24], off
	s_or_b64 exec, exec, s[24:25]
	s_and_saveexec_b64 s[10:11], vcc
	s_cbranch_execz .LBB30_20
.LBB30_24:                              ;   in Loop: Header=BB30_4 Depth=1
	s_waitcnt vmcnt(0)
	v_mul_f32_e32 v55, v4, v9
	v_mul_f32_e32 v4, v4, v10
	v_fmac_f32_e32 v55, v3, v10
	v_fma_f32 v3, v3, v9, -v4
	v_mul_f32_e32 v4, s13, v3
	v_fmac_f32_e32 v4, s12, v55
	v_cndmask_b32_e64 v4, v4, v55, s[0:1]
	v_add_f32_e32 v2, v2, v4
	v_mul_f32_e32 v4, s13, v55
	v_fma_f32 v4, v3, s12, -v4
	v_cndmask_b32_e64 v3, v4, v3, s[0:1]
	v_add_f32_e32 v1, v1, v3
	v_mov_b32_e32 v4, s17
	v_add_co_u32_e32 v3, vcc, s16, v37
	v_addc_co_u32_e32 v4, vcc, v38, v4, vcc
	global_store_dwordx2 v[3:4], v[1:2], off
	s_or_b64 exec, exec, s[10:11]
	s_and_saveexec_b64 s[10:11], s[2:3]
	s_cbranch_execz .LBB30_21
.LBB30_25:                              ;   in Loop: Header=BB30_4 Depth=1
	s_waitcnt vmcnt(0)
	v_mul_f32_e32 v1, v6, v16
	v_mul_f32_e32 v2, v6, v15
	v_fma_f32 v1, v5, v15, -v1
	v_fmac_f32_e32 v2, v5, v16
	v_mul_f32_e32 v3, s13, v2
	v_mul_f32_e32 v4, s13, v1
	v_fma_f32 v3, v1, s12, -v3
	v_fmac_f32_e32 v4, s12, v2
	v_cndmask_b32_e64 v1, v3, v1, s[0:1]
	v_cndmask_b32_e64 v2, v4, v2, s[0:1]
	v_mov_b32_e32 v4, s17
	v_add_co_u32_e32 v3, vcc, s16, v45
	v_add_f32_e32 v1, v7, v1
	v_add_f32_e32 v2, v8, v2
	v_addc_co_u32_e32 v4, vcc, v46, v4, vcc
	global_store_dwordx2 v[3:4], v[1:2], off
	s_or_b64 exec, exec, s[10:11]
	s_and_saveexec_b64 s[2:3], s[6:7]
	s_cbranch_execz .LBB30_22
.LBB30_26:                              ;   in Loop: Header=BB30_4 Depth=1
	s_waitcnt vmcnt(0)
	v_mul_f32_e32 v1, v12, v22
	v_mul_f32_e32 v2, v12, v21
	v_fma_f32 v1, v11, v21, -v1
	v_fmac_f32_e32 v2, v11, v22
	v_mul_f32_e32 v3, s13, v2
	v_mul_f32_e32 v4, s13, v1
	v_fma_f32 v3, v1, s12, -v3
	v_fmac_f32_e32 v4, s12, v2
	v_cndmask_b32_e64 v1, v3, v1, s[0:1]
	v_cndmask_b32_e64 v2, v4, v2, s[0:1]
	v_mov_b32_e32 v4, s17
	v_add_co_u32_e32 v3, vcc, s16, v31
	v_add_f32_e32 v1, v13, v1
	v_add_f32_e32 v2, v14, v2
	v_addc_co_u32_e32 v4, vcc, v32, v4, vcc
	global_store_dwordx2 v[3:4], v[1:2], off
	s_or_b64 exec, exec, s[2:3]
	s_and_saveexec_b64 s[2:3], s[8:9]
	s_cbranch_execz .LBB30_3
.LBB30_27:                              ;   in Loop: Header=BB30_4 Depth=1
	s_waitcnt vmcnt(0)
	v_mul_f32_e32 v1, v18, v24
	v_mul_f32_e32 v2, v18, v23
	v_fma_f32 v1, v17, v23, -v1
	v_fmac_f32_e32 v2, v17, v24
	v_mul_f32_e32 v3, s13, v2
	v_mul_f32_e32 v4, s13, v1
	v_fma_f32 v3, v1, s12, -v3
	v_fmac_f32_e32 v4, s12, v2
	v_cndmask_b32_e64 v1, v3, v1, s[0:1]
	v_cndmask_b32_e64 v2, v4, v2, s[0:1]
	v_mov_b32_e32 v4, s17
	v_add_co_u32_e32 v3, vcc, s16, v25
	v_add_f32_e32 v1, v19, v1
	v_add_f32_e32 v2, v20, v2
	v_addc_co_u32_e32 v4, vcc, v26, v4, vcc
	global_store_dwordx2 v[3:4], v[1:2], off
	s_branch .LBB30_3
.LBB30_28:
	s_mov_b64 s[0:1], 0
.LBB30_29:
	s_andn2_b64 vcc, exec, s[0:1]
	s_cbranch_vccnz .LBB30_33
; %bb.30:
	v_mov_b32_e32 v1, 0x10000
	v_mov_b32_e32 v2, 0
	v_cmp_lt_i64_e32 vcc, s[14:15], v[1:2]
	v_mov_b32_e32 v2, 0
	s_and_b64 s[0:1], vcc, exec
	s_cselect_b32 s7, s15, 0
	s_cselect_b32 s6, s14, 0x10000
	v_lshlrev_b32_e32 v1, 2, v0
	v_cmp_gt_i64_e32 vcc, s[6:7], v[1:2]
	s_and_saveexec_b64 s[0:1], vcc
	s_cbranch_execz .LBB30_33
; %bb.31:
	s_load_dword s4, s[4:5], 0xc64
	s_and_b32 s2, s13, 0x7fffffff
	s_cmp_eq_u32 s2, 0
	v_cmp_eq_f32_e64 s[0:1], s12, 1.0
	s_cselect_b64 s[2:3], -1, 0
	s_waitcnt lgkmcnt(0)
	s_and_b32 s10, s4, 0xffff
	v_mov_b32_e32 v1, v2
	s_and_b64 vcc, s[0:1], s[2:3]
	v_lshlrev_b32_e32 v2, 5, v0
	s_lshl_b32 s11, s10, 5
	s_mov_b64 s[8:9], 0
.LBB30_32:                              ; =>This Inner Loop Header: Depth=1
	s_waitcnt vmcnt(0)
	v_mov_b32_e32 v4, s29
	v_add_co_u32_e64 v27, s[0:1], s28, v2
	v_mov_b32_e32 v5, s31
	v_add_co_u32_e64 v29, s[2:3], s30, v2
	;; [unrolled: 2-line block ×3, first 2 shown]
	v_addc_co_u32_e64 v28, s[0:1], 0, v4, s[0:1]
	v_addc_co_u32_e64 v30, s[0:1], 0, v5, s[2:3]
	;; [unrolled: 1-line block ×3, first 2 shown]
	global_load_dwordx4 v[3:6], v[29:30], off
	global_load_dwordx4 v[7:10], v[27:28], off
	global_load_dwordx4 v[11:14], v[27:28], off offset:16
	global_load_dwordx4 v[15:18], v[29:30], off offset:16
	global_load_dwordx4 v[19:22], v[31:32], off
	global_load_dwordx4 v[23:26], v[31:32], off offset:16
	v_add_co_u32_e64 v0, s[0:1], s10, v0
	v_addc_co_u32_e64 v1, s[0:1], 0, v1, s[0:1]
	v_lshlrev_b64 v[27:28], 2, v[0:1]
	s_add_u32 s30, s30, s11
	s_addc_u32 s31, s31, 0
	v_cmp_le_i64_e64 s[0:1], s[6:7], v[27:28]
	s_add_u32 s26, s26, s11
	s_addc_u32 s27, s27, 0
	s_add_u32 s28, s28, s11
	s_addc_u32 s29, s29, 0
	s_or_b64 s[8:9], s[0:1], s[8:9]
	s_waitcnt vmcnt(4)
	v_mul_f32_e32 v27, v8, v4
	v_mul_f32_e32 v4, v7, v4
	;; [unrolled: 1-line block ×4, first 2 shown]
	s_waitcnt vmcnt(2)
	v_mul_f32_e32 v29, v12, v16
	v_mul_f32_e32 v16, v11, v16
	;; [unrolled: 1-line block ×4, first 2 shown]
	v_fma_f32 v7, v7, v3, -v27
	v_fmac_f32_e32 v4, v8, v3
	v_fma_f32 v3, v9, v5, -v28
	v_fmac_f32_e32 v6, v10, v5
	;; [unrolled: 2-line block ×4, first 2 shown]
	v_mul_f32_e32 v9, s13, v4
	v_mul_f32_e32 v10, s13, v7
	;; [unrolled: 1-line block ×8, first 2 shown]
	v_fma_f32 v9, v7, s12, -v9
	v_fmac_f32_e32 v10, s12, v4
	v_fma_f32 v11, v3, s12, -v11
	v_fmac_f32_e32 v12, s12, v6
	;; [unrolled: 2-line block ×4, first 2 shown]
	v_cndmask_b32_e32 v7, v9, v7, vcc
	v_cndmask_b32_e32 v4, v10, v4, vcc
	;; [unrolled: 1-line block ×8, first 2 shown]
	s_waitcnt vmcnt(1)
	v_add_f32_e32 v3, v19, v7
	v_add_f32_e32 v4, v20, v4
	;; [unrolled: 1-line block ×4, first 2 shown]
	s_waitcnt vmcnt(0)
	v_add_f32_e32 v7, v23, v10
	v_add_f32_e32 v8, v24, v11
	;; [unrolled: 1-line block ×4, first 2 shown]
	global_store_dwordx4 v[31:32], v[3:6], off
	global_store_dwordx4 v[31:32], v[7:10], off offset:16
	s_andn2_b64 exec, exec, s[8:9]
	s_cbranch_execnz .LBB30_32
.LBB30_33:
	s_endpgm
	.section	.rodata,"a",@progbits
	.p2align	6, 0x0
	.amdhsa_kernel _ZN2at6native12_GLOBAL__N_125multi_tensor_apply_kernelINS1_18TensorListMetadataILi3EEENS1_24PointwiseOpScalarFunctorIN3c107complexIfEELi3ELi3ELi0EEEJSt10multipliesIS8_ES8_EEEvT_T0_DpT1_
		.amdhsa_group_segment_fixed_size 0
		.amdhsa_private_segment_fixed_size 0
		.amdhsa_kernarg_size 3416
		.amdhsa_user_sgpr_count 6
		.amdhsa_user_sgpr_private_segment_buffer 1
		.amdhsa_user_sgpr_dispatch_ptr 0
		.amdhsa_user_sgpr_queue_ptr 0
		.amdhsa_user_sgpr_kernarg_segment_ptr 1
		.amdhsa_user_sgpr_dispatch_id 0
		.amdhsa_user_sgpr_flat_scratch_init 0
		.amdhsa_user_sgpr_private_segment_size 0
		.amdhsa_uses_dynamic_stack 0
		.amdhsa_system_sgpr_private_segment_wavefront_offset 0
		.amdhsa_system_sgpr_workgroup_id_x 1
		.amdhsa_system_sgpr_workgroup_id_y 0
		.amdhsa_system_sgpr_workgroup_id_z 0
		.amdhsa_system_sgpr_workgroup_info 0
		.amdhsa_system_vgpr_workitem_id 0
		.amdhsa_next_free_vgpr 56
		.amdhsa_next_free_sgpr 35
		.amdhsa_reserve_vcc 1
		.amdhsa_reserve_flat_scratch 0
		.amdhsa_float_round_mode_32 0
		.amdhsa_float_round_mode_16_64 0
		.amdhsa_float_denorm_mode_32 3
		.amdhsa_float_denorm_mode_16_64 3
		.amdhsa_dx10_clamp 1
		.amdhsa_ieee_mode 1
		.amdhsa_fp16_overflow 0
		.amdhsa_exception_fp_ieee_invalid_op 0
		.amdhsa_exception_fp_denorm_src 0
		.amdhsa_exception_fp_ieee_div_zero 0
		.amdhsa_exception_fp_ieee_overflow 0
		.amdhsa_exception_fp_ieee_underflow 0
		.amdhsa_exception_fp_ieee_inexact 0
		.amdhsa_exception_int_div_zero 0
	.end_amdhsa_kernel
	.section	.text._ZN2at6native12_GLOBAL__N_125multi_tensor_apply_kernelINS1_18TensorListMetadataILi3EEENS1_24PointwiseOpScalarFunctorIN3c107complexIfEELi3ELi3ELi0EEEJSt10multipliesIS8_ES8_EEEvT_T0_DpT1_,"axG",@progbits,_ZN2at6native12_GLOBAL__N_125multi_tensor_apply_kernelINS1_18TensorListMetadataILi3EEENS1_24PointwiseOpScalarFunctorIN3c107complexIfEELi3ELi3ELi0EEEJSt10multipliesIS8_ES8_EEEvT_T0_DpT1_,comdat
.Lfunc_end30:
	.size	_ZN2at6native12_GLOBAL__N_125multi_tensor_apply_kernelINS1_18TensorListMetadataILi3EEENS1_24PointwiseOpScalarFunctorIN3c107complexIfEELi3ELi3ELi0EEEJSt10multipliesIS8_ES8_EEEvT_T0_DpT1_, .Lfunc_end30-_ZN2at6native12_GLOBAL__N_125multi_tensor_apply_kernelINS1_18TensorListMetadataILi3EEENS1_24PointwiseOpScalarFunctorIN3c107complexIfEELi3ELi3ELi0EEEJSt10multipliesIS8_ES8_EEEvT_T0_DpT1_
                                        ; -- End function
	.set _ZN2at6native12_GLOBAL__N_125multi_tensor_apply_kernelINS1_18TensorListMetadataILi3EEENS1_24PointwiseOpScalarFunctorIN3c107complexIfEELi3ELi3ELi0EEEJSt10multipliesIS8_ES8_EEEvT_T0_DpT1_.num_vgpr, 56
	.set _ZN2at6native12_GLOBAL__N_125multi_tensor_apply_kernelINS1_18TensorListMetadataILi3EEENS1_24PointwiseOpScalarFunctorIN3c107complexIfEELi3ELi3ELi0EEEJSt10multipliesIS8_ES8_EEEvT_T0_DpT1_.num_agpr, 0
	.set _ZN2at6native12_GLOBAL__N_125multi_tensor_apply_kernelINS1_18TensorListMetadataILi3EEENS1_24PointwiseOpScalarFunctorIN3c107complexIfEELi3ELi3ELi0EEEJSt10multipliesIS8_ES8_EEEvT_T0_DpT1_.numbered_sgpr, 35
	.set _ZN2at6native12_GLOBAL__N_125multi_tensor_apply_kernelINS1_18TensorListMetadataILi3EEENS1_24PointwiseOpScalarFunctorIN3c107complexIfEELi3ELi3ELi0EEEJSt10multipliesIS8_ES8_EEEvT_T0_DpT1_.num_named_barrier, 0
	.set _ZN2at6native12_GLOBAL__N_125multi_tensor_apply_kernelINS1_18TensorListMetadataILi3EEENS1_24PointwiseOpScalarFunctorIN3c107complexIfEELi3ELi3ELi0EEEJSt10multipliesIS8_ES8_EEEvT_T0_DpT1_.private_seg_size, 0
	.set _ZN2at6native12_GLOBAL__N_125multi_tensor_apply_kernelINS1_18TensorListMetadataILi3EEENS1_24PointwiseOpScalarFunctorIN3c107complexIfEELi3ELi3ELi0EEEJSt10multipliesIS8_ES8_EEEvT_T0_DpT1_.uses_vcc, 1
	.set _ZN2at6native12_GLOBAL__N_125multi_tensor_apply_kernelINS1_18TensorListMetadataILi3EEENS1_24PointwiseOpScalarFunctorIN3c107complexIfEELi3ELi3ELi0EEEJSt10multipliesIS8_ES8_EEEvT_T0_DpT1_.uses_flat_scratch, 0
	.set _ZN2at6native12_GLOBAL__N_125multi_tensor_apply_kernelINS1_18TensorListMetadataILi3EEENS1_24PointwiseOpScalarFunctorIN3c107complexIfEELi3ELi3ELi0EEEJSt10multipliesIS8_ES8_EEEvT_T0_DpT1_.has_dyn_sized_stack, 0
	.set _ZN2at6native12_GLOBAL__N_125multi_tensor_apply_kernelINS1_18TensorListMetadataILi3EEENS1_24PointwiseOpScalarFunctorIN3c107complexIfEELi3ELi3ELi0EEEJSt10multipliesIS8_ES8_EEEvT_T0_DpT1_.has_recursion, 0
	.set _ZN2at6native12_GLOBAL__N_125multi_tensor_apply_kernelINS1_18TensorListMetadataILi3EEENS1_24PointwiseOpScalarFunctorIN3c107complexIfEELi3ELi3ELi0EEEJSt10multipliesIS8_ES8_EEEvT_T0_DpT1_.has_indirect_call, 0
	.section	.AMDGPU.csdata,"",@progbits
; Kernel info:
; codeLenInByte = 2340
; TotalNumSgprs: 39
; NumVgprs: 56
; ScratchSize: 0
; MemoryBound: 0
; FloatMode: 240
; IeeeMode: 1
; LDSByteSize: 0 bytes/workgroup (compile time only)
; SGPRBlocks: 4
; VGPRBlocks: 13
; NumSGPRsForWavesPerEU: 39
; NumVGPRsForWavesPerEU: 56
; Occupancy: 4
; WaveLimiterHint : 0
; COMPUTE_PGM_RSRC2:SCRATCH_EN: 0
; COMPUTE_PGM_RSRC2:USER_SGPR: 6
; COMPUTE_PGM_RSRC2:TRAP_HANDLER: 0
; COMPUTE_PGM_RSRC2:TGID_X_EN: 1
; COMPUTE_PGM_RSRC2:TGID_Y_EN: 0
; COMPUTE_PGM_RSRC2:TGID_Z_EN: 0
; COMPUTE_PGM_RSRC2:TIDIG_COMP_CNT: 0
	.section	.text._ZN2at6native12_GLOBAL__N_125multi_tensor_apply_kernelINS1_18TensorListMetadataILi3EEENS1_24PointwiseOpScalarFunctorIN3c104HalfELi3ELi3ELi0EEEJSt10multipliesIfEfEEEvT_T0_DpT1_,"axG",@progbits,_ZN2at6native12_GLOBAL__N_125multi_tensor_apply_kernelINS1_18TensorListMetadataILi3EEENS1_24PointwiseOpScalarFunctorIN3c104HalfELi3ELi3ELi0EEEJSt10multipliesIfEfEEEvT_T0_DpT1_,comdat
	.globl	_ZN2at6native12_GLOBAL__N_125multi_tensor_apply_kernelINS1_18TensorListMetadataILi3EEENS1_24PointwiseOpScalarFunctorIN3c104HalfELi3ELi3ELi0EEEJSt10multipliesIfEfEEEvT_T0_DpT1_ ; -- Begin function _ZN2at6native12_GLOBAL__N_125multi_tensor_apply_kernelINS1_18TensorListMetadataILi3EEENS1_24PointwiseOpScalarFunctorIN3c104HalfELi3ELi3ELi0EEEJSt10multipliesIfEfEEEvT_T0_DpT1_
	.p2align	8
	.type	_ZN2at6native12_GLOBAL__N_125multi_tensor_apply_kernelINS1_18TensorListMetadataILi3EEENS1_24PointwiseOpScalarFunctorIN3c104HalfELi3ELi3ELi0EEEJSt10multipliesIfEfEEEvT_T0_DpT1_,@function
_ZN2at6native12_GLOBAL__N_125multi_tensor_apply_kernelINS1_18TensorListMetadataILi3EEENS1_24PointwiseOpScalarFunctorIN3c104HalfELi3ELi3ELi0EEEJSt10multipliesIfEfEEEvT_T0_DpT1_: ; @_ZN2at6native12_GLOBAL__N_125multi_tensor_apply_kernelINS1_18TensorListMetadataILi3EEENS1_24PointwiseOpScalarFunctorIN3c104HalfELi3ELi3ELi0EEEJSt10multipliesIfEfEEEvT_T0_DpT1_
; %bb.0:
	v_mov_b32_e32 v1, s6
	global_load_ubyte v1, v1, s[4:5] offset:1536
	s_add_u32 s0, s4, s6
	s_mul_hi_u32 s2, s6, 3
	s_mul_i32 s6, s6, 3
	s_addc_u32 s7, s5, 0
	s_add_u32 s6, s0, s6
	s_addc_u32 s7, s7, s2
	s_load_dword s30, s[4:5], 0xc4c
	s_load_dword s8, s[6:7], 0x740
	s_mov_b32 s1, 0
	s_mov_b32 s3, s1
	s_waitcnt lgkmcnt(0)
	s_ashr_i32 s9, s8, 31
	s_lshl_b64 s[18:19], s[8:9], 17
	s_waitcnt vmcnt(0)
	v_readfirstlane_b32 s0, v1
	s_lshl_b32 s0, s0, 3
	s_load_dwordx2 s[6:7], s[4:5], s0 offset:0x480
	s_load_dwordx2 s[12:13], s[4:5], s0 offset:0x0
	;; [unrolled: 1-line block ×4, first 2 shown]
	s_waitcnt lgkmcnt(0)
	s_and_b32 s0, s12, 7
	s_add_u32 s2, s14, s18
	s_or_b32 s2, s16, s2
	s_and_b32 s2, s2, 7
	s_cmp_eq_u32 s2, 0
	s_cselect_b64 s[10:11], -1, 0
	s_lshl_b64 s[8:9], s[8:9], 16
	s_sub_u32 s20, s6, s8
	s_subb_u32 s21, s7, s9
	s_and_b32 s2, s6, 3
	s_or_b64 s[0:1], s[0:1], s[2:3]
	s_cmp_eq_u64 s[0:1], 0
	s_cselect_b64 s[0:1], -1, 0
	s_and_b64 s[2:3], s[10:11], s[0:1]
	s_mov_b64 s[0:1], -1
	s_and_b64 vcc, exec, s[2:3]
	s_cbranch_vccnz .LBB31_29
; %bb.1:
	v_cmp_lt_i64_e64 s[0:1], s[20:21], 1
	s_and_b64 vcc, exec, s[0:1]
	s_cbranch_vccnz .LBB31_28
; %bb.2:
	v_mov_b32_e32 v1, 0x10000
	s_load_dword s2, s[4:5], 0xc5c
	v_mov_b32_e32 v2, 0
	v_cmp_lt_i64_e32 vcc, s[20:21], v[1:2]
	v_mov_b32_e32 v18, 0
	s_and_b64 s[0:1], vcc, exec
	s_cselect_b32 s23, s21, 0
	s_cselect_b32 s22, s20, 0x10000
	s_waitcnt lgkmcnt(0)
	s_and_b32 s2, s2, 0xffff
	v_lshlrev_b32_e32 v17, 1, v0
	v_mad_u64_u32 v[5:6], s[0:1], s2, 6, v[17:18]
	v_cmp_lt_u64_e32 vcc, s[20:21], v[1:2]
	v_mov_b32_e32 v2, s13
	s_and_b64 s[0:1], vcc, exec
	v_add_co_u32_e32 v1, vcc, s12, v5
	v_addc_co_u32_e32 v2, vcc, v2, v6, vcc
	v_mov_b32_e32 v4, s15
	v_add_co_u32_e32 v3, vcc, s14, v5
	v_addc_co_u32_e32 v4, vcc, v4, v6, vcc
	v_mov_b32_e32 v7, s17
	v_add_co_u32_e32 v5, vcc, s16, v5
	s_cselect_b32 s25, s21, 0
	s_cselect_b32 s24, s20, 0x10000
	s_lshl_b32 s31, s2, 2
	v_addc_co_u32_e32 v6, vcc, v7, v6, vcc
	v_add_co_u32_e32 v11, vcc, s31, v17
	v_addc_co_u32_e64 v12, s[0:1], 0, 0, vcc
	v_mov_b32_e32 v8, s13
	v_add_co_u32_e32 v7, vcc, s12, v11
	v_addc_co_u32_e32 v8, vcc, v8, v12, vcc
	v_mov_b32_e32 v10, s15
	v_add_co_u32_e32 v9, vcc, s14, v11
	v_addc_co_u32_e32 v10, vcc, v10, v12, vcc
	;; [unrolled: 3-line block ×6, first 2 shown]
	v_add_co_u32_e32 v19, vcc, s2, v0
	v_lshlrev_b32_e32 v25, 1, v19
	s_lshl_b32 s6, s2, 1
	s_mul_i32 s7, s2, 3
	s_lshl_b32 s33, s2, 3
	v_addc_co_u32_e64 v20, s[2:3], 0, 0, vcc
	v_mov_b32_e32 v22, s13
	v_add_co_u32_e32 v21, vcc, s12, v25
	v_addc_co_u32_e32 v22, vcc, 0, v22, vcc
	v_mov_b32_e32 v24, s15
	v_add_co_u32_e32 v23, vcc, s14, v25
	v_addc_co_u32_e32 v24, vcc, 0, v24, vcc
	;; [unrolled: 3-line block ×3, first 2 shown]
	v_add_co_u32_e32 v27, vcc, s7, v0
	v_addc_co_u32_e64 v28, s[2:3], 0, 0, vcc
	v_add_co_u32_e32 v29, vcc, s6, v0
	v_cmp_eq_f32_e64 s[0:1], s30, 1.0
	s_mov_b64 s[26:27], 0
	v_addc_co_u32_e64 v30, s[2:3], 0, 0, vcc
	s_branch .LBB31_4
.LBB31_3:                               ;   in Loop: Header=BB31_4 Depth=1
	s_or_b64 exec, exec, s[2:3]
	v_add_co_u32_e32 v13, vcc, s33, v13
	v_addc_co_u32_e32 v14, vcc, 0, v14, vcc
	v_add_co_u32_e32 v15, vcc, s33, v15
	v_addc_co_u32_e32 v16, vcc, 0, v16, vcc
	;; [unrolled: 2-line block ×10, first 2 shown]
	s_add_u32 s26, s26, s31
	v_add_co_u32_e32 v23, vcc, s33, v23
	v_mov_b32_e32 v32, s23
	s_addc_u32 s27, s27, 0
	v_addc_co_u32_e32 v24, vcc, 0, v24, vcc
	v_mov_b32_e32 v31, s22
	v_cmp_lt_i64_e32 vcc, s[26:27], v[31:32]
	v_add_co_u32_e64 v25, s[2:3], s33, v25
	v_addc_co_u32_e64 v26, s[2:3], 0, v26, s[2:3]
	s_cbranch_vccz .LBB31_28
.LBB31_4:                               ; =>This Inner Loop Header: Depth=1
	v_mov_b32_e32 v32, s27
	v_add_co_u32_e32 v31, vcc, s26, v0
	v_addc_co_u32_e32 v32, vcc, 0, v32, vcc
	v_cmp_gt_u64_e32 vcc, s[24:25], v[31:32]
	v_mov_b32_e32 v32, 0
	v_mov_b32_e32 v31, 0
	s_and_saveexec_b64 s[6:7], vcc
	s_cbranch_execz .LBB31_6
; %bb.5:                                ;   in Loop: Header=BB31_4 Depth=1
	v_mov_b32_e32 v34, s19
	v_add_co_u32_e64 v31, s[2:3], s18, v15
	v_addc_co_u32_e64 v32, s[2:3], v16, v34, s[2:3]
	v_add_co_u32_e64 v33, s[2:3], s18, v13
	v_addc_co_u32_e64 v34, s[2:3], v14, v34, s[2:3]
	global_load_ushort v35, v[33:34], off
	global_load_ushort v36, v[31:32], off
	s_waitcnt vmcnt(1)
	v_cvt_f32_f16_e32 v31, v35
	s_waitcnt vmcnt(0)
	v_cvt_f32_f16_e32 v32, v36
.LBB31_6:                               ;   in Loop: Header=BB31_4 Depth=1
	s_or_b64 exec, exec, s[6:7]
	v_mov_b32_e32 v33, 0
	v_mov_b32_e32 v34, 0
	s_and_saveexec_b64 s[6:7], vcc
	s_cbranch_execz .LBB31_8
; %bb.7:                                ;   in Loop: Header=BB31_4 Depth=1
	v_mov_b32_e32 v35, s19
	v_add_co_u32_e64 v34, s[2:3], s18, v17
	v_addc_co_u32_e64 v35, s[2:3], v18, v35, s[2:3]
	global_load_ushort v34, v[34:35], off
	s_waitcnt vmcnt(0)
	v_cvt_f32_f16_e32 v34, v34
.LBB31_8:                               ;   in Loop: Header=BB31_4 Depth=1
	s_or_b64 exec, exec, s[6:7]
	v_mov_b32_e32 v36, s27
	v_add_co_u32_e64 v35, s[2:3], s26, v19
	v_addc_co_u32_e64 v36, s[2:3], v20, v36, s[2:3]
	v_cmp_gt_u64_e64 s[2:3], s[24:25], v[35:36]
	v_mov_b32_e32 v35, 0
	s_and_saveexec_b64 s[8:9], s[2:3]
	s_cbranch_execz .LBB31_10
; %bb.9:                                ;   in Loop: Header=BB31_4 Depth=1
	v_mov_b32_e32 v33, s19
	v_add_co_u32_e64 v35, s[6:7], s18, v23
	v_addc_co_u32_e64 v36, s[6:7], v24, v33, s[6:7]
	v_add_co_u32_e64 v37, s[6:7], s18, v21
	v_addc_co_u32_e64 v38, s[6:7], v22, v33, s[6:7]
	global_load_ushort v33, v[37:38], off
	global_load_ushort v39, v[35:36], off
	s_waitcnt vmcnt(1)
	v_cvt_f32_f16_e32 v35, v33
	s_waitcnt vmcnt(0)
	v_cvt_f32_f16_e32 v33, v39
.LBB31_10:                              ;   in Loop: Header=BB31_4 Depth=1
	s_or_b64 exec, exec, s[8:9]
	v_mov_b32_e32 v36, 0
	v_mov_b32_e32 v37, 0
	s_and_saveexec_b64 s[8:9], s[2:3]
	s_cbranch_execz .LBB31_12
; %bb.11:                               ;   in Loop: Header=BB31_4 Depth=1
	v_mov_b32_e32 v38, s19
	v_add_co_u32_e64 v37, s[6:7], s18, v25
	v_addc_co_u32_e64 v38, s[6:7], v26, v38, s[6:7]
	global_load_ushort v37, v[37:38], off
	s_waitcnt vmcnt(0)
	v_cvt_f32_f16_e32 v37, v37
.LBB31_12:                              ;   in Loop: Header=BB31_4 Depth=1
	s_or_b64 exec, exec, s[8:9]
	v_mov_b32_e32 v39, s27
	v_add_co_u32_e64 v38, s[6:7], s26, v29
	v_addc_co_u32_e64 v39, s[6:7], v30, v39, s[6:7]
	v_cmp_gt_u64_e64 s[6:7], s[24:25], v[38:39]
	v_mov_b32_e32 v38, 0
	s_and_saveexec_b64 s[10:11], s[6:7]
	s_cbranch_execz .LBB31_14
; %bb.13:                               ;   in Loop: Header=BB31_4 Depth=1
	v_mov_b32_e32 v36, s19
	v_add_co_u32_e64 v38, s[8:9], s18, v9
	v_addc_co_u32_e64 v39, s[8:9], v10, v36, s[8:9]
	v_add_co_u32_e64 v40, s[8:9], s18, v7
	v_addc_co_u32_e64 v41, s[8:9], v8, v36, s[8:9]
	global_load_ushort v36, v[40:41], off
	global_load_ushort v42, v[38:39], off
	s_waitcnt vmcnt(1)
	v_cvt_f32_f16_e32 v38, v36
	s_waitcnt vmcnt(0)
	v_cvt_f32_f16_e32 v36, v42
.LBB31_14:                              ;   in Loop: Header=BB31_4 Depth=1
	s_or_b64 exec, exec, s[10:11]
	v_mov_b32_e32 v39, 0
	v_mov_b32_e32 v40, 0
	s_and_saveexec_b64 s[10:11], s[6:7]
	s_cbranch_execz .LBB31_16
; %bb.15:                               ;   in Loop: Header=BB31_4 Depth=1
	v_mov_b32_e32 v41, s19
	v_add_co_u32_e64 v40, s[8:9], s18, v11
	v_addc_co_u32_e64 v41, s[8:9], v12, v41, s[8:9]
	global_load_ushort v40, v[40:41], off
	s_waitcnt vmcnt(0)
	v_cvt_f32_f16_e32 v40, v40
.LBB31_16:                              ;   in Loop: Header=BB31_4 Depth=1
	s_or_b64 exec, exec, s[10:11]
	v_mov_b32_e32 v42, s27
	v_add_co_u32_e64 v41, s[8:9], s26, v27
	v_addc_co_u32_e64 v42, s[8:9], v28, v42, s[8:9]
	v_cmp_gt_u64_e64 s[8:9], s[24:25], v[41:42]
	v_mov_b32_e32 v41, 0
	s_and_saveexec_b64 s[28:29], s[8:9]
	s_cbranch_execnz .LBB31_22
; %bb.17:                               ;   in Loop: Header=BB31_4 Depth=1
	s_or_b64 exec, exec, s[28:29]
	v_mov_b32_e32 v42, 0
	s_and_saveexec_b64 s[28:29], s[8:9]
	s_cbranch_execnz .LBB31_23
.LBB31_18:                              ;   in Loop: Header=BB31_4 Depth=1
	s_or_b64 exec, exec, s[28:29]
	s_and_saveexec_b64 s[10:11], vcc
	s_cbranch_execnz .LBB31_24
.LBB31_19:                              ;   in Loop: Header=BB31_4 Depth=1
	s_or_b64 exec, exec, s[10:11]
	s_and_saveexec_b64 s[10:11], s[2:3]
	s_cbranch_execnz .LBB31_25
.LBB31_20:                              ;   in Loop: Header=BB31_4 Depth=1
	s_or_b64 exec, exec, s[10:11]
	s_and_saveexec_b64 s[2:3], s[6:7]
	s_cbranch_execnz .LBB31_26
.LBB31_21:                              ;   in Loop: Header=BB31_4 Depth=1
	s_or_b64 exec, exec, s[2:3]
	s_and_saveexec_b64 s[2:3], s[8:9]
	s_cbranch_execz .LBB31_3
	s_branch .LBB31_27
.LBB31_22:                              ;   in Loop: Header=BB31_4 Depth=1
	v_mov_b32_e32 v39, s19
	v_add_co_u32_e64 v41, s[10:11], s18, v3
	v_addc_co_u32_e64 v42, s[10:11], v4, v39, s[10:11]
	v_add_co_u32_e64 v43, s[10:11], s18, v1
	v_addc_co_u32_e64 v44, s[10:11], v2, v39, s[10:11]
	global_load_ushort v39, v[43:44], off
	global_load_ushort v45, v[41:42], off
	s_waitcnt vmcnt(1)
	v_cvt_f32_f16_e32 v41, v39
	s_waitcnt vmcnt(0)
	v_cvt_f32_f16_e32 v39, v45
	s_or_b64 exec, exec, s[28:29]
	v_mov_b32_e32 v42, 0
	s_and_saveexec_b64 s[28:29], s[8:9]
	s_cbranch_execz .LBB31_18
.LBB31_23:                              ;   in Loop: Header=BB31_4 Depth=1
	v_mov_b32_e32 v43, s19
	v_add_co_u32_e64 v42, s[10:11], s18, v5
	v_addc_co_u32_e64 v43, s[10:11], v6, v43, s[10:11]
	global_load_ushort v42, v[42:43], off
	s_waitcnt vmcnt(0)
	v_cvt_f32_f16_e32 v42, v42
	s_or_b64 exec, exec, s[28:29]
	s_and_saveexec_b64 s[10:11], vcc
	s_cbranch_execz .LBB31_19
.LBB31_24:                              ;   in Loop: Header=BB31_4 Depth=1
	v_fma_f32 v43, v32, v34, v31
	v_mul_f32_e32 v32, v32, v34
	v_fmac_f32_e32 v31, s30, v32
	v_cndmask_b32_e64 v31, v31, v43, s[0:1]
	v_cvt_f16_f32_e32 v34, v31
	v_mov_b32_e32 v32, s19
	v_add_co_u32_e32 v31, vcc, s18, v13
	v_addc_co_u32_e32 v32, vcc, v14, v32, vcc
	global_store_short v[31:32], v34, off
	s_or_b64 exec, exec, s[10:11]
	s_and_saveexec_b64 s[10:11], s[2:3]
	s_cbranch_execz .LBB31_20
.LBB31_25:                              ;   in Loop: Header=BB31_4 Depth=1
	v_mul_f32_e32 v32, v33, v37
	v_fma_f32 v31, v33, v37, v35
	v_fmac_f32_e32 v35, s30, v32
	v_cndmask_b32_e64 v31, v35, v31, s[0:1]
	v_cvt_f16_f32_e32 v33, v31
	v_mov_b32_e32 v32, s19
	v_add_co_u32_e32 v31, vcc, s18, v21
	v_addc_co_u32_e32 v32, vcc, v22, v32, vcc
	global_store_short v[31:32], v33, off
	s_or_b64 exec, exec, s[10:11]
	s_and_saveexec_b64 s[2:3], s[6:7]
	s_cbranch_execz .LBB31_21
.LBB31_26:                              ;   in Loop: Header=BB31_4 Depth=1
	v_mul_f32_e32 v32, v36, v40
	v_fma_f32 v31, v36, v40, v38
	v_fmac_f32_e32 v38, s30, v32
	v_cndmask_b32_e64 v31, v38, v31, s[0:1]
	v_cvt_f16_f32_e32 v33, v31
	v_mov_b32_e32 v32, s19
	v_add_co_u32_e32 v31, vcc, s18, v7
	v_addc_co_u32_e32 v32, vcc, v8, v32, vcc
	global_store_short v[31:32], v33, off
	s_or_b64 exec, exec, s[2:3]
	s_and_saveexec_b64 s[2:3], s[8:9]
	s_cbranch_execz .LBB31_3
.LBB31_27:                              ;   in Loop: Header=BB31_4 Depth=1
	v_mul_f32_e32 v32, v39, v42
	v_fma_f32 v31, v39, v42, v41
	v_fmac_f32_e32 v41, s30, v32
	v_cndmask_b32_e64 v31, v41, v31, s[0:1]
	v_cvt_f16_f32_e32 v33, v31
	v_mov_b32_e32 v32, s19
	v_add_co_u32_e32 v31, vcc, s18, v1
	v_addc_co_u32_e32 v32, vcc, v2, v32, vcc
	global_store_short v[31:32], v33, off
	s_branch .LBB31_3
.LBB31_28:
	s_mov_b64 s[0:1], 0
.LBB31_29:
	s_andn2_b64 vcc, exec, s[0:1]
	s_cbranch_vccnz .LBB31_33
; %bb.30:
	v_mov_b32_e32 v1, 0x10000
	v_mov_b32_e32 v2, 0
	v_cmp_lt_i64_e32 vcc, s[20:21], v[1:2]
	v_mov_b32_e32 v2, 0
	s_and_b64 s[0:1], vcc, exec
	s_cselect_b32 s3, s21, 0
	s_cselect_b32 s2, s20, 0x10000
	v_lshlrev_b32_e32 v1, 2, v0
	v_cmp_gt_i64_e32 vcc, s[2:3], v[1:2]
	s_and_saveexec_b64 s[0:1], vcc
	s_cbranch_execz .LBB31_33
; %bb.31:
	s_load_dword s0, s[4:5], 0xc5c
	v_mov_b32_e32 v1, v2
	v_lshlrev_b32_e32 v2, 3, v0
	v_mov_b32_e32 v3, s19
	v_cmp_eq_f32_e64 vcc, s30, 1.0
	s_waitcnt lgkmcnt(0)
	s_and_b32 s7, s0, 0xffff
	v_add_co_u32_e64 v2, s[0:1], s18, v2
	s_mov_b32 s6, s30
	v_addc_co_u32_e64 v3, s[0:1], 0, v3, s[0:1]
	s_lshl_b32 s8, s7, 3
	s_mov_b64 s[4:5], 0
	v_mov_b32_e32 v4, s13
	v_mov_b32_e32 v5, s15
	;; [unrolled: 1-line block ×3, first 2 shown]
.LBB31_32:                              ; =>This Inner Loop Header: Depth=1
	v_add_co_u32_e64 v7, s[0:1], s12, v2
	v_addc_co_u32_e64 v8, s[0:1], v4, v3, s[0:1]
	v_add_co_u32_e64 v9, s[0:1], s14, v2
	v_addc_co_u32_e64 v10, s[0:1], v5, v3, s[0:1]
	;; [unrolled: 2-line block ×3, first 2 shown]
	global_load_dwordx2 v[13:14], v[9:10], off
	global_load_dwordx2 v[15:16], v[11:12], off
	;; [unrolled: 1-line block ×3, first 2 shown]
	v_add_co_u32_e64 v0, s[0:1], s7, v0
	v_addc_co_u32_e64 v1, s[0:1], 0, v1, s[0:1]
	v_add_co_u32_e64 v2, s[0:1], s8, v2
	v_lshlrev_b64 v[9:10], 2, v[0:1]
	v_addc_co_u32_e64 v3, s[0:1], 0, v3, s[0:1]
	v_cmp_le_i64_e64 s[0:1], s[2:3], v[9:10]
	s_or_b64 s[4:5], s[0:1], s[4:5]
	s_waitcnt vmcnt(2)
	v_cvt_f32_f16_e32 v11, v13
	v_cvt_f32_f16_sdwa v12, v13 dst_sel:DWORD dst_unused:UNUSED_PAD src0_sel:WORD_1
	s_waitcnt vmcnt(1)
	v_cvt_f32_f16_e32 v19, v15
	v_cvt_f32_f16_sdwa v20, v15 dst_sel:DWORD dst_unused:UNUSED_PAD src0_sel:WORD_1
	s_waitcnt vmcnt(0)
	v_fma_mix_f32 v21, v13, v15, v17 op_sel_hi:[1,1,1]
	v_fma_mix_f32 v13, v13, v15, v17 op_sel:[1,1,1] op_sel_hi:[1,1,1]
	v_cvt_f32_f16_e32 v15, v14
	v_cvt_f32_f16_sdwa v22, v14 dst_sel:DWORD dst_unused:UNUSED_PAD src0_sel:WORD_1
	v_cvt_f32_f16_e32 v23, v16
	v_cvt_f32_f16_sdwa v24, v16 dst_sel:DWORD dst_unused:UNUSED_PAD src0_sel:WORD_1
	v_fma_mix_f32 v25, v14, v16, v18 op_sel_hi:[1,1,1]
	v_fma_mix_f32 v14, v14, v16, v18 op_sel:[1,1,1] op_sel_hi:[1,1,1]
	v_mul_f32_e32 v12, v12, v20
	v_mul_f32_e32 v11, v11, v19
	;; [unrolled: 1-line block ×4, first 2 shown]
	v_fma_mix_f32 v11, s30, v11, v17 op_sel_hi:[0,0,1]
	v_fma_mix_f32 v12, s6, v12, v17 op_sel:[0,0,1] op_sel_hi:[0,0,1]
	v_fma_mix_f32 v15, s30, v15, v18 op_sel_hi:[0,0,1]
	v_fma_mix_f32 v16, s6, v16, v18 op_sel:[0,0,1] op_sel_hi:[0,0,1]
	v_cndmask_b32_e32 v12, v12, v13, vcc
	v_cndmask_b32_e32 v11, v11, v21, vcc
	;; [unrolled: 1-line block ×4, first 2 shown]
	v_cvt_f16_f32_e32 v11, v11
	v_cvt_f16_f32_e32 v12, v12
	;; [unrolled: 1-line block ×4, first 2 shown]
	v_pack_b32_f16 v9, v11, v12
	v_pack_b32_f16 v10, v14, v13
	global_store_dwordx2 v[7:8], v[9:10], off
	s_andn2_b64 exec, exec, s[4:5]
	s_cbranch_execnz .LBB31_32
.LBB31_33:
	s_endpgm
	.section	.rodata,"a",@progbits
	.p2align	6, 0x0
	.amdhsa_kernel _ZN2at6native12_GLOBAL__N_125multi_tensor_apply_kernelINS1_18TensorListMetadataILi3EEENS1_24PointwiseOpScalarFunctorIN3c104HalfELi3ELi3ELi0EEEJSt10multipliesIfEfEEEvT_T0_DpT1_
		.amdhsa_group_segment_fixed_size 0
		.amdhsa_private_segment_fixed_size 0
		.amdhsa_kernarg_size 3408
		.amdhsa_user_sgpr_count 6
		.amdhsa_user_sgpr_private_segment_buffer 1
		.amdhsa_user_sgpr_dispatch_ptr 0
		.amdhsa_user_sgpr_queue_ptr 0
		.amdhsa_user_sgpr_kernarg_segment_ptr 1
		.amdhsa_user_sgpr_dispatch_id 0
		.amdhsa_user_sgpr_flat_scratch_init 0
		.amdhsa_user_sgpr_private_segment_size 0
		.amdhsa_uses_dynamic_stack 0
		.amdhsa_system_sgpr_private_segment_wavefront_offset 0
		.amdhsa_system_sgpr_workgroup_id_x 1
		.amdhsa_system_sgpr_workgroup_id_y 0
		.amdhsa_system_sgpr_workgroup_id_z 0
		.amdhsa_system_sgpr_workgroup_info 0
		.amdhsa_system_vgpr_workitem_id 0
		.amdhsa_next_free_vgpr 46
		.amdhsa_next_free_sgpr 34
		.amdhsa_reserve_vcc 1
		.amdhsa_reserve_flat_scratch 0
		.amdhsa_float_round_mode_32 0
		.amdhsa_float_round_mode_16_64 0
		.amdhsa_float_denorm_mode_32 3
		.amdhsa_float_denorm_mode_16_64 3
		.amdhsa_dx10_clamp 1
		.amdhsa_ieee_mode 1
		.amdhsa_fp16_overflow 0
		.amdhsa_exception_fp_ieee_invalid_op 0
		.amdhsa_exception_fp_denorm_src 0
		.amdhsa_exception_fp_ieee_div_zero 0
		.amdhsa_exception_fp_ieee_overflow 0
		.amdhsa_exception_fp_ieee_underflow 0
		.amdhsa_exception_fp_ieee_inexact 0
		.amdhsa_exception_int_div_zero 0
	.end_amdhsa_kernel
	.section	.text._ZN2at6native12_GLOBAL__N_125multi_tensor_apply_kernelINS1_18TensorListMetadataILi3EEENS1_24PointwiseOpScalarFunctorIN3c104HalfELi3ELi3ELi0EEEJSt10multipliesIfEfEEEvT_T0_DpT1_,"axG",@progbits,_ZN2at6native12_GLOBAL__N_125multi_tensor_apply_kernelINS1_18TensorListMetadataILi3EEENS1_24PointwiseOpScalarFunctorIN3c104HalfELi3ELi3ELi0EEEJSt10multipliesIfEfEEEvT_T0_DpT1_,comdat
.Lfunc_end31:
	.size	_ZN2at6native12_GLOBAL__N_125multi_tensor_apply_kernelINS1_18TensorListMetadataILi3EEENS1_24PointwiseOpScalarFunctorIN3c104HalfELi3ELi3ELi0EEEJSt10multipliesIfEfEEEvT_T0_DpT1_, .Lfunc_end31-_ZN2at6native12_GLOBAL__N_125multi_tensor_apply_kernelINS1_18TensorListMetadataILi3EEENS1_24PointwiseOpScalarFunctorIN3c104HalfELi3ELi3ELi0EEEJSt10multipliesIfEfEEEvT_T0_DpT1_
                                        ; -- End function
	.set _ZN2at6native12_GLOBAL__N_125multi_tensor_apply_kernelINS1_18TensorListMetadataILi3EEENS1_24PointwiseOpScalarFunctorIN3c104HalfELi3ELi3ELi0EEEJSt10multipliesIfEfEEEvT_T0_DpT1_.num_vgpr, 46
	.set _ZN2at6native12_GLOBAL__N_125multi_tensor_apply_kernelINS1_18TensorListMetadataILi3EEENS1_24PointwiseOpScalarFunctorIN3c104HalfELi3ELi3ELi0EEEJSt10multipliesIfEfEEEvT_T0_DpT1_.num_agpr, 0
	.set _ZN2at6native12_GLOBAL__N_125multi_tensor_apply_kernelINS1_18TensorListMetadataILi3EEENS1_24PointwiseOpScalarFunctorIN3c104HalfELi3ELi3ELi0EEEJSt10multipliesIfEfEEEvT_T0_DpT1_.numbered_sgpr, 34
	.set _ZN2at6native12_GLOBAL__N_125multi_tensor_apply_kernelINS1_18TensorListMetadataILi3EEENS1_24PointwiseOpScalarFunctorIN3c104HalfELi3ELi3ELi0EEEJSt10multipliesIfEfEEEvT_T0_DpT1_.num_named_barrier, 0
	.set _ZN2at6native12_GLOBAL__N_125multi_tensor_apply_kernelINS1_18TensorListMetadataILi3EEENS1_24PointwiseOpScalarFunctorIN3c104HalfELi3ELi3ELi0EEEJSt10multipliesIfEfEEEvT_T0_DpT1_.private_seg_size, 0
	.set _ZN2at6native12_GLOBAL__N_125multi_tensor_apply_kernelINS1_18TensorListMetadataILi3EEENS1_24PointwiseOpScalarFunctorIN3c104HalfELi3ELi3ELi0EEEJSt10multipliesIfEfEEEvT_T0_DpT1_.uses_vcc, 1
	.set _ZN2at6native12_GLOBAL__N_125multi_tensor_apply_kernelINS1_18TensorListMetadataILi3EEENS1_24PointwiseOpScalarFunctorIN3c104HalfELi3ELi3ELi0EEEJSt10multipliesIfEfEEEvT_T0_DpT1_.uses_flat_scratch, 0
	.set _ZN2at6native12_GLOBAL__N_125multi_tensor_apply_kernelINS1_18TensorListMetadataILi3EEENS1_24PointwiseOpScalarFunctorIN3c104HalfELi3ELi3ELi0EEEJSt10multipliesIfEfEEEvT_T0_DpT1_.has_dyn_sized_stack, 0
	.set _ZN2at6native12_GLOBAL__N_125multi_tensor_apply_kernelINS1_18TensorListMetadataILi3EEENS1_24PointwiseOpScalarFunctorIN3c104HalfELi3ELi3ELi0EEEJSt10multipliesIfEfEEEvT_T0_DpT1_.has_recursion, 0
	.set _ZN2at6native12_GLOBAL__N_125multi_tensor_apply_kernelINS1_18TensorListMetadataILi3EEENS1_24PointwiseOpScalarFunctorIN3c104HalfELi3ELi3ELi0EEEJSt10multipliesIfEfEEEvT_T0_DpT1_.has_indirect_call, 0
	.section	.AMDGPU.csdata,"",@progbits
; Kernel info:
; codeLenInByte = 2096
; TotalNumSgprs: 38
; NumVgprs: 46
; ScratchSize: 0
; MemoryBound: 0
; FloatMode: 240
; IeeeMode: 1
; LDSByteSize: 0 bytes/workgroup (compile time only)
; SGPRBlocks: 4
; VGPRBlocks: 11
; NumSGPRsForWavesPerEU: 38
; NumVGPRsForWavesPerEU: 46
; Occupancy: 5
; WaveLimiterHint : 0
; COMPUTE_PGM_RSRC2:SCRATCH_EN: 0
; COMPUTE_PGM_RSRC2:USER_SGPR: 6
; COMPUTE_PGM_RSRC2:TRAP_HANDLER: 0
; COMPUTE_PGM_RSRC2:TGID_X_EN: 1
; COMPUTE_PGM_RSRC2:TGID_Y_EN: 0
; COMPUTE_PGM_RSRC2:TGID_Z_EN: 0
; COMPUTE_PGM_RSRC2:TIDIG_COMP_CNT: 0
	.section	.text._ZN2at6native12_GLOBAL__N_125multi_tensor_apply_kernelINS1_18TensorListMetadataILi3EEENS1_24PointwiseOpScalarFunctorIN3c108BFloat16ELi3ELi3ELi0EEEJSt10multipliesIfEfEEEvT_T0_DpT1_,"axG",@progbits,_ZN2at6native12_GLOBAL__N_125multi_tensor_apply_kernelINS1_18TensorListMetadataILi3EEENS1_24PointwiseOpScalarFunctorIN3c108BFloat16ELi3ELi3ELi0EEEJSt10multipliesIfEfEEEvT_T0_DpT1_,comdat
	.globl	_ZN2at6native12_GLOBAL__N_125multi_tensor_apply_kernelINS1_18TensorListMetadataILi3EEENS1_24PointwiseOpScalarFunctorIN3c108BFloat16ELi3ELi3ELi0EEEJSt10multipliesIfEfEEEvT_T0_DpT1_ ; -- Begin function _ZN2at6native12_GLOBAL__N_125multi_tensor_apply_kernelINS1_18TensorListMetadataILi3EEENS1_24PointwiseOpScalarFunctorIN3c108BFloat16ELi3ELi3ELi0EEEJSt10multipliesIfEfEEEvT_T0_DpT1_
	.p2align	8
	.type	_ZN2at6native12_GLOBAL__N_125multi_tensor_apply_kernelINS1_18TensorListMetadataILi3EEENS1_24PointwiseOpScalarFunctorIN3c108BFloat16ELi3ELi3ELi0EEEJSt10multipliesIfEfEEEvT_T0_DpT1_,@function
_ZN2at6native12_GLOBAL__N_125multi_tensor_apply_kernelINS1_18TensorListMetadataILi3EEENS1_24PointwiseOpScalarFunctorIN3c108BFloat16ELi3ELi3ELi0EEEJSt10multipliesIfEfEEEvT_T0_DpT1_: ; @_ZN2at6native12_GLOBAL__N_125multi_tensor_apply_kernelINS1_18TensorListMetadataILi3EEENS1_24PointwiseOpScalarFunctorIN3c108BFloat16ELi3ELi3ELi0EEEJSt10multipliesIfEfEEEvT_T0_DpT1_
; %bb.0:
	v_mov_b32_e32 v1, s6
	global_load_ubyte v1, v1, s[4:5] offset:1536
	s_add_u32 s0, s4, s6
	s_mul_hi_u32 s2, s6, 3
	s_mul_i32 s6, s6, 3
	s_addc_u32 s7, s5, 0
	s_add_u32 s6, s0, s6
	s_addc_u32 s7, s7, s2
	s_load_dword s30, s[4:5], 0xc4c
	s_load_dword s8, s[6:7], 0x740
	s_mov_b32 s1, 0
	s_mov_b32 s3, s1
	s_waitcnt lgkmcnt(0)
	s_ashr_i32 s9, s8, 31
	s_lshl_b64 s[18:19], s[8:9], 17
	s_waitcnt vmcnt(0)
	v_readfirstlane_b32 s0, v1
	s_lshl_b32 s0, s0, 3
	s_load_dwordx2 s[6:7], s[4:5], s0 offset:0x480
	s_load_dwordx2 s[12:13], s[4:5], s0 offset:0x0
	;; [unrolled: 1-line block ×4, first 2 shown]
	s_waitcnt lgkmcnt(0)
	s_and_b32 s0, s12, 7
	s_add_u32 s2, s14, s18
	s_or_b32 s2, s16, s2
	s_and_b32 s2, s2, 7
	s_cmp_eq_u32 s2, 0
	s_cselect_b64 s[10:11], -1, 0
	s_lshl_b64 s[8:9], s[8:9], 16
	s_sub_u32 s20, s6, s8
	s_subb_u32 s21, s7, s9
	s_and_b32 s2, s6, 3
	s_or_b64 s[0:1], s[0:1], s[2:3]
	s_cmp_eq_u64 s[0:1], 0
	s_cselect_b64 s[0:1], -1, 0
	s_and_b64 s[2:3], s[10:11], s[0:1]
	s_mov_b64 s[0:1], -1
	s_and_b64 vcc, exec, s[2:3]
	s_cbranch_vccnz .LBB32_29
; %bb.1:
	v_cmp_lt_i64_e64 s[0:1], s[20:21], 1
	s_and_b64 vcc, exec, s[0:1]
	s_cbranch_vccnz .LBB32_28
; %bb.2:
	v_mov_b32_e32 v1, 0x10000
	s_load_dword s2, s[4:5], 0xc5c
	v_mov_b32_e32 v2, 0
	v_cmp_lt_i64_e32 vcc, s[20:21], v[1:2]
	v_mov_b32_e32 v18, 0
	s_and_b64 s[0:1], vcc, exec
	s_cselect_b32 s23, s21, 0
	s_cselect_b32 s22, s20, 0x10000
	s_waitcnt lgkmcnt(0)
	s_and_b32 s2, s2, 0xffff
	v_lshlrev_b32_e32 v17, 1, v0
	v_mad_u64_u32 v[5:6], s[0:1], s2, 6, v[17:18]
	v_cmp_lt_u64_e32 vcc, s[20:21], v[1:2]
	v_mov_b32_e32 v2, s13
	s_and_b64 s[0:1], vcc, exec
	v_add_co_u32_e32 v1, vcc, s12, v5
	v_addc_co_u32_e32 v2, vcc, v2, v6, vcc
	v_mov_b32_e32 v4, s15
	v_add_co_u32_e32 v3, vcc, s14, v5
	v_addc_co_u32_e32 v4, vcc, v4, v6, vcc
	v_mov_b32_e32 v7, s17
	v_add_co_u32_e32 v5, vcc, s16, v5
	s_cselect_b32 s25, s21, 0
	s_cselect_b32 s24, s20, 0x10000
	s_lshl_b32 s31, s2, 2
	v_addc_co_u32_e32 v6, vcc, v7, v6, vcc
	v_add_co_u32_e32 v11, vcc, s31, v17
	v_addc_co_u32_e64 v12, s[0:1], 0, 0, vcc
	v_mov_b32_e32 v8, s13
	v_add_co_u32_e32 v7, vcc, s12, v11
	v_addc_co_u32_e32 v8, vcc, v8, v12, vcc
	v_mov_b32_e32 v10, s15
	v_add_co_u32_e32 v9, vcc, s14, v11
	v_addc_co_u32_e32 v10, vcc, v10, v12, vcc
	;; [unrolled: 3-line block ×6, first 2 shown]
	v_add_co_u32_e32 v19, vcc, s2, v0
	v_lshlrev_b32_e32 v25, 1, v19
	s_lshl_b32 s6, s2, 1
	s_mul_i32 s7, s2, 3
	s_lshl_b32 s33, s2, 3
	v_addc_co_u32_e64 v20, s[2:3], 0, 0, vcc
	v_mov_b32_e32 v22, s13
	v_add_co_u32_e32 v21, vcc, s12, v25
	v_addc_co_u32_e32 v22, vcc, 0, v22, vcc
	v_mov_b32_e32 v24, s15
	v_add_co_u32_e32 v23, vcc, s14, v25
	v_addc_co_u32_e32 v24, vcc, 0, v24, vcc
	;; [unrolled: 3-line block ×3, first 2 shown]
	v_add_co_u32_e32 v27, vcc, s7, v0
	v_addc_co_u32_e64 v28, s[2:3], 0, 0, vcc
	v_add_co_u32_e32 v29, vcc, s6, v0
	v_cmp_eq_f32_e64 s[0:1], s30, 1.0
	s_mov_b64 s[26:27], 0
	s_movk_i32 s34, 0x7fff
	v_addc_co_u32_e64 v30, s[2:3], 0, 0, vcc
	v_mov_b32_e32 v31, 0x7fc0
	s_branch .LBB32_4
.LBB32_3:                               ;   in Loop: Header=BB32_4 Depth=1
	s_or_b64 exec, exec, s[2:3]
	v_add_co_u32_e32 v13, vcc, s33, v13
	v_addc_co_u32_e32 v14, vcc, 0, v14, vcc
	v_add_co_u32_e32 v15, vcc, s33, v15
	v_addc_co_u32_e32 v16, vcc, 0, v16, vcc
	;; [unrolled: 2-line block ×10, first 2 shown]
	s_add_u32 s26, s26, s31
	v_add_co_u32_e32 v23, vcc, s33, v23
	v_mov_b32_e32 v33, s23
	s_addc_u32 s27, s27, 0
	v_addc_co_u32_e32 v24, vcc, 0, v24, vcc
	v_mov_b32_e32 v32, s22
	v_cmp_lt_i64_e32 vcc, s[26:27], v[32:33]
	v_add_co_u32_e64 v25, s[2:3], s33, v25
	v_addc_co_u32_e64 v26, s[2:3], 0, v26, s[2:3]
	s_cbranch_vccz .LBB32_28
.LBB32_4:                               ; =>This Inner Loop Header: Depth=1
	v_mov_b32_e32 v33, s27
	v_add_co_u32_e32 v32, vcc, s26, v0
	v_addc_co_u32_e32 v33, vcc, 0, v33, vcc
	v_cmp_gt_u64_e32 vcc, s[24:25], v[32:33]
	v_mov_b32_e32 v33, 0
	v_mov_b32_e32 v32, 0
	s_and_saveexec_b64 s[6:7], vcc
	s_cbranch_execz .LBB32_6
; %bb.5:                                ;   in Loop: Header=BB32_4 Depth=1
	v_mov_b32_e32 v35, s19
	v_add_co_u32_e64 v32, s[2:3], s18, v13
	v_addc_co_u32_e64 v33, s[2:3], v14, v35, s[2:3]
	v_add_co_u32_e64 v34, s[2:3], s18, v15
	v_addc_co_u32_e64 v35, s[2:3], v16, v35, s[2:3]
	global_load_ushort v36, v[34:35], off
	global_load_ushort v37, v[32:33], off
	s_waitcnt vmcnt(1)
	v_lshlrev_b32_e32 v33, 16, v36
	s_waitcnt vmcnt(0)
	v_lshlrev_b32_e32 v32, 16, v37
.LBB32_6:                               ;   in Loop: Header=BB32_4 Depth=1
	s_or_b64 exec, exec, s[6:7]
	v_mov_b32_e32 v34, 0
	v_mov_b32_e32 v35, 0
	s_and_saveexec_b64 s[6:7], vcc
	s_cbranch_execz .LBB32_8
; %bb.7:                                ;   in Loop: Header=BB32_4 Depth=1
	v_mov_b32_e32 v36, s19
	v_add_co_u32_e64 v35, s[2:3], s18, v17
	v_addc_co_u32_e64 v36, s[2:3], v18, v36, s[2:3]
	global_load_ushort v35, v[35:36], off
	s_waitcnt vmcnt(0)
	v_lshlrev_b32_e32 v35, 16, v35
.LBB32_8:                               ;   in Loop: Header=BB32_4 Depth=1
	s_or_b64 exec, exec, s[6:7]
	v_mov_b32_e32 v37, s27
	v_add_co_u32_e64 v36, s[2:3], s26, v19
	v_addc_co_u32_e64 v37, s[2:3], v20, v37, s[2:3]
	v_cmp_gt_u64_e64 s[2:3], s[24:25], v[36:37]
	v_mov_b32_e32 v36, 0
	s_and_saveexec_b64 s[8:9], s[2:3]
	s_cbranch_execz .LBB32_10
; %bb.9:                                ;   in Loop: Header=BB32_4 Depth=1
	v_mov_b32_e32 v34, s19
	v_add_co_u32_e64 v36, s[6:7], s18, v21
	v_addc_co_u32_e64 v37, s[6:7], v22, v34, s[6:7]
	v_add_co_u32_e64 v38, s[6:7], s18, v23
	v_addc_co_u32_e64 v39, s[6:7], v24, v34, s[6:7]
	global_load_ushort v34, v[38:39], off
	global_load_ushort v40, v[36:37], off
	s_waitcnt vmcnt(1)
	v_lshlrev_b32_e32 v34, 16, v34
	s_waitcnt vmcnt(0)
	v_lshlrev_b32_e32 v36, 16, v40
.LBB32_10:                              ;   in Loop: Header=BB32_4 Depth=1
	s_or_b64 exec, exec, s[8:9]
	v_mov_b32_e32 v37, 0
	v_mov_b32_e32 v38, 0
	s_and_saveexec_b64 s[8:9], s[2:3]
	s_cbranch_execz .LBB32_12
; %bb.11:                               ;   in Loop: Header=BB32_4 Depth=1
	v_mov_b32_e32 v39, s19
	v_add_co_u32_e64 v38, s[6:7], s18, v25
	v_addc_co_u32_e64 v39, s[6:7], v26, v39, s[6:7]
	global_load_ushort v38, v[38:39], off
	s_waitcnt vmcnt(0)
	v_lshlrev_b32_e32 v38, 16, v38
.LBB32_12:                              ;   in Loop: Header=BB32_4 Depth=1
	s_or_b64 exec, exec, s[8:9]
	v_mov_b32_e32 v40, s27
	v_add_co_u32_e64 v39, s[6:7], s26, v29
	v_addc_co_u32_e64 v40, s[6:7], v30, v40, s[6:7]
	v_cmp_gt_u64_e64 s[6:7], s[24:25], v[39:40]
	v_mov_b32_e32 v39, 0
	s_and_saveexec_b64 s[10:11], s[6:7]
	s_cbranch_execz .LBB32_14
; %bb.13:                               ;   in Loop: Header=BB32_4 Depth=1
	v_mov_b32_e32 v37, s19
	v_add_co_u32_e64 v39, s[8:9], s18, v7
	v_addc_co_u32_e64 v40, s[8:9], v8, v37, s[8:9]
	v_add_co_u32_e64 v41, s[8:9], s18, v9
	v_addc_co_u32_e64 v42, s[8:9], v10, v37, s[8:9]
	global_load_ushort v37, v[41:42], off
	global_load_ushort v43, v[39:40], off
	s_waitcnt vmcnt(1)
	v_lshlrev_b32_e32 v37, 16, v37
	s_waitcnt vmcnt(0)
	v_lshlrev_b32_e32 v39, 16, v43
.LBB32_14:                              ;   in Loop: Header=BB32_4 Depth=1
	s_or_b64 exec, exec, s[10:11]
	v_mov_b32_e32 v40, 0
	v_mov_b32_e32 v41, 0
	s_and_saveexec_b64 s[10:11], s[6:7]
	s_cbranch_execz .LBB32_16
; %bb.15:                               ;   in Loop: Header=BB32_4 Depth=1
	v_mov_b32_e32 v42, s19
	v_add_co_u32_e64 v41, s[8:9], s18, v11
	v_addc_co_u32_e64 v42, s[8:9], v12, v42, s[8:9]
	global_load_ushort v41, v[41:42], off
	s_waitcnt vmcnt(0)
	v_lshlrev_b32_e32 v41, 16, v41
.LBB32_16:                              ;   in Loop: Header=BB32_4 Depth=1
	s_or_b64 exec, exec, s[10:11]
	v_mov_b32_e32 v43, s27
	v_add_co_u32_e64 v42, s[8:9], s26, v27
	v_addc_co_u32_e64 v43, s[8:9], v28, v43, s[8:9]
	v_cmp_gt_u64_e64 s[8:9], s[24:25], v[42:43]
	v_mov_b32_e32 v42, 0
	s_and_saveexec_b64 s[28:29], s[8:9]
	s_cbranch_execnz .LBB32_22
; %bb.17:                               ;   in Loop: Header=BB32_4 Depth=1
	s_or_b64 exec, exec, s[28:29]
	v_mov_b32_e32 v43, 0
	s_and_saveexec_b64 s[28:29], s[8:9]
	s_cbranch_execnz .LBB32_23
.LBB32_18:                              ;   in Loop: Header=BB32_4 Depth=1
	s_or_b64 exec, exec, s[28:29]
	s_and_saveexec_b64 s[10:11], vcc
	s_cbranch_execnz .LBB32_24
.LBB32_19:                              ;   in Loop: Header=BB32_4 Depth=1
	s_or_b64 exec, exec, s[10:11]
	s_and_saveexec_b64 s[10:11], s[2:3]
	s_cbranch_execnz .LBB32_25
.LBB32_20:                              ;   in Loop: Header=BB32_4 Depth=1
	s_or_b64 exec, exec, s[10:11]
	s_and_saveexec_b64 s[2:3], s[6:7]
	s_cbranch_execnz .LBB32_26
.LBB32_21:                              ;   in Loop: Header=BB32_4 Depth=1
	s_or_b64 exec, exec, s[2:3]
	s_and_saveexec_b64 s[2:3], s[8:9]
	s_cbranch_execz .LBB32_3
	s_branch .LBB32_27
.LBB32_22:                              ;   in Loop: Header=BB32_4 Depth=1
	v_mov_b32_e32 v40, s19
	v_add_co_u32_e64 v42, s[10:11], s18, v1
	v_addc_co_u32_e64 v43, s[10:11], v2, v40, s[10:11]
	v_add_co_u32_e64 v44, s[10:11], s18, v3
	v_addc_co_u32_e64 v45, s[10:11], v4, v40, s[10:11]
	global_load_ushort v40, v[44:45], off
	global_load_ushort v46, v[42:43], off
	s_waitcnt vmcnt(1)
	v_lshlrev_b32_e32 v40, 16, v40
	s_waitcnt vmcnt(0)
	v_lshlrev_b32_e32 v42, 16, v46
	s_or_b64 exec, exec, s[28:29]
	v_mov_b32_e32 v43, 0
	s_and_saveexec_b64 s[28:29], s[8:9]
	s_cbranch_execz .LBB32_18
.LBB32_23:                              ;   in Loop: Header=BB32_4 Depth=1
	v_mov_b32_e32 v44, s19
	v_add_co_u32_e64 v43, s[10:11], s18, v5
	v_addc_co_u32_e64 v44, s[10:11], v6, v44, s[10:11]
	global_load_ushort v43, v[43:44], off
	s_waitcnt vmcnt(0)
	v_lshlrev_b32_e32 v43, 16, v43
	s_or_b64 exec, exec, s[28:29]
	s_and_saveexec_b64 s[10:11], vcc
	s_cbranch_execz .LBB32_19
.LBB32_24:                              ;   in Loop: Header=BB32_4 Depth=1
	v_fma_f32 v44, v33, v35, v32
	v_mul_f32_e32 v33, v33, v35
	v_fmac_f32_e32 v32, s30, v33
	v_cndmask_b32_e64 v32, v32, v44, s[0:1]
	v_bfe_u32 v33, v32, 16, 1
	v_add3_u32 v33, v32, v33, s34
	v_cmp_o_f32_e32 vcc, v32, v32
	v_cndmask_b32_sdwa v35, v31, v33, vcc dst_sel:DWORD dst_unused:UNUSED_PAD src0_sel:DWORD src1_sel:WORD_1
	v_mov_b32_e32 v33, s19
	v_add_co_u32_e32 v32, vcc, s18, v13
	v_addc_co_u32_e32 v33, vcc, v14, v33, vcc
	global_store_short v[32:33], v35, off
	s_or_b64 exec, exec, s[10:11]
	s_and_saveexec_b64 s[10:11], s[2:3]
	s_cbranch_execz .LBB32_20
.LBB32_25:                              ;   in Loop: Header=BB32_4 Depth=1
	v_mul_f32_e32 v33, v34, v38
	v_fma_f32 v32, v34, v38, v36
	v_fmac_f32_e32 v36, s30, v33
	v_cndmask_b32_e64 v34, v36, v32, s[0:1]
	v_bfe_u32 v32, v34, 16, 1
	v_add3_u32 v35, v34, v32, s34
	v_mov_b32_e32 v33, s19
	v_add_co_u32_e32 v32, vcc, s18, v21
	v_addc_co_u32_e32 v33, vcc, v22, v33, vcc
	v_cmp_o_f32_e32 vcc, v34, v34
	v_cndmask_b32_sdwa v34, v31, v35, vcc dst_sel:DWORD dst_unused:UNUSED_PAD src0_sel:DWORD src1_sel:WORD_1
	global_store_short v[32:33], v34, off
	s_or_b64 exec, exec, s[10:11]
	s_and_saveexec_b64 s[2:3], s[6:7]
	s_cbranch_execz .LBB32_21
.LBB32_26:                              ;   in Loop: Header=BB32_4 Depth=1
	v_mul_f32_e32 v33, v37, v41
	v_fma_f32 v32, v37, v41, v39
	v_fmac_f32_e32 v39, s30, v33
	v_cndmask_b32_e64 v34, v39, v32, s[0:1]
	v_bfe_u32 v32, v34, 16, 1
	v_add3_u32 v35, v34, v32, s34
	v_mov_b32_e32 v33, s19
	v_add_co_u32_e32 v32, vcc, s18, v7
	v_addc_co_u32_e32 v33, vcc, v8, v33, vcc
	v_cmp_o_f32_e32 vcc, v34, v34
	v_cndmask_b32_sdwa v34, v31, v35, vcc dst_sel:DWORD dst_unused:UNUSED_PAD src0_sel:DWORD src1_sel:WORD_1
	global_store_short v[32:33], v34, off
	s_or_b64 exec, exec, s[2:3]
	s_and_saveexec_b64 s[2:3], s[8:9]
	s_cbranch_execz .LBB32_3
.LBB32_27:                              ;   in Loop: Header=BB32_4 Depth=1
	v_mul_f32_e32 v33, v40, v43
	v_fma_f32 v32, v40, v43, v42
	v_fmac_f32_e32 v42, s30, v33
	v_cndmask_b32_e64 v34, v42, v32, s[0:1]
	v_bfe_u32 v32, v34, 16, 1
	v_add3_u32 v35, v34, v32, s34
	v_mov_b32_e32 v33, s19
	v_add_co_u32_e32 v32, vcc, s18, v1
	v_addc_co_u32_e32 v33, vcc, v2, v33, vcc
	v_cmp_o_f32_e32 vcc, v34, v34
	v_cndmask_b32_sdwa v34, v31, v35, vcc dst_sel:DWORD dst_unused:UNUSED_PAD src0_sel:DWORD src1_sel:WORD_1
	global_store_short v[32:33], v34, off
	s_branch .LBB32_3
.LBB32_28:
	s_mov_b64 s[0:1], 0
.LBB32_29:
	s_andn2_b64 vcc, exec, s[0:1]
	s_cbranch_vccnz .LBB32_33
; %bb.30:
	v_mov_b32_e32 v1, 0x10000
	v_mov_b32_e32 v2, 0
	v_cmp_lt_i64_e32 vcc, s[20:21], v[1:2]
	v_mov_b32_e32 v2, 0
	s_and_b64 s[0:1], vcc, exec
	s_cselect_b32 s7, s21, 0
	s_cselect_b32 s6, s20, 0x10000
	v_lshlrev_b32_e32 v1, 2, v0
	v_cmp_gt_i64_e32 vcc, s[6:7], v[1:2]
	s_and_saveexec_b64 s[0:1], vcc
	s_cbranch_execz .LBB32_33
; %bb.31:
	s_load_dword s0, s[4:5], 0xc5c
	v_mov_b32_e32 v1, v2
	v_lshlrev_b32_e32 v2, 3, v0
	v_mov_b32_e32 v3, s19
	v_cmp_eq_f32_e64 vcc, s30, 1.0
	s_waitcnt lgkmcnt(0)
	s_and_b32 s10, s0, 0xffff
	v_add_co_u32_e64 v2, s[0:1], s18, v2
	v_addc_co_u32_e64 v3, s[0:1], 0, v3, s[0:1]
	s_lshl_b32 s11, s10, 3
	s_mov_b64 s[8:9], 0
	v_mov_b32_e32 v4, s13
	v_mov_b32_e32 v5, s15
	;; [unrolled: 1-line block ×3, first 2 shown]
	s_movk_i32 s13, 0x7fff
	v_mov_b32_e32 v7, 0x7fc0
	v_mov_b32_e32 v8, 0x7fc00000
.LBB32_32:                              ; =>This Inner Loop Header: Depth=1
	v_add_co_u32_e64 v9, s[0:1], s12, v2
	v_addc_co_u32_e64 v10, s[0:1], v4, v3, s[0:1]
	v_add_co_u32_e64 v11, s[0:1], s14, v2
	v_addc_co_u32_e64 v12, s[0:1], v5, v3, s[0:1]
	;; [unrolled: 2-line block ×3, first 2 shown]
	global_load_dwordx2 v[15:16], v[11:12], off
	global_load_dwordx2 v[17:18], v[13:14], off
	;; [unrolled: 1-line block ×3, first 2 shown]
	v_add_co_u32_e64 v0, s[0:1], s10, v0
	v_addc_co_u32_e64 v1, s[0:1], 0, v1, s[0:1]
	v_add_co_u32_e64 v2, s[0:1], s11, v2
	v_lshlrev_b64 v[11:12], 2, v[0:1]
	v_addc_co_u32_e64 v3, s[0:1], 0, v3, s[0:1]
	v_cmp_le_i64_e64 s[0:1], s[6:7], v[11:12]
	s_or_b64 s[8:9], s[0:1], s[8:9]
	s_waitcnt vmcnt(2)
	v_lshlrev_b32_e32 v12, 16, v15
	s_waitcnt vmcnt(1)
	v_lshlrev_b32_e32 v13, 16, v17
	;; [unrolled: 2-line block ×3, first 2 shown]
	v_and_b32_e32 v14, 0xffff0000, v19
	v_and_b32_e32 v21, 0xffff0000, v15
	;; [unrolled: 1-line block ×3, first 2 shown]
	v_alignbit_b32 v19, v20, v19, 16
	v_alignbit_b32 v15, v16, v15, 16
	;; [unrolled: 1-line block ×3, first 2 shown]
	v_and_b32_e32 v20, 0xffff0000, v20
	v_and_b32_e32 v16, 0xffff0000, v16
	;; [unrolled: 1-line block ×3, first 2 shown]
	v_fma_f32 v23, v12, v13, v11
	v_mul_f32_e32 v12, v12, v13
	v_fma_f32 v13, v21, v22, v14
	v_mul_f32_e32 v21, v21, v22
	v_and_b32_e32 v19, 0xffff0000, v19
	v_and_b32_e32 v15, 0xffff0000, v15
	;; [unrolled: 1-line block ×3, first 2 shown]
	v_fma_f32 v22, v16, v18, v20
	v_mul_f32_e32 v16, v16, v18
	v_fmac_f32_e32 v11, s30, v12
	v_fmac_f32_e32 v14, s30, v21
	v_fma_f32 v12, v15, v17, v19
	v_mul_f32_e32 v15, v15, v17
	v_fmac_f32_e32 v20, s30, v16
	v_cndmask_b32_e32 v11, v11, v23, vcc
	v_cndmask_b32_e32 v13, v14, v13, vcc
	v_fmac_f32_e32 v19, s30, v15
	v_cndmask_b32_e32 v14, v20, v22, vcc
	v_bfe_u32 v15, v11, 16, 1
	v_bfe_u32 v16, v13, 16, 1
	v_cndmask_b32_e32 v12, v19, v12, vcc
	v_bfe_u32 v17, v14, 16, 1
	v_add3_u32 v15, v11, v15, s13
	v_add3_u32 v16, v13, v16, s13
	v_bfe_u32 v18, v12, 16, 1
	v_add3_u32 v17, v14, v17, s13
	v_lshrrev_b32_e32 v15, 16, v15
	v_and_b32_e32 v16, 0xffff0000, v16
	v_cmp_o_f32_e64 s[0:1], v13, v13
	v_add3_u32 v13, v12, v18, s13
	v_cmp_o_f32_e64 s[4:5], v11, v11
	v_and_b32_e32 v17, 0xffff0000, v17
	v_cmp_o_f32_e64 s[2:3], v14, v14
	v_cndmask_b32_e64 v11, v7, v15, s[4:5]
	v_cndmask_b32_e64 v14, v8, v16, s[0:1]
	v_lshrrev_b32_e32 v13, 16, v13
	v_cmp_o_f32_e64 s[0:1], v12, v12
	v_cndmask_b32_e64 v15, v8, v17, s[2:3]
	v_cndmask_b32_e64 v12, v7, v13, s[0:1]
	v_or_b32_e32 v11, v11, v14
	v_or3_b32 v12, 0, v12, v15
	v_or3_b32 v11, v11, 0, 0
	global_store_dwordx2 v[9:10], v[11:12], off
	s_andn2_b64 exec, exec, s[8:9]
	s_cbranch_execnz .LBB32_32
.LBB32_33:
	s_endpgm
	.section	.rodata,"a",@progbits
	.p2align	6, 0x0
	.amdhsa_kernel _ZN2at6native12_GLOBAL__N_125multi_tensor_apply_kernelINS1_18TensorListMetadataILi3EEENS1_24PointwiseOpScalarFunctorIN3c108BFloat16ELi3ELi3ELi0EEEJSt10multipliesIfEfEEEvT_T0_DpT1_
		.amdhsa_group_segment_fixed_size 0
		.amdhsa_private_segment_fixed_size 0
		.amdhsa_kernarg_size 3408
		.amdhsa_user_sgpr_count 6
		.amdhsa_user_sgpr_private_segment_buffer 1
		.amdhsa_user_sgpr_dispatch_ptr 0
		.amdhsa_user_sgpr_queue_ptr 0
		.amdhsa_user_sgpr_kernarg_segment_ptr 1
		.amdhsa_user_sgpr_dispatch_id 0
		.amdhsa_user_sgpr_flat_scratch_init 0
		.amdhsa_user_sgpr_private_segment_size 0
		.amdhsa_uses_dynamic_stack 0
		.amdhsa_system_sgpr_private_segment_wavefront_offset 0
		.amdhsa_system_sgpr_workgroup_id_x 1
		.amdhsa_system_sgpr_workgroup_id_y 0
		.amdhsa_system_sgpr_workgroup_id_z 0
		.amdhsa_system_sgpr_workgroup_info 0
		.amdhsa_system_vgpr_workitem_id 0
		.amdhsa_next_free_vgpr 47
		.amdhsa_next_free_sgpr 35
		.amdhsa_reserve_vcc 1
		.amdhsa_reserve_flat_scratch 0
		.amdhsa_float_round_mode_32 0
		.amdhsa_float_round_mode_16_64 0
		.amdhsa_float_denorm_mode_32 3
		.amdhsa_float_denorm_mode_16_64 3
		.amdhsa_dx10_clamp 1
		.amdhsa_ieee_mode 1
		.amdhsa_fp16_overflow 0
		.amdhsa_exception_fp_ieee_invalid_op 0
		.amdhsa_exception_fp_denorm_src 0
		.amdhsa_exception_fp_ieee_div_zero 0
		.amdhsa_exception_fp_ieee_overflow 0
		.amdhsa_exception_fp_ieee_underflow 0
		.amdhsa_exception_fp_ieee_inexact 0
		.amdhsa_exception_int_div_zero 0
	.end_amdhsa_kernel
	.section	.text._ZN2at6native12_GLOBAL__N_125multi_tensor_apply_kernelINS1_18TensorListMetadataILi3EEENS1_24PointwiseOpScalarFunctorIN3c108BFloat16ELi3ELi3ELi0EEEJSt10multipliesIfEfEEEvT_T0_DpT1_,"axG",@progbits,_ZN2at6native12_GLOBAL__N_125multi_tensor_apply_kernelINS1_18TensorListMetadataILi3EEENS1_24PointwiseOpScalarFunctorIN3c108BFloat16ELi3ELi3ELi0EEEJSt10multipliesIfEfEEEvT_T0_DpT1_,comdat
.Lfunc_end32:
	.size	_ZN2at6native12_GLOBAL__N_125multi_tensor_apply_kernelINS1_18TensorListMetadataILi3EEENS1_24PointwiseOpScalarFunctorIN3c108BFloat16ELi3ELi3ELi0EEEJSt10multipliesIfEfEEEvT_T0_DpT1_, .Lfunc_end32-_ZN2at6native12_GLOBAL__N_125multi_tensor_apply_kernelINS1_18TensorListMetadataILi3EEENS1_24PointwiseOpScalarFunctorIN3c108BFloat16ELi3ELi3ELi0EEEJSt10multipliesIfEfEEEvT_T0_DpT1_
                                        ; -- End function
	.set _ZN2at6native12_GLOBAL__N_125multi_tensor_apply_kernelINS1_18TensorListMetadataILi3EEENS1_24PointwiseOpScalarFunctorIN3c108BFloat16ELi3ELi3ELi0EEEJSt10multipliesIfEfEEEvT_T0_DpT1_.num_vgpr, 47
	.set _ZN2at6native12_GLOBAL__N_125multi_tensor_apply_kernelINS1_18TensorListMetadataILi3EEENS1_24PointwiseOpScalarFunctorIN3c108BFloat16ELi3ELi3ELi0EEEJSt10multipliesIfEfEEEvT_T0_DpT1_.num_agpr, 0
	.set _ZN2at6native12_GLOBAL__N_125multi_tensor_apply_kernelINS1_18TensorListMetadataILi3EEENS1_24PointwiseOpScalarFunctorIN3c108BFloat16ELi3ELi3ELi0EEEJSt10multipliesIfEfEEEvT_T0_DpT1_.numbered_sgpr, 35
	.set _ZN2at6native12_GLOBAL__N_125multi_tensor_apply_kernelINS1_18TensorListMetadataILi3EEENS1_24PointwiseOpScalarFunctorIN3c108BFloat16ELi3ELi3ELi0EEEJSt10multipliesIfEfEEEvT_T0_DpT1_.num_named_barrier, 0
	.set _ZN2at6native12_GLOBAL__N_125multi_tensor_apply_kernelINS1_18TensorListMetadataILi3EEENS1_24PointwiseOpScalarFunctorIN3c108BFloat16ELi3ELi3ELi0EEEJSt10multipliesIfEfEEEvT_T0_DpT1_.private_seg_size, 0
	.set _ZN2at6native12_GLOBAL__N_125multi_tensor_apply_kernelINS1_18TensorListMetadataILi3EEENS1_24PointwiseOpScalarFunctorIN3c108BFloat16ELi3ELi3ELi0EEEJSt10multipliesIfEfEEEvT_T0_DpT1_.uses_vcc, 1
	.set _ZN2at6native12_GLOBAL__N_125multi_tensor_apply_kernelINS1_18TensorListMetadataILi3EEENS1_24PointwiseOpScalarFunctorIN3c108BFloat16ELi3ELi3ELi0EEEJSt10multipliesIfEfEEEvT_T0_DpT1_.uses_flat_scratch, 0
	.set _ZN2at6native12_GLOBAL__N_125multi_tensor_apply_kernelINS1_18TensorListMetadataILi3EEENS1_24PointwiseOpScalarFunctorIN3c108BFloat16ELi3ELi3ELi0EEEJSt10multipliesIfEfEEEvT_T0_DpT1_.has_dyn_sized_stack, 0
	.set _ZN2at6native12_GLOBAL__N_125multi_tensor_apply_kernelINS1_18TensorListMetadataILi3EEENS1_24PointwiseOpScalarFunctorIN3c108BFloat16ELi3ELi3ELi0EEEJSt10multipliesIfEfEEEvT_T0_DpT1_.has_recursion, 0
	.set _ZN2at6native12_GLOBAL__N_125multi_tensor_apply_kernelINS1_18TensorListMetadataILi3EEENS1_24PointwiseOpScalarFunctorIN3c108BFloat16ELi3ELi3ELi0EEEJSt10multipliesIfEfEEEvT_T0_DpT1_.has_indirect_call, 0
	.section	.AMDGPU.csdata,"",@progbits
; Kernel info:
; codeLenInByte = 2404
; TotalNumSgprs: 39
; NumVgprs: 47
; ScratchSize: 0
; MemoryBound: 0
; FloatMode: 240
; IeeeMode: 1
; LDSByteSize: 0 bytes/workgroup (compile time only)
; SGPRBlocks: 4
; VGPRBlocks: 11
; NumSGPRsForWavesPerEU: 39
; NumVGPRsForWavesPerEU: 47
; Occupancy: 5
; WaveLimiterHint : 0
; COMPUTE_PGM_RSRC2:SCRATCH_EN: 0
; COMPUTE_PGM_RSRC2:USER_SGPR: 6
; COMPUTE_PGM_RSRC2:TRAP_HANDLER: 0
; COMPUTE_PGM_RSRC2:TGID_X_EN: 1
; COMPUTE_PGM_RSRC2:TGID_Y_EN: 0
; COMPUTE_PGM_RSRC2:TGID_Z_EN: 0
; COMPUTE_PGM_RSRC2:TIDIG_COMP_CNT: 0
	.section	.text._ZN2at6native12_GLOBAL__N_125multi_tensor_apply_kernelINS1_18TensorListMetadataILi3EEENS1_32PointwiseOpScalar0dTensorFunctorIhLi3ELi2ELi0EEEJSt10multipliesIhEhEEEvT_T0_DpT1_,"axG",@progbits,_ZN2at6native12_GLOBAL__N_125multi_tensor_apply_kernelINS1_18TensorListMetadataILi3EEENS1_32PointwiseOpScalar0dTensorFunctorIhLi3ELi2ELi0EEEJSt10multipliesIhEhEEEvT_T0_DpT1_,comdat
	.globl	_ZN2at6native12_GLOBAL__N_125multi_tensor_apply_kernelINS1_18TensorListMetadataILi3EEENS1_32PointwiseOpScalar0dTensorFunctorIhLi3ELi2ELi0EEEJSt10multipliesIhEhEEEvT_T0_DpT1_ ; -- Begin function _ZN2at6native12_GLOBAL__N_125multi_tensor_apply_kernelINS1_18TensorListMetadataILi3EEENS1_32PointwiseOpScalar0dTensorFunctorIhLi3ELi2ELi0EEEJSt10multipliesIhEhEEEvT_T0_DpT1_
	.p2align	8
	.type	_ZN2at6native12_GLOBAL__N_125multi_tensor_apply_kernelINS1_18TensorListMetadataILi3EEENS1_32PointwiseOpScalar0dTensorFunctorIhLi3ELi2ELi0EEEJSt10multipliesIhEhEEEvT_T0_DpT1_,@function
_ZN2at6native12_GLOBAL__N_125multi_tensor_apply_kernelINS1_18TensorListMetadataILi3EEENS1_32PointwiseOpScalar0dTensorFunctorIhLi3ELi2ELi0EEEJSt10multipliesIhEhEEEvT_T0_DpT1_: ; @_ZN2at6native12_GLOBAL__N_125multi_tensor_apply_kernelINS1_18TensorListMetadataILi3EEENS1_32PointwiseOpScalar0dTensorFunctorIhLi3ELi2ELi0EEEJSt10multipliesIhEhEEEvT_T0_DpT1_
; %bb.0:
	v_mov_b32_e32 v1, s6
	global_load_ubyte v1, v1, s[4:5] offset:1536
	s_add_u32 s0, s4, s6
	s_addc_u32 s1, s5, 0
	s_mul_hi_u32 s2, s6, 3
	s_mul_i32 s6, s6, 3
	s_add_u32 s0, s0, s6
	s_addc_u32 s1, s1, s2
	s_load_dword s0, s[0:1], 0x740
	v_mov_b32_e32 v3, 0
	s_mov_b32 s15, 0
	s_waitcnt vmcnt(0)
	v_readfirstlane_b32 s1, v1
	s_lshl_b32 s1, s1, 3
	s_load_dwordx2 s[2:3], s[4:5], s1 offset:0x180
	s_load_dwordx2 s[6:7], s[4:5], s1 offset:0x300
	s_waitcnt lgkmcnt(0)
	global_load_ubyte v4, v3, s[2:3]
	s_load_dword s16, s[4:5], 0xc48
	s_load_dwordx2 s[8:9], s[4:5], s1 offset:0x0
	s_load_dwordx2 s[12:13], s[4:5], s1 offset:0x480
	s_ashr_i32 s1, s0, 31
	s_lshl_b64 s[10:11], s[0:1], 16
	s_waitcnt lgkmcnt(0)
	s_add_u32 s0, s8, s10
	s_addc_u32 s1, s9, s11
	s_add_u32 s2, s2, s10
	s_or_b32 s2, s6, s2
	s_and_b32 s2, s2, 3
	s_cmp_lg_u32 s2, 0
	s_cselect_b64 s[18:19], -1, 0
	s_sub_u32 s2, s12, s10
	s_subb_u32 s3, s13, s11
	s_or_b64 s[0:1], s[12:13], s[0:1]
	s_and_b32 s14, s0, 3
	s_cmp_lg_u64 s[14:15], 0
	s_cselect_b64 s[0:1], -1, 0
	s_or_b64 s[0:1], s[18:19], s[0:1]
	s_andn2_b64 vcc, exec, s[0:1]
	s_mov_b64 s[0:1], -1
	s_cbranch_vccz .LBB33_5
; %bb.1:
	v_mov_b32_e32 v1, 0x10000
	v_mov_b32_e32 v2, 0
	v_cmp_lt_i64_e32 vcc, s[2:3], v[1:2]
	v_lshlrev_b32_e32 v2, 2, v0
	s_and_b64 s[0:1], vcc, exec
	s_cselect_b32 s1, s3, 0
	s_cselect_b32 s0, s2, 0x10000
	v_cmp_gt_i64_e32 vcc, s[0:1], v[2:3]
	s_and_saveexec_b64 s[12:13], vcc
	s_cbranch_execz .LBB33_4
; %bb.2:
	s_load_dword s14, s[4:5], 0xc5c
	s_lshr_b32 s15, s16, 16
	v_mov_b32_e32 v1, v3
	s_waitcnt vmcnt(0)
	v_mul_lo_u32 v3, v4, s15
	v_mov_b32_e32 v6, s11
	s_waitcnt lgkmcnt(0)
	s_and_b32 s17, s14, 0xffff
	v_add_co_u32_e32 v5, vcc, s10, v2
	v_mov_b32_e32 v2, v1
	v_addc_co_u32_e32 v6, vcc, 0, v6, vcc
	s_lshl_b32 s18, s17, 2
	s_mov_b64 s[14:15], 0
	v_mov_b32_e32 v7, s9
	v_mov_b32_e32 v8, s7
	s_mov_b32 s19, 0x6050400
	v_mov_b32_e32 v1, v0
.LBB33_3:                               ; =>This Inner Loop Header: Depth=1
	v_add_co_u32_e32 v9, vcc, s8, v5
	v_addc_co_u32_e32 v10, vcc, v7, v6, vcc
	v_add_co_u32_e32 v11, vcc, s6, v5
	v_addc_co_u32_e32 v12, vcc, v8, v6, vcc
	global_load_dword v13, v[9:10], off
	global_load_dword v14, v[11:12], off
	v_add_co_u32_e32 v1, vcc, s17, v1
	v_addc_co_u32_e32 v2, vcc, 0, v2, vcc
	v_add_co_u32_e32 v5, vcc, s18, v5
	v_lshlrev_b64 v[11:12], 2, v[1:2]
	v_addc_co_u32_e32 v6, vcc, 0, v6, vcc
	v_cmp_le_i64_e32 vcc, s[0:1], v[11:12]
	s_or_b64 s[14:15], vcc, s[14:15]
	s_waitcnt vmcnt(1)
	v_lshrrev_b32_e32 v12, 8, v13
	s_waitcnt vmcnt(0)
	v_lshrrev_b32_e32 v15, 8, v14
	v_lshrrev_b32_e32 v16, 16, v13
	;; [unrolled: 1-line block ×3, first 2 shown]
	v_mad_legacy_u16 v11, v3, v14, v13
	v_lshrrev_b32_e32 v13, 24, v13
	v_lshrrev_b32_e32 v14, 24, v14
	v_mad_legacy_u16 v12, v3, v15, v12
	v_mad_legacy_u16 v15, v3, v17, v16
	;; [unrolled: 1-line block ×3, first 2 shown]
	v_and_b32_e32 v12, 0xff, v12
	v_and_b32_e32 v14, 0xff, v15
	v_lshlrev_b32_e32 v13, 24, v13
	v_perm_b32 v11, v12, v11, s19
	v_lshlrev_b32_e32 v12, 16, v14
	v_or3_b32 v11, v11, v12, v13
	global_store_dword v[9:10], v11, off
	s_andn2_b64 exec, exec, s[14:15]
	s_cbranch_execnz .LBB33_3
.LBB33_4:
	s_or_b64 exec, exec, s[12:13]
	s_mov_b64 s[0:1], 0
.LBB33_5:
	s_andn2_b64 vcc, exec, s[0:1]
	s_cbranch_vccnz .LBB33_25
; %bb.6:
	v_cmp_lt_i64_e64 s[0:1], s[2:3], 1
	s_and_b64 vcc, exec, s[0:1]
	s_cbranch_vccnz .LBB33_25
; %bb.7:
	v_mov_b32_e32 v1, 0x10000
	s_load_dword s4, s[4:5], 0xc5c
	v_mov_b32_e32 v2, 0
	v_cmp_lt_i64_e32 vcc, s[2:3], v[1:2]
	v_mov_b32_e32 v3, s9
	s_and_b64 s[0:1], vcc, exec
	v_cmp_lt_u64_e32 vcc, s[2:3], v[1:2]
	s_cselect_b32 s1, s3, 0
	s_cselect_b32 s0, s2, 0x10000
	s_lshr_b32 s5, s16, 16
	s_waitcnt lgkmcnt(0)
	s_and_b32 s13, s4, 0xffff
	s_waitcnt vmcnt(0)
	v_mul_lo_u32 v9, v4, s5
	s_and_b64 s[4:5], vcc, exec
	v_mov_b32_e32 v1, s11
	v_add_co_u32_e32 v2, vcc, s10, v0
	v_addc_co_u32_e32 v1, vcc, 0, v1, vcc
	v_add_co_u32_e32 v10, vcc, s8, v2
	s_cselect_b32 s3, s3, 0
	s_cselect_b32 s2, s2, 0x10000
	s_lshl_b32 s14, s13, 1
	s_mul_i32 s15, s13, 3
	s_lshl_b32 s12, s13, 2
	v_addc_co_u32_e32 v11, vcc, v3, v1, vcc
	v_mov_b32_e32 v3, s7
	v_add_co_u32_e32 v12, vcc, s6, v2
	s_add_u32 s4, s10, s15
	v_addc_co_u32_e32 v13, vcc, v3, v1, vcc
	s_addc_u32 s5, s11, 0
	v_mov_b32_e32 v3, s5
	v_add_co_u32_e32 v4, vcc, s4, v0
	v_addc_co_u32_e32 v3, vcc, 0, v3, vcc
	v_mov_b32_e32 v5, s9
	v_add_co_u32_e32 v14, vcc, s8, v4
	v_addc_co_u32_e32 v15, vcc, v5, v3, vcc
	v_mov_b32_e32 v5, s7
	v_add_co_u32_e32 v16, vcc, s6, v4
	s_add_u32 s4, s10, s14
	v_addc_co_u32_e32 v17, vcc, v5, v3, vcc
	s_addc_u32 s5, s11, 0
	v_mov_b32_e32 v3, s5
	v_add_co_u32_e32 v4, vcc, s4, v0
	v_addc_co_u32_e32 v3, vcc, 0, v3, vcc
	v_mov_b32_e32 v5, s9
	v_add_co_u32_e32 v18, vcc, s8, v4
	v_addc_co_u32_e32 v19, vcc, v5, v3, vcc
	;; [unrolled: 3-line block ×3, first 2 shown]
	v_add_co_u32_e32 v2, vcc, s13, v2
	v_addc_co_u32_e32 v1, vcc, 0, v1, vcc
	v_mov_b32_e32 v3, s9
	v_add_co_u32_e32 v22, vcc, s8, v2
	v_addc_co_u32_e32 v23, vcc, v3, v1, vcc
	v_mov_b32_e32 v3, s7
	v_add_co_u32_e32 v24, vcc, s6, v2
	v_addc_co_u32_e32 v25, vcc, v3, v1, vcc
	v_add_co_u32_e32 v26, vcc, s15, v0
	v_addc_co_u32_e64 v27, s[6:7], 0, 0, vcc
	v_add_co_u32_e32 v28, vcc, s14, v0
	v_addc_co_u32_e64 v29, s[6:7], 0, 0, vcc
	v_add_co_u32_e32 v30, vcc, s13, v0
	s_mov_b64 s[4:5], 0
	v_addc_co_u32_e64 v31, s[6:7], 0, 0, vcc
	s_branch .LBB33_9
.LBB33_8:                               ;   in Loop: Header=BB33_9 Depth=1
	s_or_b64 exec, exec, s[6:7]
	s_add_u32 s4, s4, s12
	v_mov_b32_e32 v2, s1
	s_addc_u32 s5, s5, 0
	v_mov_b32_e32 v1, s0
	v_cmp_ge_i64_e32 vcc, s[4:5], v[1:2]
	s_cbranch_vccnz .LBB33_25
.LBB33_9:                               ; =>This Inner Loop Header: Depth=1
	v_mov_b32_e32 v2, s5
	v_add_co_u32_e32 v1, vcc, s4, v0
	v_addc_co_u32_e32 v2, vcc, 0, v2, vcc
	v_cmp_gt_i64_e32 vcc, s[0:1], v[1:2]
	s_waitcnt vmcnt(0)
	v_mov_b32_e32 v32, 0
	v_mov_b32_e32 v33, 0
	s_and_saveexec_b64 s[6:7], vcc
	s_cbranch_execz .LBB33_11
; %bb.10:                               ;   in Loop: Header=BB33_9 Depth=1
	v_mov_b32_e32 v6, s5
	v_add_co_u32_e32 v3, vcc, s4, v10
	v_addc_co_u32_e32 v4, vcc, v11, v6, vcc
	v_add_co_u32_e32 v5, vcc, s4, v12
	v_addc_co_u32_e32 v6, vcc, v13, v6, vcc
	global_load_ubyte v33, v[3:4], off
	global_load_ubyte v32, v[5:6], off
.LBB33_11:                              ;   in Loop: Header=BB33_9 Depth=1
	s_or_b64 exec, exec, s[6:7]
	v_mov_b32_e32 v4, s5
	v_add_co_u32_e32 v3, vcc, s4, v30
	v_addc_co_u32_e32 v4, vcc, v31, v4, vcc
	v_cmp_gt_i64_e32 vcc, s[0:1], v[3:4]
	s_and_saveexec_b64 s[6:7], vcc
	s_cbranch_execz .LBB33_13
; %bb.12:                               ;   in Loop: Header=BB33_9 Depth=1
	v_mov_b32_e32 v8, s5
	v_add_co_u32_e32 v5, vcc, s4, v24
	v_addc_co_u32_e32 v6, vcc, v25, v8, vcc
	v_add_co_u32_e32 v7, vcc, s4, v22
	v_addc_co_u32_e32 v8, vcc, v23, v8, vcc
	global_load_ubyte v34, v[7:8], off
	global_load_ubyte v35, v[5:6], off
	s_waitcnt vmcnt(1)
	v_lshl_or_b32 v33, v34, 8, v33
	s_waitcnt vmcnt(0)
	v_lshl_or_b32 v32, v35, 8, v32
.LBB33_13:                              ;   in Loop: Header=BB33_9 Depth=1
	s_or_b64 exec, exec, s[6:7]
	v_mov_b32_e32 v6, s5
	v_add_co_u32_e32 v5, vcc, s4, v28
	v_addc_co_u32_e32 v6, vcc, v29, v6, vcc
	v_cmp_gt_i64_e32 vcc, s[0:1], v[5:6]
	s_and_saveexec_b64 s[6:7], vcc
	s_cbranch_execz .LBB33_15
; %bb.14:                               ;   in Loop: Header=BB33_9 Depth=1
	v_mov_b32_e32 v35, s5
	v_add_co_u32_e32 v7, vcc, s4, v20
	v_addc_co_u32_e32 v8, vcc, v21, v35, vcc
	v_add_co_u32_e32 v34, vcc, s4, v18
	v_addc_co_u32_e32 v35, vcc, v19, v35, vcc
	global_load_ubyte v36, v[34:35], off
	global_load_ubyte v37, v[7:8], off
	s_waitcnt vmcnt(1)
	v_lshl_or_b32 v33, v36, 16, v33
	s_waitcnt vmcnt(0)
	v_lshl_or_b32 v32, v37, 16, v32
.LBB33_15:                              ;   in Loop: Header=BB33_9 Depth=1
	s_or_b64 exec, exec, s[6:7]
	v_mov_b32_e32 v8, s5
	v_add_co_u32_e32 v7, vcc, s4, v26
	v_addc_co_u32_e32 v8, vcc, v27, v8, vcc
	v_cmp_gt_i64_e32 vcc, s[0:1], v[7:8]
	s_and_saveexec_b64 s[6:7], vcc
	s_cbranch_execnz .LBB33_20
; %bb.16:                               ;   in Loop: Header=BB33_9 Depth=1
	s_or_b64 exec, exec, s[6:7]
	v_cmp_gt_u64_e32 vcc, s[2:3], v[1:2]
	s_and_saveexec_b64 s[6:7], vcc
	s_cbranch_execnz .LBB33_21
.LBB33_17:                              ;   in Loop: Header=BB33_9 Depth=1
	s_or_b64 exec, exec, s[6:7]
	v_cmp_gt_u64_e32 vcc, s[2:3], v[3:4]
	s_and_saveexec_b64 s[6:7], vcc
	s_cbranch_execnz .LBB33_22
.LBB33_18:                              ;   in Loop: Header=BB33_9 Depth=1
	s_or_b64 exec, exec, s[6:7]
	v_cmp_gt_u64_e32 vcc, s[2:3], v[5:6]
	s_and_saveexec_b64 s[6:7], vcc
	s_cbranch_execnz .LBB33_23
.LBB33_19:                              ;   in Loop: Header=BB33_9 Depth=1
	s_or_b64 exec, exec, s[6:7]
	v_cmp_gt_u64_e32 vcc, s[2:3], v[7:8]
	s_and_saveexec_b64 s[6:7], vcc
	s_cbranch_execz .LBB33_8
	s_branch .LBB33_24
.LBB33_20:                              ;   in Loop: Header=BB33_9 Depth=1
	v_mov_b32_e32 v37, s5
	v_add_co_u32_e32 v34, vcc, s4, v16
	v_addc_co_u32_e32 v35, vcc, v17, v37, vcc
	v_add_co_u32_e32 v36, vcc, s4, v14
	v_addc_co_u32_e32 v37, vcc, v15, v37, vcc
	global_load_ubyte v38, v[36:37], off
	global_load_ubyte v39, v[34:35], off
	s_waitcnt vmcnt(1)
	v_lshl_or_b32 v33, v38, 24, v33
	s_waitcnt vmcnt(0)
	v_lshl_or_b32 v32, v39, 24, v32
	s_or_b64 exec, exec, s[6:7]
	v_cmp_gt_u64_e32 vcc, s[2:3], v[1:2]
	s_and_saveexec_b64 s[6:7], vcc
	s_cbranch_execz .LBB33_17
.LBB33_21:                              ;   in Loop: Header=BB33_9 Depth=1
	v_mov_b32_e32 v2, s5
	v_add_co_u32_e32 v1, vcc, s4, v10
	s_waitcnt vmcnt(0)
	v_mad_legacy_u16 v34, v9, v32, v33
	v_addc_co_u32_e32 v2, vcc, v11, v2, vcc
	global_store_byte v[1:2], v34, off
	s_or_b64 exec, exec, s[6:7]
	v_cmp_gt_u64_e32 vcc, s[2:3], v[3:4]
	s_and_saveexec_b64 s[6:7], vcc
	s_cbranch_execz .LBB33_18
.LBB33_22:                              ;   in Loop: Header=BB33_9 Depth=1
	s_waitcnt vmcnt(1)
	v_lshrrev_b32_e32 v1, 8, v33
	s_waitcnt vmcnt(0)
	v_lshrrev_b32_e32 v2, 8, v32
	v_mad_legacy_u16 v3, v9, v2, v1
	v_mov_b32_e32 v2, s5
	v_add_co_u32_e32 v1, vcc, s4, v22
	v_addc_co_u32_e32 v2, vcc, v23, v2, vcc
	global_store_byte v[1:2], v3, off
	s_or_b64 exec, exec, s[6:7]
	v_cmp_gt_u64_e32 vcc, s[2:3], v[5:6]
	s_and_saveexec_b64 s[6:7], vcc
	s_cbranch_execz .LBB33_19
.LBB33_23:                              ;   in Loop: Header=BB33_9 Depth=1
	s_waitcnt vmcnt(1)
	v_lshrrev_b32_e32 v1, 16, v33
	s_waitcnt vmcnt(0)
	v_lshrrev_b32_e32 v2, 16, v32
	v_mad_legacy_u16 v3, v9, v2, v1
	v_mov_b32_e32 v2, s5
	v_add_co_u32_e32 v1, vcc, s4, v18
	v_addc_co_u32_e32 v2, vcc, v19, v2, vcc
	global_store_byte v[1:2], v3, off
	s_or_b64 exec, exec, s[6:7]
	v_cmp_gt_u64_e32 vcc, s[2:3], v[7:8]
	s_and_saveexec_b64 s[6:7], vcc
	s_cbranch_execz .LBB33_8
.LBB33_24:                              ;   in Loop: Header=BB33_9 Depth=1
	s_waitcnt vmcnt(1)
	v_lshrrev_b32_e32 v1, 24, v33
	s_waitcnt vmcnt(0)
	v_lshrrev_b32_e32 v2, 24, v32
	v_mad_legacy_u16 v3, v9, v2, v1
	v_mov_b32_e32 v2, s5
	v_add_co_u32_e32 v1, vcc, s4, v14
	v_addc_co_u32_e32 v2, vcc, v15, v2, vcc
	global_store_byte v[1:2], v3, off
	s_branch .LBB33_8
.LBB33_25:
	s_endpgm
	.section	.rodata,"a",@progbits
	.p2align	6, 0x0
	.amdhsa_kernel _ZN2at6native12_GLOBAL__N_125multi_tensor_apply_kernelINS1_18TensorListMetadataILi3EEENS1_32PointwiseOpScalar0dTensorFunctorIhLi3ELi2ELi0EEEJSt10multipliesIhEhEEEvT_T0_DpT1_
		.amdhsa_group_segment_fixed_size 0
		.amdhsa_private_segment_fixed_size 0
		.amdhsa_kernarg_size 3408
		.amdhsa_user_sgpr_count 6
		.amdhsa_user_sgpr_private_segment_buffer 1
		.amdhsa_user_sgpr_dispatch_ptr 0
		.amdhsa_user_sgpr_queue_ptr 0
		.amdhsa_user_sgpr_kernarg_segment_ptr 1
		.amdhsa_user_sgpr_dispatch_id 0
		.amdhsa_user_sgpr_flat_scratch_init 0
		.amdhsa_user_sgpr_private_segment_size 0
		.amdhsa_uses_dynamic_stack 0
		.amdhsa_system_sgpr_private_segment_wavefront_offset 0
		.amdhsa_system_sgpr_workgroup_id_x 1
		.amdhsa_system_sgpr_workgroup_id_y 0
		.amdhsa_system_sgpr_workgroup_id_z 0
		.amdhsa_system_sgpr_workgroup_info 0
		.amdhsa_system_vgpr_workitem_id 0
		.amdhsa_next_free_vgpr 40
		.amdhsa_next_free_sgpr 20
		.amdhsa_reserve_vcc 1
		.amdhsa_reserve_flat_scratch 0
		.amdhsa_float_round_mode_32 0
		.amdhsa_float_round_mode_16_64 0
		.amdhsa_float_denorm_mode_32 3
		.amdhsa_float_denorm_mode_16_64 3
		.amdhsa_dx10_clamp 1
		.amdhsa_ieee_mode 1
		.amdhsa_fp16_overflow 0
		.amdhsa_exception_fp_ieee_invalid_op 0
		.amdhsa_exception_fp_denorm_src 0
		.amdhsa_exception_fp_ieee_div_zero 0
		.amdhsa_exception_fp_ieee_overflow 0
		.amdhsa_exception_fp_ieee_underflow 0
		.amdhsa_exception_fp_ieee_inexact 0
		.amdhsa_exception_int_div_zero 0
	.end_amdhsa_kernel
	.section	.text._ZN2at6native12_GLOBAL__N_125multi_tensor_apply_kernelINS1_18TensorListMetadataILi3EEENS1_32PointwiseOpScalar0dTensorFunctorIhLi3ELi2ELi0EEEJSt10multipliesIhEhEEEvT_T0_DpT1_,"axG",@progbits,_ZN2at6native12_GLOBAL__N_125multi_tensor_apply_kernelINS1_18TensorListMetadataILi3EEENS1_32PointwiseOpScalar0dTensorFunctorIhLi3ELi2ELi0EEEJSt10multipliesIhEhEEEvT_T0_DpT1_,comdat
.Lfunc_end33:
	.size	_ZN2at6native12_GLOBAL__N_125multi_tensor_apply_kernelINS1_18TensorListMetadataILi3EEENS1_32PointwiseOpScalar0dTensorFunctorIhLi3ELi2ELi0EEEJSt10multipliesIhEhEEEvT_T0_DpT1_, .Lfunc_end33-_ZN2at6native12_GLOBAL__N_125multi_tensor_apply_kernelINS1_18TensorListMetadataILi3EEENS1_32PointwiseOpScalar0dTensorFunctorIhLi3ELi2ELi0EEEJSt10multipliesIhEhEEEvT_T0_DpT1_
                                        ; -- End function
	.set _ZN2at6native12_GLOBAL__N_125multi_tensor_apply_kernelINS1_18TensorListMetadataILi3EEENS1_32PointwiseOpScalar0dTensorFunctorIhLi3ELi2ELi0EEEJSt10multipliesIhEhEEEvT_T0_DpT1_.num_vgpr, 40
	.set _ZN2at6native12_GLOBAL__N_125multi_tensor_apply_kernelINS1_18TensorListMetadataILi3EEENS1_32PointwiseOpScalar0dTensorFunctorIhLi3ELi2ELi0EEEJSt10multipliesIhEhEEEvT_T0_DpT1_.num_agpr, 0
	.set _ZN2at6native12_GLOBAL__N_125multi_tensor_apply_kernelINS1_18TensorListMetadataILi3EEENS1_32PointwiseOpScalar0dTensorFunctorIhLi3ELi2ELi0EEEJSt10multipliesIhEhEEEvT_T0_DpT1_.numbered_sgpr, 20
	.set _ZN2at6native12_GLOBAL__N_125multi_tensor_apply_kernelINS1_18TensorListMetadataILi3EEENS1_32PointwiseOpScalar0dTensorFunctorIhLi3ELi2ELi0EEEJSt10multipliesIhEhEEEvT_T0_DpT1_.num_named_barrier, 0
	.set _ZN2at6native12_GLOBAL__N_125multi_tensor_apply_kernelINS1_18TensorListMetadataILi3EEENS1_32PointwiseOpScalar0dTensorFunctorIhLi3ELi2ELi0EEEJSt10multipliesIhEhEEEvT_T0_DpT1_.private_seg_size, 0
	.set _ZN2at6native12_GLOBAL__N_125multi_tensor_apply_kernelINS1_18TensorListMetadataILi3EEENS1_32PointwiseOpScalar0dTensorFunctorIhLi3ELi2ELi0EEEJSt10multipliesIhEhEEEvT_T0_DpT1_.uses_vcc, 1
	.set _ZN2at6native12_GLOBAL__N_125multi_tensor_apply_kernelINS1_18TensorListMetadataILi3EEENS1_32PointwiseOpScalar0dTensorFunctorIhLi3ELi2ELi0EEEJSt10multipliesIhEhEEEvT_T0_DpT1_.uses_flat_scratch, 0
	.set _ZN2at6native12_GLOBAL__N_125multi_tensor_apply_kernelINS1_18TensorListMetadataILi3EEENS1_32PointwiseOpScalar0dTensorFunctorIhLi3ELi2ELi0EEEJSt10multipliesIhEhEEEvT_T0_DpT1_.has_dyn_sized_stack, 0
	.set _ZN2at6native12_GLOBAL__N_125multi_tensor_apply_kernelINS1_18TensorListMetadataILi3EEENS1_32PointwiseOpScalar0dTensorFunctorIhLi3ELi2ELi0EEEJSt10multipliesIhEhEEEvT_T0_DpT1_.has_recursion, 0
	.set _ZN2at6native12_GLOBAL__N_125multi_tensor_apply_kernelINS1_18TensorListMetadataILi3EEENS1_32PointwiseOpScalar0dTensorFunctorIhLi3ELi2ELi0EEEJSt10multipliesIhEhEEEvT_T0_DpT1_.has_indirect_call, 0
	.section	.AMDGPU.csdata,"",@progbits
; Kernel info:
; codeLenInByte = 1512
; TotalNumSgprs: 24
; NumVgprs: 40
; ScratchSize: 0
; MemoryBound: 0
; FloatMode: 240
; IeeeMode: 1
; LDSByteSize: 0 bytes/workgroup (compile time only)
; SGPRBlocks: 2
; VGPRBlocks: 9
; NumSGPRsForWavesPerEU: 24
; NumVGPRsForWavesPerEU: 40
; Occupancy: 6
; WaveLimiterHint : 0
; COMPUTE_PGM_RSRC2:SCRATCH_EN: 0
; COMPUTE_PGM_RSRC2:USER_SGPR: 6
; COMPUTE_PGM_RSRC2:TRAP_HANDLER: 0
; COMPUTE_PGM_RSRC2:TGID_X_EN: 1
; COMPUTE_PGM_RSRC2:TGID_Y_EN: 0
; COMPUTE_PGM_RSRC2:TGID_Z_EN: 0
; COMPUTE_PGM_RSRC2:TIDIG_COMP_CNT: 0
	.section	.text._ZN2at6native12_GLOBAL__N_125multi_tensor_apply_kernelINS1_18TensorListMetadataILi3EEENS1_32PointwiseOpScalar0dTensorFunctorIaLi3ELi2ELi0EEEJSt10multipliesIaEaEEEvT_T0_DpT1_,"axG",@progbits,_ZN2at6native12_GLOBAL__N_125multi_tensor_apply_kernelINS1_18TensorListMetadataILi3EEENS1_32PointwiseOpScalar0dTensorFunctorIaLi3ELi2ELi0EEEJSt10multipliesIaEaEEEvT_T0_DpT1_,comdat
	.globl	_ZN2at6native12_GLOBAL__N_125multi_tensor_apply_kernelINS1_18TensorListMetadataILi3EEENS1_32PointwiseOpScalar0dTensorFunctorIaLi3ELi2ELi0EEEJSt10multipliesIaEaEEEvT_T0_DpT1_ ; -- Begin function _ZN2at6native12_GLOBAL__N_125multi_tensor_apply_kernelINS1_18TensorListMetadataILi3EEENS1_32PointwiseOpScalar0dTensorFunctorIaLi3ELi2ELi0EEEJSt10multipliesIaEaEEEvT_T0_DpT1_
	.p2align	8
	.type	_ZN2at6native12_GLOBAL__N_125multi_tensor_apply_kernelINS1_18TensorListMetadataILi3EEENS1_32PointwiseOpScalar0dTensorFunctorIaLi3ELi2ELi0EEEJSt10multipliesIaEaEEEvT_T0_DpT1_,@function
_ZN2at6native12_GLOBAL__N_125multi_tensor_apply_kernelINS1_18TensorListMetadataILi3EEENS1_32PointwiseOpScalar0dTensorFunctorIaLi3ELi2ELi0EEEJSt10multipliesIaEaEEEvT_T0_DpT1_: ; @_ZN2at6native12_GLOBAL__N_125multi_tensor_apply_kernelINS1_18TensorListMetadataILi3EEENS1_32PointwiseOpScalar0dTensorFunctorIaLi3ELi2ELi0EEEJSt10multipliesIaEaEEEvT_T0_DpT1_
; %bb.0:
	v_mov_b32_e32 v1, s6
	global_load_ubyte v1, v1, s[4:5] offset:1536
	s_add_u32 s0, s4, s6
	s_addc_u32 s1, s5, 0
	s_mul_hi_u32 s2, s6, 3
	s_mul_i32 s6, s6, 3
	s_add_u32 s0, s0, s6
	s_addc_u32 s1, s1, s2
	s_load_dword s0, s[0:1], 0x740
	v_mov_b32_e32 v3, 0
	s_mov_b32 s15, 0
	s_waitcnt vmcnt(0)
	v_readfirstlane_b32 s1, v1
	s_lshl_b32 s1, s1, 3
	s_load_dwordx2 s[2:3], s[4:5], s1 offset:0x180
	s_load_dwordx2 s[6:7], s[4:5], s1 offset:0x300
	s_waitcnt lgkmcnt(0)
	global_load_ubyte v4, v3, s[2:3]
	s_load_dword s16, s[4:5], 0xc48
	s_load_dwordx2 s[8:9], s[4:5], s1 offset:0x0
	s_load_dwordx2 s[12:13], s[4:5], s1 offset:0x480
	s_ashr_i32 s1, s0, 31
	s_lshl_b64 s[10:11], s[0:1], 16
	s_waitcnt lgkmcnt(0)
	s_add_u32 s0, s8, s10
	s_addc_u32 s1, s9, s11
	s_add_u32 s2, s2, s10
	s_or_b32 s2, s6, s2
	s_and_b32 s2, s2, 3
	s_cmp_lg_u32 s2, 0
	s_cselect_b64 s[18:19], -1, 0
	s_sub_u32 s2, s12, s10
	s_subb_u32 s3, s13, s11
	s_or_b64 s[0:1], s[12:13], s[0:1]
	s_and_b32 s14, s0, 3
	s_cmp_lg_u64 s[14:15], 0
	s_cselect_b64 s[0:1], -1, 0
	s_or_b64 s[0:1], s[18:19], s[0:1]
	s_andn2_b64 vcc, exec, s[0:1]
	s_mov_b64 s[0:1], -1
	s_cbranch_vccz .LBB34_5
; %bb.1:
	v_mov_b32_e32 v1, 0x10000
	v_mov_b32_e32 v2, 0
	v_cmp_lt_i64_e32 vcc, s[2:3], v[1:2]
	v_lshlrev_b32_e32 v2, 2, v0
	s_and_b64 s[0:1], vcc, exec
	s_cselect_b32 s1, s3, 0
	s_cselect_b32 s0, s2, 0x10000
	v_cmp_gt_i64_e32 vcc, s[0:1], v[2:3]
	s_and_saveexec_b64 s[12:13], vcc
	s_cbranch_execz .LBB34_4
; %bb.2:
	s_load_dword s14, s[4:5], 0xc5c
	s_lshr_b32 s15, s16, 16
	v_mov_b32_e32 v1, v3
	s_waitcnt vmcnt(0)
	v_mul_lo_u32 v3, v4, s15
	v_mov_b32_e32 v6, s11
	s_waitcnt lgkmcnt(0)
	s_and_b32 s17, s14, 0xffff
	v_add_co_u32_e32 v5, vcc, s10, v2
	v_mov_b32_e32 v2, v1
	v_addc_co_u32_e32 v6, vcc, 0, v6, vcc
	s_lshl_b32 s18, s17, 2
	s_mov_b64 s[14:15], 0
	v_mov_b32_e32 v7, s9
	v_mov_b32_e32 v8, s7
	s_mov_b32 s19, 0x6050400
	v_mov_b32_e32 v1, v0
.LBB34_3:                               ; =>This Inner Loop Header: Depth=1
	v_add_co_u32_e32 v9, vcc, s8, v5
	v_addc_co_u32_e32 v10, vcc, v7, v6, vcc
	v_add_co_u32_e32 v11, vcc, s6, v5
	v_addc_co_u32_e32 v12, vcc, v8, v6, vcc
	global_load_dword v13, v[9:10], off
	global_load_dword v14, v[11:12], off
	v_add_co_u32_e32 v1, vcc, s17, v1
	v_addc_co_u32_e32 v2, vcc, 0, v2, vcc
	v_add_co_u32_e32 v5, vcc, s18, v5
	v_lshlrev_b64 v[11:12], 2, v[1:2]
	v_addc_co_u32_e32 v6, vcc, 0, v6, vcc
	v_cmp_le_i64_e32 vcc, s[0:1], v[11:12]
	s_or_b64 s[14:15], vcc, s[14:15]
	s_waitcnt vmcnt(1)
	v_lshrrev_b32_e32 v12, 8, v13
	s_waitcnt vmcnt(0)
	v_lshrrev_b32_e32 v15, 8, v14
	v_lshrrev_b32_e32 v16, 16, v13
	;; [unrolled: 1-line block ×3, first 2 shown]
	v_mad_legacy_u16 v11, v3, v14, v13
	v_lshrrev_b32_e32 v13, 24, v13
	v_lshrrev_b32_e32 v14, 24, v14
	v_mad_legacy_u16 v12, v3, v15, v12
	v_mad_legacy_u16 v15, v3, v17, v16
	;; [unrolled: 1-line block ×3, first 2 shown]
	v_and_b32_e32 v12, 0xff, v12
	v_and_b32_e32 v14, 0xff, v15
	v_lshlrev_b32_e32 v13, 24, v13
	v_perm_b32 v11, v12, v11, s19
	v_lshlrev_b32_e32 v12, 16, v14
	v_or3_b32 v11, v11, v12, v13
	global_store_dword v[9:10], v11, off
	s_andn2_b64 exec, exec, s[14:15]
	s_cbranch_execnz .LBB34_3
.LBB34_4:
	s_or_b64 exec, exec, s[12:13]
	s_mov_b64 s[0:1], 0
.LBB34_5:
	s_andn2_b64 vcc, exec, s[0:1]
	s_cbranch_vccnz .LBB34_25
; %bb.6:
	v_cmp_lt_i64_e64 s[0:1], s[2:3], 1
	s_and_b64 vcc, exec, s[0:1]
	s_cbranch_vccnz .LBB34_25
; %bb.7:
	v_mov_b32_e32 v1, 0x10000
	s_load_dword s4, s[4:5], 0xc5c
	v_mov_b32_e32 v2, 0
	v_cmp_lt_i64_e32 vcc, s[2:3], v[1:2]
	v_mov_b32_e32 v3, s9
	s_and_b64 s[0:1], vcc, exec
	v_cmp_lt_u64_e32 vcc, s[2:3], v[1:2]
	s_cselect_b32 s1, s3, 0
	s_cselect_b32 s0, s2, 0x10000
	s_lshr_b32 s5, s16, 16
	s_waitcnt lgkmcnt(0)
	s_and_b32 s13, s4, 0xffff
	s_waitcnt vmcnt(0)
	v_mul_lo_u32 v9, v4, s5
	s_and_b64 s[4:5], vcc, exec
	v_mov_b32_e32 v1, s11
	v_add_co_u32_e32 v2, vcc, s10, v0
	v_addc_co_u32_e32 v1, vcc, 0, v1, vcc
	v_add_co_u32_e32 v10, vcc, s8, v2
	s_cselect_b32 s3, s3, 0
	s_cselect_b32 s2, s2, 0x10000
	s_lshl_b32 s14, s13, 1
	s_mul_i32 s15, s13, 3
	s_lshl_b32 s12, s13, 2
	v_addc_co_u32_e32 v11, vcc, v3, v1, vcc
	v_mov_b32_e32 v3, s7
	v_add_co_u32_e32 v12, vcc, s6, v2
	s_add_u32 s4, s10, s15
	v_addc_co_u32_e32 v13, vcc, v3, v1, vcc
	s_addc_u32 s5, s11, 0
	v_mov_b32_e32 v3, s5
	v_add_co_u32_e32 v4, vcc, s4, v0
	v_addc_co_u32_e32 v3, vcc, 0, v3, vcc
	v_mov_b32_e32 v5, s9
	v_add_co_u32_e32 v14, vcc, s8, v4
	v_addc_co_u32_e32 v15, vcc, v5, v3, vcc
	v_mov_b32_e32 v5, s7
	v_add_co_u32_e32 v16, vcc, s6, v4
	s_add_u32 s4, s10, s14
	v_addc_co_u32_e32 v17, vcc, v5, v3, vcc
	s_addc_u32 s5, s11, 0
	v_mov_b32_e32 v3, s5
	v_add_co_u32_e32 v4, vcc, s4, v0
	v_addc_co_u32_e32 v3, vcc, 0, v3, vcc
	v_mov_b32_e32 v5, s9
	v_add_co_u32_e32 v18, vcc, s8, v4
	v_addc_co_u32_e32 v19, vcc, v5, v3, vcc
	;; [unrolled: 3-line block ×3, first 2 shown]
	v_add_co_u32_e32 v2, vcc, s13, v2
	v_addc_co_u32_e32 v1, vcc, 0, v1, vcc
	v_mov_b32_e32 v3, s9
	v_add_co_u32_e32 v22, vcc, s8, v2
	v_addc_co_u32_e32 v23, vcc, v3, v1, vcc
	v_mov_b32_e32 v3, s7
	v_add_co_u32_e32 v24, vcc, s6, v2
	v_addc_co_u32_e32 v25, vcc, v3, v1, vcc
	v_add_co_u32_e32 v26, vcc, s15, v0
	v_addc_co_u32_e64 v27, s[6:7], 0, 0, vcc
	v_add_co_u32_e32 v28, vcc, s14, v0
	v_addc_co_u32_e64 v29, s[6:7], 0, 0, vcc
	v_add_co_u32_e32 v30, vcc, s13, v0
	s_mov_b64 s[4:5], 0
	v_addc_co_u32_e64 v31, s[6:7], 0, 0, vcc
	s_branch .LBB34_9
.LBB34_8:                               ;   in Loop: Header=BB34_9 Depth=1
	s_or_b64 exec, exec, s[6:7]
	s_add_u32 s4, s4, s12
	v_mov_b32_e32 v2, s1
	s_addc_u32 s5, s5, 0
	v_mov_b32_e32 v1, s0
	v_cmp_ge_i64_e32 vcc, s[4:5], v[1:2]
	s_cbranch_vccnz .LBB34_25
.LBB34_9:                               ; =>This Inner Loop Header: Depth=1
	v_mov_b32_e32 v2, s5
	v_add_co_u32_e32 v1, vcc, s4, v0
	v_addc_co_u32_e32 v2, vcc, 0, v2, vcc
	v_cmp_gt_i64_e32 vcc, s[0:1], v[1:2]
	s_waitcnt vmcnt(0)
	v_mov_b32_e32 v32, 0
	v_mov_b32_e32 v33, 0
	s_and_saveexec_b64 s[6:7], vcc
	s_cbranch_execz .LBB34_11
; %bb.10:                               ;   in Loop: Header=BB34_9 Depth=1
	v_mov_b32_e32 v6, s5
	v_add_co_u32_e32 v3, vcc, s4, v10
	v_addc_co_u32_e32 v4, vcc, v11, v6, vcc
	v_add_co_u32_e32 v5, vcc, s4, v12
	v_addc_co_u32_e32 v6, vcc, v13, v6, vcc
	global_load_ubyte v33, v[3:4], off
	global_load_ubyte v32, v[5:6], off
.LBB34_11:                              ;   in Loop: Header=BB34_9 Depth=1
	s_or_b64 exec, exec, s[6:7]
	v_mov_b32_e32 v4, s5
	v_add_co_u32_e32 v3, vcc, s4, v30
	v_addc_co_u32_e32 v4, vcc, v31, v4, vcc
	v_cmp_gt_i64_e32 vcc, s[0:1], v[3:4]
	s_and_saveexec_b64 s[6:7], vcc
	s_cbranch_execz .LBB34_13
; %bb.12:                               ;   in Loop: Header=BB34_9 Depth=1
	v_mov_b32_e32 v8, s5
	v_add_co_u32_e32 v5, vcc, s4, v24
	v_addc_co_u32_e32 v6, vcc, v25, v8, vcc
	v_add_co_u32_e32 v7, vcc, s4, v22
	v_addc_co_u32_e32 v8, vcc, v23, v8, vcc
	global_load_ubyte v34, v[7:8], off
	global_load_ubyte v35, v[5:6], off
	s_waitcnt vmcnt(1)
	v_lshl_or_b32 v33, v34, 8, v33
	s_waitcnt vmcnt(0)
	v_lshl_or_b32 v32, v35, 8, v32
.LBB34_13:                              ;   in Loop: Header=BB34_9 Depth=1
	s_or_b64 exec, exec, s[6:7]
	v_mov_b32_e32 v6, s5
	v_add_co_u32_e32 v5, vcc, s4, v28
	v_addc_co_u32_e32 v6, vcc, v29, v6, vcc
	v_cmp_gt_i64_e32 vcc, s[0:1], v[5:6]
	s_and_saveexec_b64 s[6:7], vcc
	s_cbranch_execz .LBB34_15
; %bb.14:                               ;   in Loop: Header=BB34_9 Depth=1
	v_mov_b32_e32 v35, s5
	v_add_co_u32_e32 v7, vcc, s4, v20
	v_addc_co_u32_e32 v8, vcc, v21, v35, vcc
	v_add_co_u32_e32 v34, vcc, s4, v18
	v_addc_co_u32_e32 v35, vcc, v19, v35, vcc
	global_load_ubyte v36, v[34:35], off
	global_load_ubyte v37, v[7:8], off
	s_waitcnt vmcnt(1)
	v_lshl_or_b32 v33, v36, 16, v33
	s_waitcnt vmcnt(0)
	v_lshl_or_b32 v32, v37, 16, v32
.LBB34_15:                              ;   in Loop: Header=BB34_9 Depth=1
	s_or_b64 exec, exec, s[6:7]
	v_mov_b32_e32 v8, s5
	v_add_co_u32_e32 v7, vcc, s4, v26
	v_addc_co_u32_e32 v8, vcc, v27, v8, vcc
	v_cmp_gt_i64_e32 vcc, s[0:1], v[7:8]
	s_and_saveexec_b64 s[6:7], vcc
	s_cbranch_execnz .LBB34_20
; %bb.16:                               ;   in Loop: Header=BB34_9 Depth=1
	s_or_b64 exec, exec, s[6:7]
	v_cmp_gt_u64_e32 vcc, s[2:3], v[1:2]
	s_and_saveexec_b64 s[6:7], vcc
	s_cbranch_execnz .LBB34_21
.LBB34_17:                              ;   in Loop: Header=BB34_9 Depth=1
	s_or_b64 exec, exec, s[6:7]
	v_cmp_gt_u64_e32 vcc, s[2:3], v[3:4]
	s_and_saveexec_b64 s[6:7], vcc
	s_cbranch_execnz .LBB34_22
.LBB34_18:                              ;   in Loop: Header=BB34_9 Depth=1
	s_or_b64 exec, exec, s[6:7]
	v_cmp_gt_u64_e32 vcc, s[2:3], v[5:6]
	s_and_saveexec_b64 s[6:7], vcc
	s_cbranch_execnz .LBB34_23
.LBB34_19:                              ;   in Loop: Header=BB34_9 Depth=1
	s_or_b64 exec, exec, s[6:7]
	v_cmp_gt_u64_e32 vcc, s[2:3], v[7:8]
	s_and_saveexec_b64 s[6:7], vcc
	s_cbranch_execz .LBB34_8
	s_branch .LBB34_24
.LBB34_20:                              ;   in Loop: Header=BB34_9 Depth=1
	v_mov_b32_e32 v37, s5
	v_add_co_u32_e32 v34, vcc, s4, v16
	v_addc_co_u32_e32 v35, vcc, v17, v37, vcc
	v_add_co_u32_e32 v36, vcc, s4, v14
	v_addc_co_u32_e32 v37, vcc, v15, v37, vcc
	global_load_ubyte v38, v[36:37], off
	global_load_ubyte v39, v[34:35], off
	s_waitcnt vmcnt(1)
	v_lshl_or_b32 v33, v38, 24, v33
	s_waitcnt vmcnt(0)
	v_lshl_or_b32 v32, v39, 24, v32
	s_or_b64 exec, exec, s[6:7]
	v_cmp_gt_u64_e32 vcc, s[2:3], v[1:2]
	s_and_saveexec_b64 s[6:7], vcc
	s_cbranch_execz .LBB34_17
.LBB34_21:                              ;   in Loop: Header=BB34_9 Depth=1
	v_mov_b32_e32 v2, s5
	v_add_co_u32_e32 v1, vcc, s4, v10
	s_waitcnt vmcnt(0)
	v_mad_legacy_u16 v34, v9, v32, v33
	v_addc_co_u32_e32 v2, vcc, v11, v2, vcc
	global_store_byte v[1:2], v34, off
	s_or_b64 exec, exec, s[6:7]
	v_cmp_gt_u64_e32 vcc, s[2:3], v[3:4]
	s_and_saveexec_b64 s[6:7], vcc
	s_cbranch_execz .LBB34_18
.LBB34_22:                              ;   in Loop: Header=BB34_9 Depth=1
	s_waitcnt vmcnt(1)
	v_lshrrev_b32_e32 v1, 8, v33
	s_waitcnt vmcnt(0)
	v_lshrrev_b32_e32 v2, 8, v32
	v_mad_legacy_u16 v3, v9, v2, v1
	v_mov_b32_e32 v2, s5
	v_add_co_u32_e32 v1, vcc, s4, v22
	v_addc_co_u32_e32 v2, vcc, v23, v2, vcc
	global_store_byte v[1:2], v3, off
	s_or_b64 exec, exec, s[6:7]
	v_cmp_gt_u64_e32 vcc, s[2:3], v[5:6]
	s_and_saveexec_b64 s[6:7], vcc
	s_cbranch_execz .LBB34_19
.LBB34_23:                              ;   in Loop: Header=BB34_9 Depth=1
	s_waitcnt vmcnt(1)
	v_lshrrev_b32_e32 v1, 16, v33
	s_waitcnt vmcnt(0)
	v_lshrrev_b32_e32 v2, 16, v32
	v_mad_legacy_u16 v3, v9, v2, v1
	v_mov_b32_e32 v2, s5
	v_add_co_u32_e32 v1, vcc, s4, v18
	v_addc_co_u32_e32 v2, vcc, v19, v2, vcc
	global_store_byte v[1:2], v3, off
	s_or_b64 exec, exec, s[6:7]
	v_cmp_gt_u64_e32 vcc, s[2:3], v[7:8]
	s_and_saveexec_b64 s[6:7], vcc
	s_cbranch_execz .LBB34_8
.LBB34_24:                              ;   in Loop: Header=BB34_9 Depth=1
	s_waitcnt vmcnt(1)
	v_lshrrev_b32_e32 v1, 24, v33
	s_waitcnt vmcnt(0)
	v_lshrrev_b32_e32 v2, 24, v32
	v_mad_legacy_u16 v3, v9, v2, v1
	v_mov_b32_e32 v2, s5
	v_add_co_u32_e32 v1, vcc, s4, v14
	v_addc_co_u32_e32 v2, vcc, v15, v2, vcc
	global_store_byte v[1:2], v3, off
	s_branch .LBB34_8
.LBB34_25:
	s_endpgm
	.section	.rodata,"a",@progbits
	.p2align	6, 0x0
	.amdhsa_kernel _ZN2at6native12_GLOBAL__N_125multi_tensor_apply_kernelINS1_18TensorListMetadataILi3EEENS1_32PointwiseOpScalar0dTensorFunctorIaLi3ELi2ELi0EEEJSt10multipliesIaEaEEEvT_T0_DpT1_
		.amdhsa_group_segment_fixed_size 0
		.amdhsa_private_segment_fixed_size 0
		.amdhsa_kernarg_size 3408
		.amdhsa_user_sgpr_count 6
		.amdhsa_user_sgpr_private_segment_buffer 1
		.amdhsa_user_sgpr_dispatch_ptr 0
		.amdhsa_user_sgpr_queue_ptr 0
		.amdhsa_user_sgpr_kernarg_segment_ptr 1
		.amdhsa_user_sgpr_dispatch_id 0
		.amdhsa_user_sgpr_flat_scratch_init 0
		.amdhsa_user_sgpr_private_segment_size 0
		.amdhsa_uses_dynamic_stack 0
		.amdhsa_system_sgpr_private_segment_wavefront_offset 0
		.amdhsa_system_sgpr_workgroup_id_x 1
		.amdhsa_system_sgpr_workgroup_id_y 0
		.amdhsa_system_sgpr_workgroup_id_z 0
		.amdhsa_system_sgpr_workgroup_info 0
		.amdhsa_system_vgpr_workitem_id 0
		.amdhsa_next_free_vgpr 40
		.amdhsa_next_free_sgpr 20
		.amdhsa_reserve_vcc 1
		.amdhsa_reserve_flat_scratch 0
		.amdhsa_float_round_mode_32 0
		.amdhsa_float_round_mode_16_64 0
		.amdhsa_float_denorm_mode_32 3
		.amdhsa_float_denorm_mode_16_64 3
		.amdhsa_dx10_clamp 1
		.amdhsa_ieee_mode 1
		.amdhsa_fp16_overflow 0
		.amdhsa_exception_fp_ieee_invalid_op 0
		.amdhsa_exception_fp_denorm_src 0
		.amdhsa_exception_fp_ieee_div_zero 0
		.amdhsa_exception_fp_ieee_overflow 0
		.amdhsa_exception_fp_ieee_underflow 0
		.amdhsa_exception_fp_ieee_inexact 0
		.amdhsa_exception_int_div_zero 0
	.end_amdhsa_kernel
	.section	.text._ZN2at6native12_GLOBAL__N_125multi_tensor_apply_kernelINS1_18TensorListMetadataILi3EEENS1_32PointwiseOpScalar0dTensorFunctorIaLi3ELi2ELi0EEEJSt10multipliesIaEaEEEvT_T0_DpT1_,"axG",@progbits,_ZN2at6native12_GLOBAL__N_125multi_tensor_apply_kernelINS1_18TensorListMetadataILi3EEENS1_32PointwiseOpScalar0dTensorFunctorIaLi3ELi2ELi0EEEJSt10multipliesIaEaEEEvT_T0_DpT1_,comdat
.Lfunc_end34:
	.size	_ZN2at6native12_GLOBAL__N_125multi_tensor_apply_kernelINS1_18TensorListMetadataILi3EEENS1_32PointwiseOpScalar0dTensorFunctorIaLi3ELi2ELi0EEEJSt10multipliesIaEaEEEvT_T0_DpT1_, .Lfunc_end34-_ZN2at6native12_GLOBAL__N_125multi_tensor_apply_kernelINS1_18TensorListMetadataILi3EEENS1_32PointwiseOpScalar0dTensorFunctorIaLi3ELi2ELi0EEEJSt10multipliesIaEaEEEvT_T0_DpT1_
                                        ; -- End function
	.set _ZN2at6native12_GLOBAL__N_125multi_tensor_apply_kernelINS1_18TensorListMetadataILi3EEENS1_32PointwiseOpScalar0dTensorFunctorIaLi3ELi2ELi0EEEJSt10multipliesIaEaEEEvT_T0_DpT1_.num_vgpr, 40
	.set _ZN2at6native12_GLOBAL__N_125multi_tensor_apply_kernelINS1_18TensorListMetadataILi3EEENS1_32PointwiseOpScalar0dTensorFunctorIaLi3ELi2ELi0EEEJSt10multipliesIaEaEEEvT_T0_DpT1_.num_agpr, 0
	.set _ZN2at6native12_GLOBAL__N_125multi_tensor_apply_kernelINS1_18TensorListMetadataILi3EEENS1_32PointwiseOpScalar0dTensorFunctorIaLi3ELi2ELi0EEEJSt10multipliesIaEaEEEvT_T0_DpT1_.numbered_sgpr, 20
	.set _ZN2at6native12_GLOBAL__N_125multi_tensor_apply_kernelINS1_18TensorListMetadataILi3EEENS1_32PointwiseOpScalar0dTensorFunctorIaLi3ELi2ELi0EEEJSt10multipliesIaEaEEEvT_T0_DpT1_.num_named_barrier, 0
	.set _ZN2at6native12_GLOBAL__N_125multi_tensor_apply_kernelINS1_18TensorListMetadataILi3EEENS1_32PointwiseOpScalar0dTensorFunctorIaLi3ELi2ELi0EEEJSt10multipliesIaEaEEEvT_T0_DpT1_.private_seg_size, 0
	.set _ZN2at6native12_GLOBAL__N_125multi_tensor_apply_kernelINS1_18TensorListMetadataILi3EEENS1_32PointwiseOpScalar0dTensorFunctorIaLi3ELi2ELi0EEEJSt10multipliesIaEaEEEvT_T0_DpT1_.uses_vcc, 1
	.set _ZN2at6native12_GLOBAL__N_125multi_tensor_apply_kernelINS1_18TensorListMetadataILi3EEENS1_32PointwiseOpScalar0dTensorFunctorIaLi3ELi2ELi0EEEJSt10multipliesIaEaEEEvT_T0_DpT1_.uses_flat_scratch, 0
	.set _ZN2at6native12_GLOBAL__N_125multi_tensor_apply_kernelINS1_18TensorListMetadataILi3EEENS1_32PointwiseOpScalar0dTensorFunctorIaLi3ELi2ELi0EEEJSt10multipliesIaEaEEEvT_T0_DpT1_.has_dyn_sized_stack, 0
	.set _ZN2at6native12_GLOBAL__N_125multi_tensor_apply_kernelINS1_18TensorListMetadataILi3EEENS1_32PointwiseOpScalar0dTensorFunctorIaLi3ELi2ELi0EEEJSt10multipliesIaEaEEEvT_T0_DpT1_.has_recursion, 0
	.set _ZN2at6native12_GLOBAL__N_125multi_tensor_apply_kernelINS1_18TensorListMetadataILi3EEENS1_32PointwiseOpScalar0dTensorFunctorIaLi3ELi2ELi0EEEJSt10multipliesIaEaEEEvT_T0_DpT1_.has_indirect_call, 0
	.section	.AMDGPU.csdata,"",@progbits
; Kernel info:
; codeLenInByte = 1512
; TotalNumSgprs: 24
; NumVgprs: 40
; ScratchSize: 0
; MemoryBound: 0
; FloatMode: 240
; IeeeMode: 1
; LDSByteSize: 0 bytes/workgroup (compile time only)
; SGPRBlocks: 2
; VGPRBlocks: 9
; NumSGPRsForWavesPerEU: 24
; NumVGPRsForWavesPerEU: 40
; Occupancy: 6
; WaveLimiterHint : 0
; COMPUTE_PGM_RSRC2:SCRATCH_EN: 0
; COMPUTE_PGM_RSRC2:USER_SGPR: 6
; COMPUTE_PGM_RSRC2:TRAP_HANDLER: 0
; COMPUTE_PGM_RSRC2:TGID_X_EN: 1
; COMPUTE_PGM_RSRC2:TGID_Y_EN: 0
; COMPUTE_PGM_RSRC2:TGID_Z_EN: 0
; COMPUTE_PGM_RSRC2:TIDIG_COMP_CNT: 0
	.section	.text._ZN2at6native12_GLOBAL__N_125multi_tensor_apply_kernelINS1_18TensorListMetadataILi3EEENS1_32PointwiseOpScalar0dTensorFunctorIiLi3ELi2ELi0EEEJSt10multipliesIiEiEEEvT_T0_DpT1_,"axG",@progbits,_ZN2at6native12_GLOBAL__N_125multi_tensor_apply_kernelINS1_18TensorListMetadataILi3EEENS1_32PointwiseOpScalar0dTensorFunctorIiLi3ELi2ELi0EEEJSt10multipliesIiEiEEEvT_T0_DpT1_,comdat
	.globl	_ZN2at6native12_GLOBAL__N_125multi_tensor_apply_kernelINS1_18TensorListMetadataILi3EEENS1_32PointwiseOpScalar0dTensorFunctorIiLi3ELi2ELi0EEEJSt10multipliesIiEiEEEvT_T0_DpT1_ ; -- Begin function _ZN2at6native12_GLOBAL__N_125multi_tensor_apply_kernelINS1_18TensorListMetadataILi3EEENS1_32PointwiseOpScalar0dTensorFunctorIiLi3ELi2ELi0EEEJSt10multipliesIiEiEEEvT_T0_DpT1_
	.p2align	8
	.type	_ZN2at6native12_GLOBAL__N_125multi_tensor_apply_kernelINS1_18TensorListMetadataILi3EEENS1_32PointwiseOpScalar0dTensorFunctorIiLi3ELi2ELi0EEEJSt10multipliesIiEiEEEvT_T0_DpT1_,@function
_ZN2at6native12_GLOBAL__N_125multi_tensor_apply_kernelINS1_18TensorListMetadataILi3EEENS1_32PointwiseOpScalar0dTensorFunctorIiLi3ELi2ELi0EEEJSt10multipliesIiEiEEEvT_T0_DpT1_: ; @_ZN2at6native12_GLOBAL__N_125multi_tensor_apply_kernelINS1_18TensorListMetadataILi3EEENS1_32PointwiseOpScalar0dTensorFunctorIiLi3ELi2ELi0EEEJSt10multipliesIiEiEEEvT_T0_DpT1_
; %bb.0:
	v_mov_b32_e32 v1, s6
	global_load_ubyte v1, v1, s[4:5] offset:1536
	s_add_u32 s0, s4, s6
	s_mul_hi_u32 s1, s6, 3
	s_mul_i32 s6, s6, 3
	s_addc_u32 s2, s5, 0
	s_add_u32 s0, s0, s6
	s_addc_u32 s1, s2, s1
	s_load_dword s2, s[0:1], 0x740
	s_load_dword s18, s[4:5], 0xc4c
	s_mov_b32 s9, 0
	s_mov_b32 s11, s9
	s_waitcnt lgkmcnt(0)
	s_ashr_i32 s3, s2, 31
	s_lshl_b64 s[12:13], s[2:3], 18
	s_waitcnt vmcnt(0)
	v_readfirstlane_b32 s0, v1
	s_lshl_b32 s8, s0, 3
	s_load_dwordx2 s[0:1], s[4:5], s8 offset:0x0
	s_load_dwordx2 s[16:17], s[4:5], s8 offset:0x180
	;; [unrolled: 1-line block ×4, first 2 shown]
	s_waitcnt lgkmcnt(0)
	s_add_u32 s14, s0, s12
	s_addc_u32 s15, s1, s13
	s_and_b32 s8, s14, 15
	s_add_u32 s10, s16, s12
	s_load_dword s19, s[16:17], 0x0
	s_add_u32 s16, s6, s12
	s_addc_u32 s17, s7, s13
	s_or_b32 s10, s16, s10
	s_and_b32 s10, s10, 15
	s_cmp_lg_u32 s10, 0
	s_cselect_b64 s[22:23], -1, 0
	s_lshl_b64 s[2:3], s[2:3], 16
	s_sub_u32 s2, s20, s2
	s_subb_u32 s3, s21, s3
	s_and_b32 s10, s20, 3
	s_or_b64 s[8:9], s[8:9], s[10:11]
	s_cmp_lg_u64 s[8:9], 0
	s_cselect_b64 s[8:9], -1, 0
	s_or_b64 s[8:9], s[22:23], s[8:9]
	s_andn2_b64 vcc, exec, s[8:9]
	s_mov_b64 s[8:9], -1
	s_cbranch_vccz .LBB35_5
; %bb.1:
	v_mov_b32_e32 v1, 0x10000
	v_mov_b32_e32 v2, 0
	v_cmp_lt_i64_e32 vcc, s[2:3], v[1:2]
	v_mov_b32_e32 v2, 0
	s_and_b64 s[8:9], vcc, exec
	s_cselect_b32 s9, s3, 0
	s_cselect_b32 s8, s2, 0x10000
	v_lshlrev_b32_e32 v1, 2, v0
	v_cmp_gt_i64_e32 vcc, s[8:9], v[1:2]
	s_and_saveexec_b64 s[10:11], vcc
	s_cbranch_execz .LBB35_4
; %bb.2:
	s_load_dword s21, s[4:5], 0xc5c
	v_mov_b32_e32 v1, v2
	v_lshlrev_b32_e32 v2, 4, v0
	v_mov_b32_e32 v4, s13
	v_add_co_u32_e32 v3, vcc, s12, v2
	s_waitcnt lgkmcnt(0)
	s_and_b32 s21, s21, 0xffff
	v_mov_b32_e32 v2, v1
	s_mul_i32 s20, s19, s18
	v_addc_co_u32_e32 v4, vcc, 0, v4, vcc
	s_lshl_b32 s22, s21, 4
	s_mov_b64 s[12:13], 0
	v_mov_b32_e32 v5, s1
	v_mov_b32_e32 v6, s7
	;; [unrolled: 1-line block ×3, first 2 shown]
.LBB35_3:                               ; =>This Inner Loop Header: Depth=1
	v_add_co_u32_e32 v19, vcc, s0, v3
	v_addc_co_u32_e32 v20, vcc, v5, v4, vcc
	v_add_co_u32_e32 v15, vcc, s6, v3
	v_addc_co_u32_e32 v16, vcc, v6, v4, vcc
	global_load_dwordx4 v[7:10], v[19:20], off
	global_load_dwordx4 v[11:14], v[15:16], off
	v_add_co_u32_e32 v1, vcc, s21, v1
	v_addc_co_u32_e32 v2, vcc, 0, v2, vcc
	v_add_co_u32_e32 v3, vcc, s22, v3
	v_addc_co_u32_e32 v4, vcc, 0, v4, vcc
	s_waitcnt vmcnt(0)
	v_mad_u64_u32 v[15:16], s[24:25], v11, s20, v[7:8]
	v_mad_u64_u32 v[16:17], s[24:25], v12, s20, v[8:9]
	;; [unrolled: 1-line block ×3, first 2 shown]
	v_lshlrev_b64 v[8:9], 2, v[1:2]
	v_mov_b32_e32 v7, v10
	v_mad_u64_u32 v[10:11], s[24:25], v14, s20, v[7:8]
	v_cmp_le_i64_e32 vcc, s[8:9], v[8:9]
	s_or_b64 s[12:13], vcc, s[12:13]
	v_mov_b32_e32 v18, v10
	global_store_dwordx4 v[19:20], v[15:18], off
	s_andn2_b64 exec, exec, s[12:13]
	s_cbranch_execnz .LBB35_3
.LBB35_4:
	s_or_b64 exec, exec, s[10:11]
	s_mov_b64 s[8:9], 0
.LBB35_5:
	s_andn2_b64 vcc, exec, s[8:9]
	s_cbranch_vccnz .LBB35_25
; %bb.6:
	v_cmp_lt_i64_e64 s[0:1], s[2:3], 1
	s_and_b64 vcc, exec, s[0:1]
	s_cbranch_vccnz .LBB35_25
; %bb.7:
	v_mov_b32_e32 v1, 0x10000
	s_load_dword s4, s[4:5], 0xc5c
	v_mov_b32_e32 v2, 0
	v_cmp_lt_i64_e32 vcc, s[2:3], v[1:2]
	s_waitcnt lgkmcnt(0)
	s_mul_i32 s9, s19, s18
	s_and_b64 s[0:1], vcc, exec
	v_cmp_lt_u64_e32 vcc, s[2:3], v[1:2]
	s_cselect_b32 s1, s3, 0
	s_cselect_b32 s0, s2, 0x10000
	s_and_b32 s8, s4, 0xffff
	s_and_b64 s[4:5], vcc, exec
	s_cselect_b32 s3, s3, 0
	s_cselect_b32 s2, s2, 0x10000
	s_lshl_b32 s10, s8, 1
	s_mul_i32 s11, s8, 3
	s_lshl_b32 s12, s8, 2
	s_mov_b64 s[4:5], 0
	s_branch .LBB35_9
.LBB35_8:                               ;   in Loop: Header=BB35_9 Depth=1
	s_or_b64 exec, exec, s[6:7]
	s_add_u32 s4, s4, s12
	v_mov_b32_e32 v2, s1
	s_addc_u32 s5, s5, 0
	v_mov_b32_e32 v1, s0
	v_cmp_ge_i64_e32 vcc, s[4:5], v[1:2]
	s_cbranch_vccnz .LBB35_25
.LBB35_9:                               ; =>This Inner Loop Header: Depth=1
	v_mov_b32_e32 v2, s5
	v_add_co_u32_e32 v1, vcc, s4, v0
	v_addc_co_u32_e32 v2, vcc, 0, v2, vcc
	v_cmp_gt_i64_e32 vcc, s[0:1], v[1:2]
	s_waitcnt vmcnt(0)
	v_mov_b32_e32 v13, 0
	v_mov_b32_e32 v3, 0
	s_and_saveexec_b64 s[6:7], vcc
	s_cbranch_execz .LBB35_11
; %bb.10:                               ;   in Loop: Header=BB35_9 Depth=1
	v_lshlrev_b64 v[3:4], 2, v[1:2]
	v_mov_b32_e32 v6, s15
	v_add_co_u32_e32 v5, vcc, s14, v3
	v_addc_co_u32_e32 v6, vcc, v6, v4, vcc
	v_mov_b32_e32 v8, s17
	v_add_co_u32_e32 v7, vcc, s16, v3
	v_addc_co_u32_e32 v8, vcc, v8, v4, vcc
	global_load_dword v3, v[5:6], off
	global_load_dword v13, v[7:8], off
.LBB35_11:                              ;   in Loop: Header=BB35_9 Depth=1
	s_or_b64 exec, exec, s[6:7]
	v_add_co_u32_e32 v4, vcc, s8, v1
	v_addc_co_u32_e32 v5, vcc, 0, v2, vcc
	v_cmp_gt_i64_e32 vcc, s[0:1], v[4:5]
	v_mov_b32_e32 v14, 0
	v_mov_b32_e32 v15, 0
	;; [unrolled: 1-line block ×3, first 2 shown]
	s_and_saveexec_b64 s[6:7], vcc
	s_cbranch_execz .LBB35_13
; %bb.12:                               ;   in Loop: Header=BB35_9 Depth=1
	v_lshlrev_b64 v[6:7], 2, v[4:5]
	v_mov_b32_e32 v8, s15
	v_add_co_u32_e32 v9, vcc, s14, v6
	v_addc_co_u32_e32 v10, vcc, v8, v7, vcc
	v_mov_b32_e32 v8, s17
	v_add_co_u32_e32 v6, vcc, s16, v6
	v_addc_co_u32_e32 v7, vcc, v8, v7, vcc
	global_load_dword v8, v[9:10], off
	global_load_dword v15, v[6:7], off
.LBB35_13:                              ;   in Loop: Header=BB35_9 Depth=1
	s_or_b64 exec, exec, s[6:7]
	v_add_co_u32_e32 v6, vcc, s10, v1
	v_addc_co_u32_e32 v7, vcc, 0, v2, vcc
	v_cmp_gt_i64_e32 vcc, s[0:1], v[6:7]
	v_mov_b32_e32 v11, 0
	s_and_saveexec_b64 s[6:7], vcc
	s_cbranch_execz .LBB35_15
; %bb.14:                               ;   in Loop: Header=BB35_9 Depth=1
	v_lshlrev_b64 v[9:10], 2, v[6:7]
	v_mov_b32_e32 v11, s15
	v_add_co_u32_e32 v16, vcc, s14, v9
	v_addc_co_u32_e32 v17, vcc, v11, v10, vcc
	v_mov_b32_e32 v11, s17
	v_add_co_u32_e32 v9, vcc, s16, v9
	v_addc_co_u32_e32 v10, vcc, v11, v10, vcc
	global_load_dword v11, v[16:17], off
	global_load_dword v14, v[9:10], off
.LBB35_15:                              ;   in Loop: Header=BB35_9 Depth=1
	s_or_b64 exec, exec, s[6:7]
	v_add_co_u32_e32 v9, vcc, s11, v1
	v_addc_co_u32_e32 v10, vcc, 0, v2, vcc
	v_cmp_gt_i64_e32 vcc, s[0:1], v[9:10]
	v_mov_b32_e32 v16, 0
	v_mov_b32_e32 v12, 0
	s_and_saveexec_b64 s[6:7], vcc
	s_cbranch_execnz .LBB35_20
; %bb.16:                               ;   in Loop: Header=BB35_9 Depth=1
	s_or_b64 exec, exec, s[6:7]
	v_cmp_gt_u64_e32 vcc, s[2:3], v[1:2]
	s_and_saveexec_b64 s[6:7], vcc
	s_cbranch_execnz .LBB35_21
.LBB35_17:                              ;   in Loop: Header=BB35_9 Depth=1
	s_or_b64 exec, exec, s[6:7]
	v_cmp_gt_u64_e32 vcc, s[2:3], v[4:5]
	s_and_saveexec_b64 s[6:7], vcc
	s_cbranch_execnz .LBB35_22
.LBB35_18:                              ;   in Loop: Header=BB35_9 Depth=1
	s_or_b64 exec, exec, s[6:7]
	v_cmp_gt_u64_e32 vcc, s[2:3], v[6:7]
	s_and_saveexec_b64 s[6:7], vcc
	s_cbranch_execnz .LBB35_23
.LBB35_19:                              ;   in Loop: Header=BB35_9 Depth=1
	s_or_b64 exec, exec, s[6:7]
	v_cmp_gt_u64_e32 vcc, s[2:3], v[9:10]
	s_and_saveexec_b64 s[6:7], vcc
	s_cbranch_execz .LBB35_8
	s_branch .LBB35_24
.LBB35_20:                              ;   in Loop: Header=BB35_9 Depth=1
	v_lshlrev_b64 v[16:17], 2, v[9:10]
	v_mov_b32_e32 v12, s15
	v_add_co_u32_e32 v18, vcc, s14, v16
	v_addc_co_u32_e32 v19, vcc, v12, v17, vcc
	v_mov_b32_e32 v12, s17
	v_add_co_u32_e32 v20, vcc, s16, v16
	v_addc_co_u32_e32 v21, vcc, v12, v17, vcc
	global_load_dword v12, v[18:19], off
	global_load_dword v16, v[20:21], off
	s_or_b64 exec, exec, s[6:7]
	v_cmp_gt_u64_e32 vcc, s[2:3], v[1:2]
	s_and_saveexec_b64 s[6:7], vcc
	s_cbranch_execz .LBB35_17
.LBB35_21:                              ;   in Loop: Header=BB35_9 Depth=1
	v_lshlrev_b64 v[1:2], 2, v[1:2]
	s_waitcnt vmcnt(0)
	v_mad_u64_u32 v[17:18], s[18:19], v13, s9, v[3:4]
	v_mov_b32_e32 v19, s15
	v_add_co_u32_e32 v1, vcc, s14, v1
	v_addc_co_u32_e32 v2, vcc, v19, v2, vcc
	global_store_dword v[1:2], v17, off
	s_or_b64 exec, exec, s[6:7]
	v_cmp_gt_u64_e32 vcc, s[2:3], v[4:5]
	s_and_saveexec_b64 s[6:7], vcc
	s_cbranch_execz .LBB35_18
.LBB35_22:                              ;   in Loop: Header=BB35_9 Depth=1
	s_waitcnt vmcnt(0)
	v_mad_u64_u32 v[1:2], s[18:19], v15, s9, v[8:9]
	v_lshlrev_b64 v[2:3], 2, v[4:5]
	v_mov_b32_e32 v4, s15
	v_add_co_u32_e32 v2, vcc, s14, v2
	v_addc_co_u32_e32 v3, vcc, v4, v3, vcc
	global_store_dword v[2:3], v1, off
	s_or_b64 exec, exec, s[6:7]
	v_cmp_gt_u64_e32 vcc, s[2:3], v[6:7]
	s_and_saveexec_b64 s[6:7], vcc
	s_cbranch_execz .LBB35_19
.LBB35_23:                              ;   in Loop: Header=BB35_9 Depth=1
	s_waitcnt vmcnt(0)
	v_mad_u64_u32 v[1:2], s[18:19], v14, s9, v[11:12]
	v_lshlrev_b64 v[2:3], 2, v[6:7]
	v_mov_b32_e32 v4, s15
	v_add_co_u32_e32 v2, vcc, s14, v2
	v_addc_co_u32_e32 v3, vcc, v4, v3, vcc
	global_store_dword v[2:3], v1, off
	s_or_b64 exec, exec, s[6:7]
	v_cmp_gt_u64_e32 vcc, s[2:3], v[9:10]
	s_and_saveexec_b64 s[6:7], vcc
	s_cbranch_execz .LBB35_8
.LBB35_24:                              ;   in Loop: Header=BB35_9 Depth=1
	s_waitcnt vmcnt(0)
	v_mad_u64_u32 v[1:2], s[18:19], v16, s9, v[12:13]
	v_lshlrev_b64 v[2:3], 2, v[9:10]
	v_mov_b32_e32 v4, s15
	v_add_co_u32_e32 v2, vcc, s14, v2
	v_addc_co_u32_e32 v3, vcc, v4, v3, vcc
	global_store_dword v[2:3], v1, off
	s_branch .LBB35_8
.LBB35_25:
	s_endpgm
	.section	.rodata,"a",@progbits
	.p2align	6, 0x0
	.amdhsa_kernel _ZN2at6native12_GLOBAL__N_125multi_tensor_apply_kernelINS1_18TensorListMetadataILi3EEENS1_32PointwiseOpScalar0dTensorFunctorIiLi3ELi2ELi0EEEJSt10multipliesIiEiEEEvT_T0_DpT1_
		.amdhsa_group_segment_fixed_size 0
		.amdhsa_private_segment_fixed_size 0
		.amdhsa_kernarg_size 3408
		.amdhsa_user_sgpr_count 6
		.amdhsa_user_sgpr_private_segment_buffer 1
		.amdhsa_user_sgpr_dispatch_ptr 0
		.amdhsa_user_sgpr_queue_ptr 0
		.amdhsa_user_sgpr_kernarg_segment_ptr 1
		.amdhsa_user_sgpr_dispatch_id 0
		.amdhsa_user_sgpr_flat_scratch_init 0
		.amdhsa_user_sgpr_private_segment_size 0
		.amdhsa_uses_dynamic_stack 0
		.amdhsa_system_sgpr_private_segment_wavefront_offset 0
		.amdhsa_system_sgpr_workgroup_id_x 1
		.amdhsa_system_sgpr_workgroup_id_y 0
		.amdhsa_system_sgpr_workgroup_id_z 0
		.amdhsa_system_sgpr_workgroup_info 0
		.amdhsa_system_vgpr_workitem_id 0
		.amdhsa_next_free_vgpr 22
		.amdhsa_next_free_sgpr 26
		.amdhsa_reserve_vcc 1
		.amdhsa_reserve_flat_scratch 0
		.amdhsa_float_round_mode_32 0
		.amdhsa_float_round_mode_16_64 0
		.amdhsa_float_denorm_mode_32 3
		.amdhsa_float_denorm_mode_16_64 3
		.amdhsa_dx10_clamp 1
		.amdhsa_ieee_mode 1
		.amdhsa_fp16_overflow 0
		.amdhsa_exception_fp_ieee_invalid_op 0
		.amdhsa_exception_fp_denorm_src 0
		.amdhsa_exception_fp_ieee_div_zero 0
		.amdhsa_exception_fp_ieee_overflow 0
		.amdhsa_exception_fp_ieee_underflow 0
		.amdhsa_exception_fp_ieee_inexact 0
		.amdhsa_exception_int_div_zero 0
	.end_amdhsa_kernel
	.section	.text._ZN2at6native12_GLOBAL__N_125multi_tensor_apply_kernelINS1_18TensorListMetadataILi3EEENS1_32PointwiseOpScalar0dTensorFunctorIiLi3ELi2ELi0EEEJSt10multipliesIiEiEEEvT_T0_DpT1_,"axG",@progbits,_ZN2at6native12_GLOBAL__N_125multi_tensor_apply_kernelINS1_18TensorListMetadataILi3EEENS1_32PointwiseOpScalar0dTensorFunctorIiLi3ELi2ELi0EEEJSt10multipliesIiEiEEEvT_T0_DpT1_,comdat
.Lfunc_end35:
	.size	_ZN2at6native12_GLOBAL__N_125multi_tensor_apply_kernelINS1_18TensorListMetadataILi3EEENS1_32PointwiseOpScalar0dTensorFunctorIiLi3ELi2ELi0EEEJSt10multipliesIiEiEEEvT_T0_DpT1_, .Lfunc_end35-_ZN2at6native12_GLOBAL__N_125multi_tensor_apply_kernelINS1_18TensorListMetadataILi3EEENS1_32PointwiseOpScalar0dTensorFunctorIiLi3ELi2ELi0EEEJSt10multipliesIiEiEEEvT_T0_DpT1_
                                        ; -- End function
	.set _ZN2at6native12_GLOBAL__N_125multi_tensor_apply_kernelINS1_18TensorListMetadataILi3EEENS1_32PointwiseOpScalar0dTensorFunctorIiLi3ELi2ELi0EEEJSt10multipliesIiEiEEEvT_T0_DpT1_.num_vgpr, 22
	.set _ZN2at6native12_GLOBAL__N_125multi_tensor_apply_kernelINS1_18TensorListMetadataILi3EEENS1_32PointwiseOpScalar0dTensorFunctorIiLi3ELi2ELi0EEEJSt10multipliesIiEiEEEvT_T0_DpT1_.num_agpr, 0
	.set _ZN2at6native12_GLOBAL__N_125multi_tensor_apply_kernelINS1_18TensorListMetadataILi3EEENS1_32PointwiseOpScalar0dTensorFunctorIiLi3ELi2ELi0EEEJSt10multipliesIiEiEEEvT_T0_DpT1_.numbered_sgpr, 26
	.set _ZN2at6native12_GLOBAL__N_125multi_tensor_apply_kernelINS1_18TensorListMetadataILi3EEENS1_32PointwiseOpScalar0dTensorFunctorIiLi3ELi2ELi0EEEJSt10multipliesIiEiEEEvT_T0_DpT1_.num_named_barrier, 0
	.set _ZN2at6native12_GLOBAL__N_125multi_tensor_apply_kernelINS1_18TensorListMetadataILi3EEENS1_32PointwiseOpScalar0dTensorFunctorIiLi3ELi2ELi0EEEJSt10multipliesIiEiEEEvT_T0_DpT1_.private_seg_size, 0
	.set _ZN2at6native12_GLOBAL__N_125multi_tensor_apply_kernelINS1_18TensorListMetadataILi3EEENS1_32PointwiseOpScalar0dTensorFunctorIiLi3ELi2ELi0EEEJSt10multipliesIiEiEEEvT_T0_DpT1_.uses_vcc, 1
	.set _ZN2at6native12_GLOBAL__N_125multi_tensor_apply_kernelINS1_18TensorListMetadataILi3EEENS1_32PointwiseOpScalar0dTensorFunctorIiLi3ELi2ELi0EEEJSt10multipliesIiEiEEEvT_T0_DpT1_.uses_flat_scratch, 0
	.set _ZN2at6native12_GLOBAL__N_125multi_tensor_apply_kernelINS1_18TensorListMetadataILi3EEENS1_32PointwiseOpScalar0dTensorFunctorIiLi3ELi2ELi0EEEJSt10multipliesIiEiEEEvT_T0_DpT1_.has_dyn_sized_stack, 0
	.set _ZN2at6native12_GLOBAL__N_125multi_tensor_apply_kernelINS1_18TensorListMetadataILi3EEENS1_32PointwiseOpScalar0dTensorFunctorIiLi3ELi2ELi0EEEJSt10multipliesIiEiEEEvT_T0_DpT1_.has_recursion, 0
	.set _ZN2at6native12_GLOBAL__N_125multi_tensor_apply_kernelINS1_18TensorListMetadataILi3EEENS1_32PointwiseOpScalar0dTensorFunctorIiLi3ELi2ELi0EEEJSt10multipliesIiEiEEEvT_T0_DpT1_.has_indirect_call, 0
	.section	.AMDGPU.csdata,"",@progbits
; Kernel info:
; codeLenInByte = 1236
; TotalNumSgprs: 30
; NumVgprs: 22
; ScratchSize: 0
; MemoryBound: 0
; FloatMode: 240
; IeeeMode: 1
; LDSByteSize: 0 bytes/workgroup (compile time only)
; SGPRBlocks: 3
; VGPRBlocks: 5
; NumSGPRsForWavesPerEU: 30
; NumVGPRsForWavesPerEU: 22
; Occupancy: 10
; WaveLimiterHint : 0
; COMPUTE_PGM_RSRC2:SCRATCH_EN: 0
; COMPUTE_PGM_RSRC2:USER_SGPR: 6
; COMPUTE_PGM_RSRC2:TRAP_HANDLER: 0
; COMPUTE_PGM_RSRC2:TGID_X_EN: 1
; COMPUTE_PGM_RSRC2:TGID_Y_EN: 0
; COMPUTE_PGM_RSRC2:TGID_Z_EN: 0
; COMPUTE_PGM_RSRC2:TIDIG_COMP_CNT: 0
	.section	.text._ZN2at6native12_GLOBAL__N_125multi_tensor_apply_kernelINS1_18TensorListMetadataILi3EEENS1_32PointwiseOpScalar0dTensorFunctorIlLi3ELi2ELi0EEEJSt10multipliesIlElEEEvT_T0_DpT1_,"axG",@progbits,_ZN2at6native12_GLOBAL__N_125multi_tensor_apply_kernelINS1_18TensorListMetadataILi3EEENS1_32PointwiseOpScalar0dTensorFunctorIlLi3ELi2ELi0EEEJSt10multipliesIlElEEEvT_T0_DpT1_,comdat
	.globl	_ZN2at6native12_GLOBAL__N_125multi_tensor_apply_kernelINS1_18TensorListMetadataILi3EEENS1_32PointwiseOpScalar0dTensorFunctorIlLi3ELi2ELi0EEEJSt10multipliesIlElEEEvT_T0_DpT1_ ; -- Begin function _ZN2at6native12_GLOBAL__N_125multi_tensor_apply_kernelINS1_18TensorListMetadataILi3EEENS1_32PointwiseOpScalar0dTensorFunctorIlLi3ELi2ELi0EEEJSt10multipliesIlElEEEvT_T0_DpT1_
	.p2align	8
	.type	_ZN2at6native12_GLOBAL__N_125multi_tensor_apply_kernelINS1_18TensorListMetadataILi3EEENS1_32PointwiseOpScalar0dTensorFunctorIlLi3ELi2ELi0EEEJSt10multipliesIlElEEEvT_T0_DpT1_,@function
_ZN2at6native12_GLOBAL__N_125multi_tensor_apply_kernelINS1_18TensorListMetadataILi3EEENS1_32PointwiseOpScalar0dTensorFunctorIlLi3ELi2ELi0EEEJSt10multipliesIlElEEEvT_T0_DpT1_: ; @_ZN2at6native12_GLOBAL__N_125multi_tensor_apply_kernelINS1_18TensorListMetadataILi3EEENS1_32PointwiseOpScalar0dTensorFunctorIlLi3ELi2ELi0EEEJSt10multipliesIlElEEEvT_T0_DpT1_
; %bb.0:
	v_mov_b32_e32 v1, s6
	global_load_ubyte v1, v1, s[4:5] offset:1536
	s_add_u32 s0, s4, s6
	s_mul_hi_u32 s1, s6, 3
	s_mul_i32 s6, s6, 3
	s_addc_u32 s2, s5, 0
	s_add_u32 s0, s0, s6
	s_addc_u32 s1, s2, s1
	s_load_dword s8, s[0:1], 0x740
	s_load_dwordx2 s[2:3], s[4:5], 0xc50
	s_mov_b32 s15, 0
	s_mov_b32 s17, s15
	s_waitcnt lgkmcnt(0)
	s_ashr_i32 s9, s8, 31
	s_waitcnt vmcnt(0)
	v_readfirstlane_b32 s0, v1
	s_lshl_b32 s6, s0, 3
	s_load_dwordx2 s[10:11], s[4:5], s6 offset:0x0
	s_load_dwordx2 s[18:19], s[4:5], s6 offset:0x180
	;; [unrolled: 1-line block ×4, first 2 shown]
	s_lshl_b64 s[0:1], s[8:9], 19
	s_waitcnt lgkmcnt(0)
	s_add_u32 s20, s10, s0
	s_addc_u32 s21, s11, s1
	s_and_b32 s14, s20, 31
	s_add_u32 s16, s18, s0
	s_add_u32 s22, s12, s0
	s_addc_u32 s23, s13, s1
	s_or_b32 s16, s22, s16
	s_and_b32 s16, s16, 31
	s_cmp_lg_u32 s16, 0
	s_load_dwordx2 s[6:7], s[18:19], 0x0
	s_cselect_b64 s[18:19], -1, 0
	s_lshl_b64 s[8:9], s[8:9], 16
	s_sub_u32 s8, s24, s8
	s_subb_u32 s9, s25, s9
	s_and_b32 s16, s24, 3
	s_or_b64 s[14:15], s[14:15], s[16:17]
	s_cmp_lg_u64 s[14:15], 0
	s_cselect_b64 s[14:15], -1, 0
	s_or_b64 s[14:15], s[18:19], s[14:15]
	s_andn2_b64 vcc, exec, s[14:15]
	s_mov_b64 s[14:15], -1
	s_cbranch_vccz .LBB36_5
; %bb.1:
	v_mov_b32_e32 v1, 0x10000
	v_mov_b32_e32 v2, 0
	v_cmp_lt_i64_e32 vcc, s[8:9], v[1:2]
	v_mov_b32_e32 v2, 0
	s_and_b64 s[14:15], vcc, exec
	s_cselect_b32 s15, s9, 0
	s_cselect_b32 s14, s8, 0x10000
	v_lshlrev_b32_e32 v1, 2, v0
	v_cmp_gt_i64_e32 vcc, s[14:15], v[1:2]
	s_and_saveexec_b64 s[16:17], vcc
	s_cbranch_execz .LBB36_4
; %bb.2:
	s_load_dword s26, s[4:5], 0xc64
	v_mov_b32_e32 v1, v2
	s_waitcnt lgkmcnt(0)
	s_mul_i32 s18, s6, s3
	s_mul_hi_u32 s19, s6, s2
	v_lshlrev_b32_e32 v2, 5, v0
	s_add_i32 s18, s19, s18
	s_mul_i32 s19, s7, s2
	s_and_b32 s26, s26, 0xffff
	v_mov_b32_e32 v4, s1
	v_add_co_u32_e32 v3, vcc, s0, v2
	v_mov_b32_e32 v2, v1
	s_add_i32 s24, s18, s19
	s_mul_i32 s25, s6, s2
	v_addc_co_u32_e32 v4, vcc, 0, v4, vcc
	s_lshl_b32 s27, s26, 5
	s_mov_b64 s[18:19], 0
	v_mov_b32_e32 v5, s11
	v_mov_b32_e32 v6, s13
	v_mov_b32_e32 v1, v0
.LBB36_3:                               ; =>This Inner Loop Header: Depth=1
	v_add_co_u32_e32 v23, vcc, s10, v3
	v_addc_co_u32_e32 v24, vcc, v5, v4, vcc
	v_add_co_u32_e32 v25, vcc, s12, v3
	v_addc_co_u32_e32 v26, vcc, v6, v4, vcc
	global_load_dwordx4 v[7:10], v[23:24], off
	global_load_dwordx4 v[11:14], v[25:26], off
	global_load_dwordx4 v[15:18], v[25:26], off offset:16
	global_load_dwordx4 v[19:22], v[23:24], off offset:16
	v_add_co_u32_e32 v1, vcc, s26, v1
	v_addc_co_u32_e32 v2, vcc, 0, v2, vcc
	s_waitcnt vmcnt(2)
	v_mad_u64_u32 v[7:8], s[0:1], v11, s25, v[7:8]
	v_mad_u64_u32 v[9:10], s[0:1], v13, s25, v[9:10]
	v_mul_lo_u32 v25, v11, s24
	v_mul_lo_u32 v26, v12, s25
	;; [unrolled: 1-line block ×4, first 2 shown]
	v_lshlrev_b64 v[11:12], 2, v[1:2]
	s_waitcnt vmcnt(0)
	v_mad_u64_u32 v[19:20], s[0:1], v15, s25, v[19:20]
	v_mad_u64_u32 v[21:22], s[0:1], v17, s25, v[21:22]
	v_mul_lo_u32 v15, v15, s24
	v_mul_lo_u32 v16, v16, s25
	;; [unrolled: 1-line block ×4, first 2 shown]
	v_cmp_le_i64_e32 vcc, s[14:15], v[11:12]
	v_add_co_u32_e64 v3, s[0:1], s27, v3
	v_addc_co_u32_e64 v4, s[0:1], 0, v4, s[0:1]
	s_or_b64 s[18:19], vcc, s[18:19]
	v_add3_u32 v8, v26, v8, v25
	v_add3_u32 v10, v14, v10, v13
	;; [unrolled: 1-line block ×4, first 2 shown]
	global_store_dwordx4 v[23:24], v[7:10], off
	global_store_dwordx4 v[23:24], v[19:22], off offset:16
	s_andn2_b64 exec, exec, s[18:19]
	s_cbranch_execnz .LBB36_3
.LBB36_4:
	s_or_b64 exec, exec, s[16:17]
	s_mov_b64 s[14:15], 0
.LBB36_5:
	s_andn2_b64 vcc, exec, s[14:15]
	s_cbranch_vccnz .LBB36_25
; %bb.6:
	v_cmp_lt_i64_e64 s[0:1], s[8:9], 1
	s_and_b64 vcc, exec, s[0:1]
	s_cbranch_vccnz .LBB36_25
; %bb.7:
	v_mov_b32_e32 v1, 0x10000
	s_load_dword s4, s[4:5], 0xc64
	v_mov_b32_e32 v2, 0
	v_cmp_lt_i64_e32 vcc, s[8:9], v[1:2]
	s_waitcnt lgkmcnt(0)
	s_mul_i32 s3, s6, s3
	s_and_b64 s[0:1], vcc, exec
	s_cselect_b32 s1, s9, 0
	s_cselect_b32 s0, s8, 0x10000
	s_and_b32 s10, s4, 0xffff
	s_mul_hi_u32 s4, s6, s2
	s_add_i32 s3, s4, s3
	s_mul_i32 s4, s7, s2
	v_cmp_lt_u64_e32 vcc, s[8:9], v[1:2]
	s_add_i32 s11, s3, s4
	s_mul_i32 s12, s6, s2
	s_and_b64 s[2:3], vcc, exec
	s_cselect_b32 s3, s9, 0
	s_cselect_b32 s2, s8, 0x10000
	s_lshl_b32 s8, s10, 1
	s_mul_i32 s9, s10, 3
	s_lshl_b32 s13, s10, 2
	s_mov_b64 s[4:5], 0
	s_branch .LBB36_9
.LBB36_8:                               ;   in Loop: Header=BB36_9 Depth=1
	s_or_b64 exec, exec, s[6:7]
	s_add_u32 s4, s4, s13
	v_mov_b32_e32 v2, s1
	s_addc_u32 s5, s5, 0
	v_mov_b32_e32 v1, s0
	v_cmp_ge_i64_e32 vcc, s[4:5], v[1:2]
	s_cbranch_vccnz .LBB36_25
.LBB36_9:                               ; =>This Inner Loop Header: Depth=1
	v_mov_b32_e32 v2, s5
	v_add_co_u32_e32 v1, vcc, s4, v0
	v_addc_co_u32_e32 v2, vcc, 0, v2, vcc
	v_cmp_gt_i64_e32 vcc, s[0:1], v[1:2]
	s_waitcnt vmcnt(0)
	v_mov_b32_e32 v3, 0
	v_mov_b32_e32 v7, 0
	;; [unrolled: 1-line block ×6, first 2 shown]
	s_and_saveexec_b64 s[6:7], vcc
	s_cbranch_execz .LBB36_11
; %bb.10:                               ;   in Loop: Header=BB36_9 Depth=1
	v_lshlrev_b64 v[5:6], 3, v[1:2]
	v_mov_b32_e32 v7, s21
	v_add_co_u32_e32 v9, vcc, s20, v5
	v_addc_co_u32_e32 v10, vcc, v7, v6, vcc
	v_mov_b32_e32 v7, s23
	v_add_co_u32_e32 v5, vcc, s22, v5
	v_addc_co_u32_e32 v6, vcc, v7, v6, vcc
	global_load_dwordx2 v[11:12], v[9:10], off
	global_load_dwordx2 v[7:8], v[5:6], off
.LBB36_11:                              ;   in Loop: Header=BB36_9 Depth=1
	s_or_b64 exec, exec, s[6:7]
	v_add_co_u32_e32 v5, vcc, s10, v1
	v_addc_co_u32_e32 v6, vcc, 0, v2, vcc
	v_cmp_gt_i64_e32 vcc, s[0:1], v[5:6]
	v_mov_b32_e32 v15, 0
	v_mov_b32_e32 v16, 0
	s_and_saveexec_b64 s[6:7], vcc
	s_cbranch_execz .LBB36_13
; %bb.12:                               ;   in Loop: Header=BB36_9 Depth=1
	v_lshlrev_b64 v[3:4], 3, v[5:6]
	v_mov_b32_e32 v10, s21
	v_add_co_u32_e32 v9, vcc, s20, v3
	v_addc_co_u32_e32 v10, vcc, v10, v4, vcc
	v_mov_b32_e32 v14, s23
	v_add_co_u32_e32 v13, vcc, s22, v3
	v_addc_co_u32_e32 v14, vcc, v14, v4, vcc
	global_load_dwordx2 v[15:16], v[9:10], off
	global_load_dwordx2 v[3:4], v[13:14], off
.LBB36_13:                              ;   in Loop: Header=BB36_9 Depth=1
	s_or_b64 exec, exec, s[6:7]
	v_add_co_u32_e32 v9, vcc, s8, v1
	v_addc_co_u32_e32 v10, vcc, 0, v2, vcc
	v_cmp_gt_i64_e32 vcc, s[0:1], v[9:10]
	v_mov_b32_e32 v13, 0
	v_mov_b32_e32 v19, 0
	;; [unrolled: 1-line block ×6, first 2 shown]
	s_and_saveexec_b64 s[6:7], vcc
	s_cbranch_execz .LBB36_15
; %bb.14:                               ;   in Loop: Header=BB36_9 Depth=1
	v_lshlrev_b64 v[17:18], 3, v[9:10]
	v_mov_b32_e32 v19, s21
	v_add_co_u32_e32 v23, vcc, s20, v17
	v_addc_co_u32_e32 v24, vcc, v19, v18, vcc
	v_mov_b32_e32 v19, s23
	v_add_co_u32_e32 v17, vcc, s22, v17
	v_addc_co_u32_e32 v18, vcc, v19, v18, vcc
	global_load_dwordx2 v[21:22], v[23:24], off
	global_load_dwordx2 v[19:20], v[17:18], off
.LBB36_15:                              ;   in Loop: Header=BB36_9 Depth=1
	s_or_b64 exec, exec, s[6:7]
	v_add_co_u32_e32 v17, vcc, s9, v1
	v_addc_co_u32_e32 v18, vcc, 0, v2, vcc
	v_cmp_gt_i64_e32 vcc, s[0:1], v[17:18]
	v_mov_b32_e32 v23, 0
	v_mov_b32_e32 v24, 0
	s_and_saveexec_b64 s[6:7], vcc
	s_cbranch_execnz .LBB36_20
; %bb.16:                               ;   in Loop: Header=BB36_9 Depth=1
	s_or_b64 exec, exec, s[6:7]
	v_cmp_gt_u64_e32 vcc, s[2:3], v[1:2]
	s_and_saveexec_b64 s[6:7], vcc
	s_cbranch_execnz .LBB36_21
.LBB36_17:                              ;   in Loop: Header=BB36_9 Depth=1
	s_or_b64 exec, exec, s[6:7]
	v_cmp_gt_u64_e32 vcc, s[2:3], v[5:6]
	s_and_saveexec_b64 s[6:7], vcc
	s_cbranch_execnz .LBB36_22
.LBB36_18:                              ;   in Loop: Header=BB36_9 Depth=1
	s_or_b64 exec, exec, s[6:7]
	v_cmp_gt_u64_e32 vcc, s[2:3], v[9:10]
	s_and_saveexec_b64 s[6:7], vcc
	s_cbranch_execnz .LBB36_23
.LBB36_19:                              ;   in Loop: Header=BB36_9 Depth=1
	s_or_b64 exec, exec, s[6:7]
	v_cmp_gt_u64_e32 vcc, s[2:3], v[17:18]
	s_and_saveexec_b64 s[6:7], vcc
	s_cbranch_execz .LBB36_8
	s_branch .LBB36_24
.LBB36_20:                              ;   in Loop: Header=BB36_9 Depth=1
	v_lshlrev_b64 v[13:14], 3, v[17:18]
	v_mov_b32_e32 v24, s21
	v_add_co_u32_e32 v23, vcc, s20, v13
	v_addc_co_u32_e32 v24, vcc, v24, v14, vcc
	v_mov_b32_e32 v25, s23
	v_add_co_u32_e32 v13, vcc, s22, v13
	v_addc_co_u32_e32 v14, vcc, v25, v14, vcc
	global_load_dwordx2 v[23:24], v[23:24], off
	s_nop 0
	global_load_dwordx2 v[13:14], v[13:14], off
	s_or_b64 exec, exec, s[6:7]
	v_cmp_gt_u64_e32 vcc, s[2:3], v[1:2]
	s_and_saveexec_b64 s[6:7], vcc
	s_cbranch_execz .LBB36_17
.LBB36_21:                              ;   in Loop: Header=BB36_9 Depth=1
	s_waitcnt vmcnt(0)
	v_mad_u64_u32 v[11:12], s[14:15], v7, s12, v[11:12]
	v_mul_lo_u32 v7, v7, s11
	v_mul_lo_u32 v8, v8, s12
	v_lshlrev_b64 v[1:2], 3, v[1:2]
	v_add_co_u32_e32 v1, vcc, s20, v1
	v_add3_u32 v12, v8, v12, v7
	v_mov_b32_e32 v7, s21
	v_addc_co_u32_e32 v2, vcc, v7, v2, vcc
	global_store_dwordx2 v[1:2], v[11:12], off
	s_or_b64 exec, exec, s[6:7]
	v_cmp_gt_u64_e32 vcc, s[2:3], v[5:6]
	s_and_saveexec_b64 s[6:7], vcc
	s_cbranch_execz .LBB36_18
.LBB36_22:                              ;   in Loop: Header=BB36_9 Depth=1
	s_waitcnt vmcnt(0)
	v_mad_u64_u32 v[1:2], s[14:15], v3, s12, v[15:16]
	v_mul_lo_u32 v3, v3, s11
	v_mul_lo_u32 v4, v4, s12
	v_add3_u32 v2, v4, v2, v3
	v_lshlrev_b64 v[3:4], 3, v[5:6]
	v_mov_b32_e32 v5, s21
	v_add_co_u32_e32 v3, vcc, s20, v3
	v_addc_co_u32_e32 v4, vcc, v5, v4, vcc
	global_store_dwordx2 v[3:4], v[1:2], off
	s_or_b64 exec, exec, s[6:7]
	v_cmp_gt_u64_e32 vcc, s[2:3], v[9:10]
	s_and_saveexec_b64 s[6:7], vcc
	s_cbranch_execz .LBB36_19
.LBB36_23:                              ;   in Loop: Header=BB36_9 Depth=1
	s_waitcnt vmcnt(0)
	v_mad_u64_u32 v[1:2], s[14:15], v19, s12, v[21:22]
	v_mul_lo_u32 v3, v19, s11
	v_mul_lo_u32 v4, v20, s12
	v_mov_b32_e32 v5, s21
	v_add3_u32 v2, v4, v2, v3
	v_lshlrev_b64 v[3:4], 3, v[9:10]
	v_add_co_u32_e32 v3, vcc, s20, v3
	v_addc_co_u32_e32 v4, vcc, v5, v4, vcc
	global_store_dwordx2 v[3:4], v[1:2], off
	s_or_b64 exec, exec, s[6:7]
	v_cmp_gt_u64_e32 vcc, s[2:3], v[17:18]
	s_and_saveexec_b64 s[6:7], vcc
	s_cbranch_execz .LBB36_8
.LBB36_24:                              ;   in Loop: Header=BB36_9 Depth=1
	s_waitcnt vmcnt(0)
	v_mad_u64_u32 v[1:2], s[14:15], v13, s12, v[23:24]
	v_mul_lo_u32 v3, v13, s11
	v_mul_lo_u32 v4, v14, s12
	v_mov_b32_e32 v5, s21
	v_add3_u32 v2, v4, v2, v3
	v_lshlrev_b64 v[3:4], 3, v[17:18]
	v_add_co_u32_e32 v3, vcc, s20, v3
	v_addc_co_u32_e32 v4, vcc, v5, v4, vcc
	global_store_dwordx2 v[3:4], v[1:2], off
	s_branch .LBB36_8
.LBB36_25:
	s_endpgm
	.section	.rodata,"a",@progbits
	.p2align	6, 0x0
	.amdhsa_kernel _ZN2at6native12_GLOBAL__N_125multi_tensor_apply_kernelINS1_18TensorListMetadataILi3EEENS1_32PointwiseOpScalar0dTensorFunctorIlLi3ELi2ELi0EEEJSt10multipliesIlElEEEvT_T0_DpT1_
		.amdhsa_group_segment_fixed_size 0
		.amdhsa_private_segment_fixed_size 0
		.amdhsa_kernarg_size 3416
		.amdhsa_user_sgpr_count 6
		.amdhsa_user_sgpr_private_segment_buffer 1
		.amdhsa_user_sgpr_dispatch_ptr 0
		.amdhsa_user_sgpr_queue_ptr 0
		.amdhsa_user_sgpr_kernarg_segment_ptr 1
		.amdhsa_user_sgpr_dispatch_id 0
		.amdhsa_user_sgpr_flat_scratch_init 0
		.amdhsa_user_sgpr_private_segment_size 0
		.amdhsa_uses_dynamic_stack 0
		.amdhsa_system_sgpr_private_segment_wavefront_offset 0
		.amdhsa_system_sgpr_workgroup_id_x 1
		.amdhsa_system_sgpr_workgroup_id_y 0
		.amdhsa_system_sgpr_workgroup_id_z 0
		.amdhsa_system_sgpr_workgroup_info 0
		.amdhsa_system_vgpr_workitem_id 0
		.amdhsa_next_free_vgpr 27
		.amdhsa_next_free_sgpr 28
		.amdhsa_reserve_vcc 1
		.amdhsa_reserve_flat_scratch 0
		.amdhsa_float_round_mode_32 0
		.amdhsa_float_round_mode_16_64 0
		.amdhsa_float_denorm_mode_32 3
		.amdhsa_float_denorm_mode_16_64 3
		.amdhsa_dx10_clamp 1
		.amdhsa_ieee_mode 1
		.amdhsa_fp16_overflow 0
		.amdhsa_exception_fp_ieee_invalid_op 0
		.amdhsa_exception_fp_denorm_src 0
		.amdhsa_exception_fp_ieee_div_zero 0
		.amdhsa_exception_fp_ieee_overflow 0
		.amdhsa_exception_fp_ieee_underflow 0
		.amdhsa_exception_fp_ieee_inexact 0
		.amdhsa_exception_int_div_zero 0
	.end_amdhsa_kernel
	.section	.text._ZN2at6native12_GLOBAL__N_125multi_tensor_apply_kernelINS1_18TensorListMetadataILi3EEENS1_32PointwiseOpScalar0dTensorFunctorIlLi3ELi2ELi0EEEJSt10multipliesIlElEEEvT_T0_DpT1_,"axG",@progbits,_ZN2at6native12_GLOBAL__N_125multi_tensor_apply_kernelINS1_18TensorListMetadataILi3EEENS1_32PointwiseOpScalar0dTensorFunctorIlLi3ELi2ELi0EEEJSt10multipliesIlElEEEvT_T0_DpT1_,comdat
.Lfunc_end36:
	.size	_ZN2at6native12_GLOBAL__N_125multi_tensor_apply_kernelINS1_18TensorListMetadataILi3EEENS1_32PointwiseOpScalar0dTensorFunctorIlLi3ELi2ELi0EEEJSt10multipliesIlElEEEvT_T0_DpT1_, .Lfunc_end36-_ZN2at6native12_GLOBAL__N_125multi_tensor_apply_kernelINS1_18TensorListMetadataILi3EEENS1_32PointwiseOpScalar0dTensorFunctorIlLi3ELi2ELi0EEEJSt10multipliesIlElEEEvT_T0_DpT1_
                                        ; -- End function
	.set _ZN2at6native12_GLOBAL__N_125multi_tensor_apply_kernelINS1_18TensorListMetadataILi3EEENS1_32PointwiseOpScalar0dTensorFunctorIlLi3ELi2ELi0EEEJSt10multipliesIlElEEEvT_T0_DpT1_.num_vgpr, 27
	.set _ZN2at6native12_GLOBAL__N_125multi_tensor_apply_kernelINS1_18TensorListMetadataILi3EEENS1_32PointwiseOpScalar0dTensorFunctorIlLi3ELi2ELi0EEEJSt10multipliesIlElEEEvT_T0_DpT1_.num_agpr, 0
	.set _ZN2at6native12_GLOBAL__N_125multi_tensor_apply_kernelINS1_18TensorListMetadataILi3EEENS1_32PointwiseOpScalar0dTensorFunctorIlLi3ELi2ELi0EEEJSt10multipliesIlElEEEvT_T0_DpT1_.numbered_sgpr, 28
	.set _ZN2at6native12_GLOBAL__N_125multi_tensor_apply_kernelINS1_18TensorListMetadataILi3EEENS1_32PointwiseOpScalar0dTensorFunctorIlLi3ELi2ELi0EEEJSt10multipliesIlElEEEvT_T0_DpT1_.num_named_barrier, 0
	.set _ZN2at6native12_GLOBAL__N_125multi_tensor_apply_kernelINS1_18TensorListMetadataILi3EEENS1_32PointwiseOpScalar0dTensorFunctorIlLi3ELi2ELi0EEEJSt10multipliesIlElEEEvT_T0_DpT1_.private_seg_size, 0
	.set _ZN2at6native12_GLOBAL__N_125multi_tensor_apply_kernelINS1_18TensorListMetadataILi3EEENS1_32PointwiseOpScalar0dTensorFunctorIlLi3ELi2ELi0EEEJSt10multipliesIlElEEEvT_T0_DpT1_.uses_vcc, 1
	.set _ZN2at6native12_GLOBAL__N_125multi_tensor_apply_kernelINS1_18TensorListMetadataILi3EEENS1_32PointwiseOpScalar0dTensorFunctorIlLi3ELi2ELi0EEEJSt10multipliesIlElEEEvT_T0_DpT1_.uses_flat_scratch, 0
	.set _ZN2at6native12_GLOBAL__N_125multi_tensor_apply_kernelINS1_18TensorListMetadataILi3EEENS1_32PointwiseOpScalar0dTensorFunctorIlLi3ELi2ELi0EEEJSt10multipliesIlElEEEvT_T0_DpT1_.has_dyn_sized_stack, 0
	.set _ZN2at6native12_GLOBAL__N_125multi_tensor_apply_kernelINS1_18TensorListMetadataILi3EEENS1_32PointwiseOpScalar0dTensorFunctorIlLi3ELi2ELi0EEEJSt10multipliesIlElEEEvT_T0_DpT1_.has_recursion, 0
	.set _ZN2at6native12_GLOBAL__N_125multi_tensor_apply_kernelINS1_18TensorListMetadataILi3EEENS1_32PointwiseOpScalar0dTensorFunctorIlLi3ELi2ELi0EEEJSt10multipliesIlElEEEvT_T0_DpT1_.has_indirect_call, 0
	.section	.AMDGPU.csdata,"",@progbits
; Kernel info:
; codeLenInByte = 1532
; TotalNumSgprs: 32
; NumVgprs: 27
; ScratchSize: 0
; MemoryBound: 0
; FloatMode: 240
; IeeeMode: 1
; LDSByteSize: 0 bytes/workgroup (compile time only)
; SGPRBlocks: 3
; VGPRBlocks: 6
; NumSGPRsForWavesPerEU: 32
; NumVGPRsForWavesPerEU: 27
; Occupancy: 9
; WaveLimiterHint : 0
; COMPUTE_PGM_RSRC2:SCRATCH_EN: 0
; COMPUTE_PGM_RSRC2:USER_SGPR: 6
; COMPUTE_PGM_RSRC2:TRAP_HANDLER: 0
; COMPUTE_PGM_RSRC2:TGID_X_EN: 1
; COMPUTE_PGM_RSRC2:TGID_Y_EN: 0
; COMPUTE_PGM_RSRC2:TGID_Z_EN: 0
; COMPUTE_PGM_RSRC2:TIDIG_COMP_CNT: 0
	.section	.text._ZN2at6native12_GLOBAL__N_125multi_tensor_apply_kernelINS1_18TensorListMetadataILi3EEENS1_32PointwiseOpScalar0dTensorFunctorIsLi3ELi2ELi0EEEJSt10multipliesIsEsEEEvT_T0_DpT1_,"axG",@progbits,_ZN2at6native12_GLOBAL__N_125multi_tensor_apply_kernelINS1_18TensorListMetadataILi3EEENS1_32PointwiseOpScalar0dTensorFunctorIsLi3ELi2ELi0EEEJSt10multipliesIsEsEEEvT_T0_DpT1_,comdat
	.globl	_ZN2at6native12_GLOBAL__N_125multi_tensor_apply_kernelINS1_18TensorListMetadataILi3EEENS1_32PointwiseOpScalar0dTensorFunctorIsLi3ELi2ELi0EEEJSt10multipliesIsEsEEEvT_T0_DpT1_ ; -- Begin function _ZN2at6native12_GLOBAL__N_125multi_tensor_apply_kernelINS1_18TensorListMetadataILi3EEENS1_32PointwiseOpScalar0dTensorFunctorIsLi3ELi2ELi0EEEJSt10multipliesIsEsEEEvT_T0_DpT1_
	.p2align	8
	.type	_ZN2at6native12_GLOBAL__N_125multi_tensor_apply_kernelINS1_18TensorListMetadataILi3EEENS1_32PointwiseOpScalar0dTensorFunctorIsLi3ELi2ELi0EEEJSt10multipliesIsEsEEEvT_T0_DpT1_,@function
_ZN2at6native12_GLOBAL__N_125multi_tensor_apply_kernelINS1_18TensorListMetadataILi3EEENS1_32PointwiseOpScalar0dTensorFunctorIsLi3ELi2ELi0EEEJSt10multipliesIsEsEEEvT_T0_DpT1_: ; @_ZN2at6native12_GLOBAL__N_125multi_tensor_apply_kernelINS1_18TensorListMetadataILi3EEENS1_32PointwiseOpScalar0dTensorFunctorIsLi3ELi2ELi0EEEJSt10multipliesIsEsEEEvT_T0_DpT1_
; %bb.0:
	v_mov_b32_e32 v1, s6
	global_load_ubyte v1, v1, s[4:5] offset:1536
	s_load_dword s0, s[4:5], 0xc48
	s_mul_hi_u32 s3, s6, 3
	v_mov_b32_e32 v2, 0
	s_mov_b32 s23, 0
	s_waitcnt lgkmcnt(0)
	s_lshr_b32 s18, s0, 16
	s_add_u32 s0, s4, s6
	s_addc_u32 s1, s5, 0
	s_mul_i32 s6, s6, 3
	s_add_u32 s2, s0, s6
	s_addc_u32 s3, s1, s3
	s_waitcnt vmcnt(0)
	v_readfirstlane_b32 s0, v1
	s_lshl_b32 s11, s0, 3
	s_load_dwordx2 s[8:9], s[4:5], s11 offset:0x180
	s_load_dwordx2 s[0:1], s[4:5], s11 offset:0x300
	s_waitcnt lgkmcnt(0)
	global_load_ushort v3, v2, s[8:9]
	s_load_dword s10, s[2:3], 0x740
	s_load_dwordx2 s[6:7], s[4:5], s11 offset:0x0
	s_load_dwordx2 s[20:21], s[4:5], s11 offset:0x480
	s_waitcnt lgkmcnt(0)
	s_ashr_i32 s11, s10, 31
	s_lshl_b64 s[12:13], s[10:11], 17
	s_add_u32 s14, s6, s12
	s_addc_u32 s15, s7, s13
	s_and_b32 s22, s14, 7
	s_add_u32 s2, s8, s12
	s_add_u32 s16, s0, s12
	s_addc_u32 s17, s1, s13
	s_or_b32 s2, s16, s2
	s_and_b32 s2, s2, 7
	s_cmp_lg_u32 s2, 0
	s_cselect_b64 s[8:9], -1, 0
	s_lshl_b64 s[2:3], s[10:11], 16
	s_sub_u32 s2, s20, s2
	s_subb_u32 s3, s21, s3
	s_and_b32 s10, s20, 3
	s_mov_b32 s11, s23
	s_or_b64 s[10:11], s[22:23], s[10:11]
	s_cmp_lg_u64 s[10:11], 0
	s_cselect_b64 s[10:11], -1, 0
	s_or_b64 s[8:9], s[8:9], s[10:11]
	s_andn2_b64 vcc, exec, s[8:9]
	s_mov_b64 s[8:9], -1
	s_cbranch_vccz .LBB37_5
; %bb.1:
	v_mov_b32_e32 v4, 0x10000
	v_mov_b32_e32 v5, 0
	v_cmp_lt_i64_e32 vcc, s[2:3], v[4:5]
	v_lshlrev_b32_e32 v1, 2, v0
	s_and_b64 s[8:9], vcc, exec
	s_cselect_b32 s9, s3, 0
	s_cselect_b32 s8, s2, 0x10000
	v_cmp_gt_i64_e32 vcc, s[8:9], v[1:2]
	s_and_saveexec_b64 s[10:11], vcc
	s_cbranch_execz .LBB37_4
; %bb.2:
	s_load_dword s19, s[4:5], 0xc5c
	s_waitcnt vmcnt(0)
	v_mul_lo_u32 v4, v3, s18
	v_mov_b32_e32 v1, v2
	v_lshlrev_b32_e32 v2, 3, v0
	v_mov_b32_e32 v6, s13
	s_waitcnt lgkmcnt(0)
	s_and_b32 s19, s19, 0xffff
	v_add_co_u32_e32 v5, vcc, s12, v2
	v_mov_b32_e32 v2, v1
	v_addc_co_u32_e32 v6, vcc, 0, v6, vcc
	s_lshl_b32 s20, s19, 3
	s_mov_b64 s[12:13], 0
	v_mov_b32_e32 v7, s7
	v_mov_b32_e32 v8, s1
	;; [unrolled: 1-line block ×3, first 2 shown]
.LBB37_3:                               ; =>This Inner Loop Header: Depth=1
	v_add_co_u32_e32 v9, vcc, s6, v5
	v_addc_co_u32_e32 v10, vcc, v7, v6, vcc
	v_add_co_u32_e32 v11, vcc, s0, v5
	v_addc_co_u32_e32 v12, vcc, v8, v6, vcc
	global_load_dwordx2 v[13:14], v[11:12], off
	global_load_dwordx2 v[15:16], v[9:10], off
	v_add_co_u32_e32 v1, vcc, s19, v1
	v_addc_co_u32_e32 v2, vcc, 0, v2, vcc
	v_add_co_u32_e32 v5, vcc, s20, v5
	v_lshlrev_b64 v[11:12], 2, v[1:2]
	v_addc_co_u32_e32 v6, vcc, 0, v6, vcc
	v_cmp_le_i64_e32 vcc, s[8:9], v[11:12]
	s_or_b64 s[12:13], vcc, s[12:13]
	s_waitcnt vmcnt(1)
	v_mul_lo_u16_e32 v11, v4, v13
	s_waitcnt vmcnt(0)
	v_lshrrev_b32_e32 v12, 16, v15
	v_lshrrev_b32_e32 v13, 16, v13
	v_mad_legacy_u16 v17, v4, v14, v16
	v_lshrrev_b32_e32 v16, 16, v16
	v_lshrrev_b32_e32 v14, 16, v14
	v_mad_legacy_u16 v12, v4, v13, v12
	v_add_u16_e32 v11, v11, v15
	v_mad_legacy_u16 v13, v4, v14, v16
	v_lshlrev_b32_e32 v12, 16, v12
	v_lshlrev_b32_e32 v13, 16, v13
	v_or_b32_e32 v11, v12, v11
	v_or3_b32 v12, 0, v17, v13
	v_or3_b32 v11, v11, 0, 0
	global_store_dwordx2 v[9:10], v[11:12], off
	s_andn2_b64 exec, exec, s[12:13]
	s_cbranch_execnz .LBB37_3
.LBB37_4:
	s_or_b64 exec, exec, s[10:11]
	s_mov_b64 s[8:9], 0
.LBB37_5:
	s_andn2_b64 vcc, exec, s[8:9]
	s_cbranch_vccnz .LBB37_25
; %bb.6:
	v_cmp_lt_i64_e64 s[0:1], s[2:3], 1
	s_and_b64 vcc, exec, s[0:1]
	s_cbranch_vccnz .LBB37_25
; %bb.7:
	v_mov_b32_e32 v1, 0x10000
	s_load_dword s4, s[4:5], 0xc5c
	v_mov_b32_e32 v2, 0
	v_cmp_lt_i64_e32 vcc, s[2:3], v[1:2]
	s_waitcnt vmcnt(0)
	v_mul_lo_u32 v13, v3, s18
	s_and_b64 s[0:1], vcc, exec
	v_cmp_lt_u64_e32 vcc, s[2:3], v[1:2]
	s_cselect_b32 s1, s3, 0
	s_cselect_b32 s0, s2, 0x10000
	s_waitcnt lgkmcnt(0)
	s_and_b32 s9, s4, 0xffff
	s_and_b64 s[4:5], vcc, exec
	s_mov_b32 s8, 0
	s_cselect_b32 s3, s3, 0
	s_cselect_b32 s2, s2, 0x10000
	s_lshl_b32 s10, s9, 1
	s_mul_i32 s11, s9, 3
	s_lshl_b32 s12, s9, 2
	s_mov_b64 s[4:5], 0
	s_branch .LBB37_9
.LBB37_8:                               ;   in Loop: Header=BB37_9 Depth=1
	s_or_b64 exec, exec, s[6:7]
	s_add_u32 s4, s4, s12
	v_mov_b32_e32 v2, s1
	s_addc_u32 s5, s5, 0
	v_mov_b32_e32 v1, s0
	v_cmp_ge_i64_e32 vcc, s[4:5], v[1:2]
	s_cbranch_vccnz .LBB37_25
.LBB37_9:                               ; =>This Inner Loop Header: Depth=1
	v_mov_b32_e32 v1, s5
	v_add_co_u32_e32 v5, vcc, s4, v0
	v_addc_co_u32_e32 v6, vcc, 0, v1, vcc
	v_cmp_gt_i64_e32 vcc, s[0:1], v[5:6]
	v_mov_b32_e32 v1, 0
	v_mov_b32_e32 v3, 0
	;; [unrolled: 1-line block ×4, first 2 shown]
	s_and_saveexec_b64 s[6:7], vcc
	s_cbranch_execz .LBB37_11
; %bb.10:                               ;   in Loop: Header=BB37_9 Depth=1
	v_lshlrev_b64 v[1:2], 1, v[5:6]
	v_mov_b32_e32 v4, s15
	v_add_co_u32_e32 v3, vcc, s14, v1
	v_addc_co_u32_e32 v4, vcc, v4, v2, vcc
	v_mov_b32_e32 v7, s17
	v_add_co_u32_e32 v1, vcc, s16, v1
	v_addc_co_u32_e32 v2, vcc, v7, v2, vcc
	global_load_ushort v7, v[3:4], off
	global_load_ushort v8, v[1:2], off
	v_mov_b32_e32 v4, s8
	v_mov_b32_e32 v2, s8
	s_waitcnt vmcnt(1)
	v_and_b32_e32 v3, 0xffff, v7
	s_waitcnt vmcnt(0)
	v_and_b32_e32 v1, 0xffff, v8
.LBB37_11:                              ;   in Loop: Header=BB37_9 Depth=1
	s_or_b64 exec, exec, s[6:7]
	v_add_co_u32_e32 v7, vcc, s9, v5
	v_addc_co_u32_e32 v8, vcc, 0, v6, vcc
	v_cmp_gt_i64_e32 vcc, s[0:1], v[7:8]
	s_and_saveexec_b64 s[6:7], vcc
	s_cbranch_execz .LBB37_13
; %bb.12:                               ;   in Loop: Header=BB37_9 Depth=1
	v_lshlrev_b64 v[9:10], 1, v[7:8]
	v_mov_b32_e32 v12, s17
	v_add_co_u32_e32 v11, vcc, s16, v9
	v_addc_co_u32_e32 v12, vcc, v12, v10, vcc
	v_mov_b32_e32 v14, s15
	v_add_co_u32_e32 v9, vcc, s14, v9
	v_addc_co_u32_e32 v10, vcc, v14, v10, vcc
	global_load_ushort v14, v[9:10], off
	global_load_ushort v15, v[11:12], off
	s_waitcnt vmcnt(1)
	v_lshl_or_b32 v3, v14, 16, v3
	s_waitcnt vmcnt(0)
	v_lshl_or_b32 v1, v15, 16, v1
.LBB37_13:                              ;   in Loop: Header=BB37_9 Depth=1
	s_or_b64 exec, exec, s[6:7]
	v_add_co_u32_e32 v9, vcc, s10, v5
	v_addc_co_u32_e32 v10, vcc, 0, v6, vcc
	v_cmp_gt_i64_e32 vcc, s[0:1], v[9:10]
	s_and_saveexec_b64 s[6:7], vcc
	s_cbranch_execz .LBB37_15
; %bb.14:                               ;   in Loop: Header=BB37_9 Depth=1
	v_lshlrev_b64 v[11:12], 1, v[9:10]
	v_mov_b32_e32 v15, s17
	v_add_co_u32_e32 v14, vcc, s16, v11
	v_addc_co_u32_e32 v15, vcc, v15, v12, vcc
	v_mov_b32_e32 v16, s15
	v_add_co_u32_e32 v11, vcc, s14, v11
	v_addc_co_u32_e32 v12, vcc, v16, v12, vcc
	global_load_ushort v16, v[11:12], off
	global_load_ushort v17, v[14:15], off
	s_waitcnt vmcnt(1)
	v_or_b32_e32 v4, v16, v4
	s_waitcnt vmcnt(0)
	v_or_b32_e32 v2, v17, v2
.LBB37_15:                              ;   in Loop: Header=BB37_9 Depth=1
	s_or_b64 exec, exec, s[6:7]
	v_add_co_u32_e32 v11, vcc, s11, v5
	v_addc_co_u32_e32 v12, vcc, 0, v6, vcc
	v_cmp_gt_i64_e32 vcc, s[0:1], v[11:12]
	s_and_saveexec_b64 s[6:7], vcc
	s_cbranch_execnz .LBB37_20
; %bb.16:                               ;   in Loop: Header=BB37_9 Depth=1
	s_or_b64 exec, exec, s[6:7]
	v_cmp_gt_u64_e32 vcc, s[2:3], v[5:6]
	s_and_saveexec_b64 s[6:7], vcc
	s_cbranch_execnz .LBB37_21
.LBB37_17:                              ;   in Loop: Header=BB37_9 Depth=1
	s_or_b64 exec, exec, s[6:7]
	v_cmp_gt_u64_e32 vcc, s[2:3], v[7:8]
	s_and_saveexec_b64 s[6:7], vcc
	s_cbranch_execnz .LBB37_22
.LBB37_18:                              ;   in Loop: Header=BB37_9 Depth=1
	s_or_b64 exec, exec, s[6:7]
	v_cmp_gt_u64_e32 vcc, s[2:3], v[9:10]
	s_and_saveexec_b64 s[6:7], vcc
	s_cbranch_execnz .LBB37_23
.LBB37_19:                              ;   in Loop: Header=BB37_9 Depth=1
	s_or_b64 exec, exec, s[6:7]
	v_cmp_gt_u64_e32 vcc, s[2:3], v[11:12]
	s_and_saveexec_b64 s[6:7], vcc
	s_cbranch_execz .LBB37_8
	s_branch .LBB37_24
.LBB37_20:                              ;   in Loop: Header=BB37_9 Depth=1
	v_lshlrev_b64 v[14:15], 1, v[11:12]
	v_mov_b32_e32 v17, s17
	v_add_co_u32_e32 v16, vcc, s16, v14
	v_addc_co_u32_e32 v17, vcc, v17, v15, vcc
	v_mov_b32_e32 v18, s15
	v_add_co_u32_e32 v14, vcc, s14, v14
	v_addc_co_u32_e32 v15, vcc, v18, v15, vcc
	global_load_ushort v18, v[14:15], off
	global_load_ushort v19, v[16:17], off
	s_waitcnt vmcnt(1)
	v_lshlrev_b32_e32 v14, 16, v18
	s_waitcnt vmcnt(0)
	v_lshlrev_b32_e32 v15, 16, v19
	v_or_b32_e32 v4, v14, v4
	v_or_b32_e32 v2, v15, v2
	s_or_b64 exec, exec, s[6:7]
	v_cmp_gt_u64_e32 vcc, s[2:3], v[5:6]
	s_and_saveexec_b64 s[6:7], vcc
	s_cbranch_execz .LBB37_17
.LBB37_21:                              ;   in Loop: Header=BB37_9 Depth=1
	v_lshlrev_b64 v[5:6], 1, v[5:6]
	v_mov_b32_e32 v15, s15
	v_add_co_u32_e32 v5, vcc, s14, v5
	v_mad_legacy_u16 v14, v13, v1, v3
	v_addc_co_u32_e32 v6, vcc, v15, v6, vcc
	global_store_short v[5:6], v14, off
	s_or_b64 exec, exec, s[6:7]
	v_cmp_gt_u64_e32 vcc, s[2:3], v[7:8]
	s_and_saveexec_b64 s[6:7], vcc
	s_cbranch_execz .LBB37_18
.LBB37_22:                              ;   in Loop: Header=BB37_9 Depth=1
	v_lshlrev_b64 v[5:6], 1, v[7:8]
	v_lshrrev_b32_e32 v3, 16, v3
	v_lshrrev_b32_e32 v1, 16, v1
	v_mad_legacy_u16 v1, v13, v1, v3
	v_mov_b32_e32 v3, s15
	v_add_co_u32_e32 v5, vcc, s14, v5
	v_addc_co_u32_e32 v6, vcc, v3, v6, vcc
	global_store_short v[5:6], v1, off
	s_or_b64 exec, exec, s[6:7]
	v_cmp_gt_u64_e32 vcc, s[2:3], v[9:10]
	s_and_saveexec_b64 s[6:7], vcc
	s_cbranch_execz .LBB37_19
.LBB37_23:                              ;   in Loop: Header=BB37_9 Depth=1
	v_lshlrev_b64 v[5:6], 1, v[9:10]
	v_mov_b32_e32 v3, s15
	v_add_co_u32_e32 v5, vcc, s14, v5
	v_mad_legacy_u16 v1, v13, v2, v4
	v_addc_co_u32_e32 v6, vcc, v3, v6, vcc
	global_store_short v[5:6], v1, off
	s_or_b64 exec, exec, s[6:7]
	v_cmp_gt_u64_e32 vcc, s[2:3], v[11:12]
	s_and_saveexec_b64 s[6:7], vcc
	s_cbranch_execz .LBB37_8
.LBB37_24:                              ;   in Loop: Header=BB37_9 Depth=1
	v_lshrrev_b32_e32 v1, 16, v4
	v_lshrrev_b32_e32 v2, 16, v2
	v_mad_legacy_u16 v3, v13, v2, v1
	v_lshlrev_b64 v[1:2], 1, v[11:12]
	v_mov_b32_e32 v4, s15
	v_add_co_u32_e32 v1, vcc, s14, v1
	v_addc_co_u32_e32 v2, vcc, v4, v2, vcc
	global_store_short v[1:2], v3, off
	s_branch .LBB37_8
.LBB37_25:
	s_endpgm
	.section	.rodata,"a",@progbits
	.p2align	6, 0x0
	.amdhsa_kernel _ZN2at6native12_GLOBAL__N_125multi_tensor_apply_kernelINS1_18TensorListMetadataILi3EEENS1_32PointwiseOpScalar0dTensorFunctorIsLi3ELi2ELi0EEEJSt10multipliesIsEsEEEvT_T0_DpT1_
		.amdhsa_group_segment_fixed_size 0
		.amdhsa_private_segment_fixed_size 0
		.amdhsa_kernarg_size 3408
		.amdhsa_user_sgpr_count 6
		.amdhsa_user_sgpr_private_segment_buffer 1
		.amdhsa_user_sgpr_dispatch_ptr 0
		.amdhsa_user_sgpr_queue_ptr 0
		.amdhsa_user_sgpr_kernarg_segment_ptr 1
		.amdhsa_user_sgpr_dispatch_id 0
		.amdhsa_user_sgpr_flat_scratch_init 0
		.amdhsa_user_sgpr_private_segment_size 0
		.amdhsa_uses_dynamic_stack 0
		.amdhsa_system_sgpr_private_segment_wavefront_offset 0
		.amdhsa_system_sgpr_workgroup_id_x 1
		.amdhsa_system_sgpr_workgroup_id_y 0
		.amdhsa_system_sgpr_workgroup_id_z 0
		.amdhsa_system_sgpr_workgroup_info 0
		.amdhsa_system_vgpr_workitem_id 0
		.amdhsa_next_free_vgpr 20
		.amdhsa_next_free_sgpr 24
		.amdhsa_reserve_vcc 1
		.amdhsa_reserve_flat_scratch 0
		.amdhsa_float_round_mode_32 0
		.amdhsa_float_round_mode_16_64 0
		.amdhsa_float_denorm_mode_32 3
		.amdhsa_float_denorm_mode_16_64 3
		.amdhsa_dx10_clamp 1
		.amdhsa_ieee_mode 1
		.amdhsa_fp16_overflow 0
		.amdhsa_exception_fp_ieee_invalid_op 0
		.amdhsa_exception_fp_denorm_src 0
		.amdhsa_exception_fp_ieee_div_zero 0
		.amdhsa_exception_fp_ieee_overflow 0
		.amdhsa_exception_fp_ieee_underflow 0
		.amdhsa_exception_fp_ieee_inexact 0
		.amdhsa_exception_int_div_zero 0
	.end_amdhsa_kernel
	.section	.text._ZN2at6native12_GLOBAL__N_125multi_tensor_apply_kernelINS1_18TensorListMetadataILi3EEENS1_32PointwiseOpScalar0dTensorFunctorIsLi3ELi2ELi0EEEJSt10multipliesIsEsEEEvT_T0_DpT1_,"axG",@progbits,_ZN2at6native12_GLOBAL__N_125multi_tensor_apply_kernelINS1_18TensorListMetadataILi3EEENS1_32PointwiseOpScalar0dTensorFunctorIsLi3ELi2ELi0EEEJSt10multipliesIsEsEEEvT_T0_DpT1_,comdat
.Lfunc_end37:
	.size	_ZN2at6native12_GLOBAL__N_125multi_tensor_apply_kernelINS1_18TensorListMetadataILi3EEENS1_32PointwiseOpScalar0dTensorFunctorIsLi3ELi2ELi0EEEJSt10multipliesIsEsEEEvT_T0_DpT1_, .Lfunc_end37-_ZN2at6native12_GLOBAL__N_125multi_tensor_apply_kernelINS1_18TensorListMetadataILi3EEENS1_32PointwiseOpScalar0dTensorFunctorIsLi3ELi2ELi0EEEJSt10multipliesIsEsEEEvT_T0_DpT1_
                                        ; -- End function
	.set _ZN2at6native12_GLOBAL__N_125multi_tensor_apply_kernelINS1_18TensorListMetadataILi3EEENS1_32PointwiseOpScalar0dTensorFunctorIsLi3ELi2ELi0EEEJSt10multipliesIsEsEEEvT_T0_DpT1_.num_vgpr, 20
	.set _ZN2at6native12_GLOBAL__N_125multi_tensor_apply_kernelINS1_18TensorListMetadataILi3EEENS1_32PointwiseOpScalar0dTensorFunctorIsLi3ELi2ELi0EEEJSt10multipliesIsEsEEEvT_T0_DpT1_.num_agpr, 0
	.set _ZN2at6native12_GLOBAL__N_125multi_tensor_apply_kernelINS1_18TensorListMetadataILi3EEENS1_32PointwiseOpScalar0dTensorFunctorIsLi3ELi2ELi0EEEJSt10multipliesIsEsEEEvT_T0_DpT1_.numbered_sgpr, 24
	.set _ZN2at6native12_GLOBAL__N_125multi_tensor_apply_kernelINS1_18TensorListMetadataILi3EEENS1_32PointwiseOpScalar0dTensorFunctorIsLi3ELi2ELi0EEEJSt10multipliesIsEsEEEvT_T0_DpT1_.num_named_barrier, 0
	.set _ZN2at6native12_GLOBAL__N_125multi_tensor_apply_kernelINS1_18TensorListMetadataILi3EEENS1_32PointwiseOpScalar0dTensorFunctorIsLi3ELi2ELi0EEEJSt10multipliesIsEsEEEvT_T0_DpT1_.private_seg_size, 0
	.set _ZN2at6native12_GLOBAL__N_125multi_tensor_apply_kernelINS1_18TensorListMetadataILi3EEENS1_32PointwiseOpScalar0dTensorFunctorIsLi3ELi2ELi0EEEJSt10multipliesIsEsEEEvT_T0_DpT1_.uses_vcc, 1
	.set _ZN2at6native12_GLOBAL__N_125multi_tensor_apply_kernelINS1_18TensorListMetadataILi3EEENS1_32PointwiseOpScalar0dTensorFunctorIsLi3ELi2ELi0EEEJSt10multipliesIsEsEEEvT_T0_DpT1_.uses_flat_scratch, 0
	.set _ZN2at6native12_GLOBAL__N_125multi_tensor_apply_kernelINS1_18TensorListMetadataILi3EEENS1_32PointwiseOpScalar0dTensorFunctorIsLi3ELi2ELi0EEEJSt10multipliesIsEsEEEvT_T0_DpT1_.has_dyn_sized_stack, 0
	.set _ZN2at6native12_GLOBAL__N_125multi_tensor_apply_kernelINS1_18TensorListMetadataILi3EEENS1_32PointwiseOpScalar0dTensorFunctorIsLi3ELi2ELi0EEEJSt10multipliesIsEsEEEvT_T0_DpT1_.has_recursion, 0
	.set _ZN2at6native12_GLOBAL__N_125multi_tensor_apply_kernelINS1_18TensorListMetadataILi3EEENS1_32PointwiseOpScalar0dTensorFunctorIsLi3ELi2ELi0EEEJSt10multipliesIsEsEEEvT_T0_DpT1_.has_indirect_call, 0
	.section	.AMDGPU.csdata,"",@progbits
; Kernel info:
; codeLenInByte = 1380
; TotalNumSgprs: 28
; NumVgprs: 20
; ScratchSize: 0
; MemoryBound: 0
; FloatMode: 240
; IeeeMode: 1
; LDSByteSize: 0 bytes/workgroup (compile time only)
; SGPRBlocks: 3
; VGPRBlocks: 4
; NumSGPRsForWavesPerEU: 28
; NumVGPRsForWavesPerEU: 20
; Occupancy: 10
; WaveLimiterHint : 0
; COMPUTE_PGM_RSRC2:SCRATCH_EN: 0
; COMPUTE_PGM_RSRC2:USER_SGPR: 6
; COMPUTE_PGM_RSRC2:TRAP_HANDLER: 0
; COMPUTE_PGM_RSRC2:TGID_X_EN: 1
; COMPUTE_PGM_RSRC2:TGID_Y_EN: 0
; COMPUTE_PGM_RSRC2:TGID_Z_EN: 0
; COMPUTE_PGM_RSRC2:TIDIG_COMP_CNT: 0
	.section	.text._ZN2at6native12_GLOBAL__N_125multi_tensor_apply_kernelINS1_18TensorListMetadataILi3EEENS1_32PointwiseOpScalar0dTensorFunctorIdLi3ELi2ELi0EEEJSt10multipliesIdEdEEEvT_T0_DpT1_,"axG",@progbits,_ZN2at6native12_GLOBAL__N_125multi_tensor_apply_kernelINS1_18TensorListMetadataILi3EEENS1_32PointwiseOpScalar0dTensorFunctorIdLi3ELi2ELi0EEEJSt10multipliesIdEdEEEvT_T0_DpT1_,comdat
	.globl	_ZN2at6native12_GLOBAL__N_125multi_tensor_apply_kernelINS1_18TensorListMetadataILi3EEENS1_32PointwiseOpScalar0dTensorFunctorIdLi3ELi2ELi0EEEJSt10multipliesIdEdEEEvT_T0_DpT1_ ; -- Begin function _ZN2at6native12_GLOBAL__N_125multi_tensor_apply_kernelINS1_18TensorListMetadataILi3EEENS1_32PointwiseOpScalar0dTensorFunctorIdLi3ELi2ELi0EEEJSt10multipliesIdEdEEEvT_T0_DpT1_
	.p2align	8
	.type	_ZN2at6native12_GLOBAL__N_125multi_tensor_apply_kernelINS1_18TensorListMetadataILi3EEENS1_32PointwiseOpScalar0dTensorFunctorIdLi3ELi2ELi0EEEJSt10multipliesIdEdEEEvT_T0_DpT1_,@function
_ZN2at6native12_GLOBAL__N_125multi_tensor_apply_kernelINS1_18TensorListMetadataILi3EEENS1_32PointwiseOpScalar0dTensorFunctorIdLi3ELi2ELi0EEEJSt10multipliesIdEdEEEvT_T0_DpT1_: ; @_ZN2at6native12_GLOBAL__N_125multi_tensor_apply_kernelINS1_18TensorListMetadataILi3EEENS1_32PointwiseOpScalar0dTensorFunctorIdLi3ELi2ELi0EEEJSt10multipliesIdEdEEEvT_T0_DpT1_
; %bb.0:
	v_mov_b32_e32 v1, s6
	global_load_ubyte v1, v1, s[4:5] offset:1536
	s_add_u32 s0, s4, s6
	s_mul_hi_u32 s1, s6, 3
	s_mul_i32 s6, s6, 3
	s_addc_u32 s2, s5, 0
	s_add_u32 s0, s0, s6
	s_addc_u32 s1, s2, s1
	s_load_dword s10, s[0:1], 0x740
	s_load_dwordx2 s[2:3], s[4:5], 0xc50
	s_mov_b32 s15, 0
	s_mov_b32 s17, s15
	s_waitcnt lgkmcnt(0)
	s_ashr_i32 s11, s10, 31
	s_waitcnt vmcnt(0)
	v_readfirstlane_b32 s0, v1
	s_lshl_b32 s6, s0, 3
	s_load_dwordx2 s[8:9], s[4:5], s6 offset:0x0
	s_load_dwordx2 s[18:19], s[4:5], s6 offset:0x180
	;; [unrolled: 1-line block ×4, first 2 shown]
	s_lshl_b64 s[0:1], s[10:11], 19
	s_waitcnt lgkmcnt(0)
	s_add_u32 s24, s8, s0
	s_addc_u32 s25, s9, s1
	s_and_b32 s14, s24, 31
	s_add_u32 s16, s18, s0
	s_add_u32 s26, s12, s0
	s_addc_u32 s27, s13, s1
	s_or_b32 s16, s26, s16
	s_and_b32 s16, s16, 31
	s_cmp_lg_u32 s16, 0
	s_load_dwordx2 s[6:7], s[18:19], 0x0
	s_cselect_b64 s[18:19], -1, 0
	s_lshl_b64 s[10:11], s[10:11], 16
	s_sub_u32 s10, s20, s10
	s_subb_u32 s11, s21, s11
	s_and_b32 s16, s20, 3
	s_or_b64 s[14:15], s[14:15], s[16:17]
	s_cmp_lg_u64 s[14:15], 0
	s_cselect_b64 s[14:15], -1, 0
	s_or_b64 s[14:15], s[18:19], s[14:15]
	s_andn2_b64 vcc, exec, s[14:15]
	s_mov_b64 s[14:15], -1
	s_cbranch_vccz .LBB38_21
; %bb.1:
	v_mov_b32_e32 v1, 0x10000
	v_mov_b32_e32 v2, 0
	v_cmp_lt_i64_e32 vcc, s[10:11], v[1:2]
	v_mov_b32_e32 v2, 0
	s_and_b64 s[14:15], vcc, exec
	s_cselect_b32 s15, s11, 0
	s_cselect_b32 s14, s10, 0x10000
	v_lshlrev_b32_e32 v1, 2, v0
	v_cmp_gt_i64_e32 vcc, s[14:15], v[1:2]
	s_and_saveexec_b64 s[16:17], vcc
	s_cbranch_execz .LBB38_20
; %bb.2:
	v_cmp_neq_f64_e64 s[18:19], s[2:3], 1.0
	s_load_dword s20, s[4:5], 0xc64
	v_mov_b32_e32 v1, v2
	v_lshlrev_b32_e32 v2, 5, v0
	v_mov_b32_e32 v3, s1
	v_add_co_u32_e32 v25, vcc, s0, v2
	s_waitcnt lgkmcnt(0)
	s_and_b32 s28, s20, 0xffff
	v_mov_b32_e32 v22, v1
	v_addc_co_u32_e32 v26, vcc, 0, v3, vcc
	s_lshl_b32 s29, s28, 5
	s_mov_b64 s[20:21], 0
	v_mov_b32_e32 v27, s9
	v_mov_b32_e32 v28, s13
	;; [unrolled: 1-line block ×3, first 2 shown]
	s_branch .LBB38_4
.LBB38_3:                               ;   in Loop: Header=BB38_4 Depth=1
	v_add_co_u32_e32 v21, vcc, s28, v21
	v_addc_co_u32_e32 v22, vcc, 0, v22, vcc
	s_waitcnt vmcnt(3)
	v_lshlrev_b64 v[1:2], 2, v[21:22]
	global_store_dwordx4 v[23:24], v[5:8], off
	v_cmp_le_i64_e32 vcc, s[14:15], v[1:2]
	s_waitcnt vmcnt(3)
	global_store_dwordx4 v[23:24], v[13:16], off offset:16
	s_or_b64 s[20:21], vcc, s[20:21]
	v_add_co_u32_e32 v25, vcc, s29, v25
	v_addc_co_u32_e32 v26, vcc, 0, v26, vcc
	s_andn2_b64 exec, exec, s[20:21]
	s_cbranch_execz .LBB38_20
.LBB38_4:                               ; =>This Inner Loop Header: Depth=1
	v_add_co_u32_e32 v23, vcc, s8, v25
	v_addc_co_u32_e32 v24, vcc, v27, v26, vcc
	v_add_co_u32_e32 v5, vcc, s12, v25
	v_addc_co_u32_e32 v6, vcc, v28, v26, vcc
	global_load_dwordx4 v[1:4], v[23:24], off offset:16
	global_load_dwordx4 v[13:16], v[23:24], off
	global_load_dwordx4 v[9:12], v[5:6], off offset:16
	global_load_dwordx4 v[17:20], v[5:6], off
	s_and_b64 vcc, exec, s[18:19]
	s_cbranch_vccz .LBB38_15
; %bb.5:                                ;   in Loop: Header=BB38_4 Depth=1
	s_waitcnt vmcnt(0)
	v_mul_f64 v[5:6], s[6:7], v[17:18]
	v_fma_f64 v[5:6], s[2:3], v[5:6], v[13:14]
	s_cbranch_execnz .LBB38_7
.LBB38_6:                               ;   in Loop: Header=BB38_4 Depth=1
	s_waitcnt vmcnt(0)
	v_fma_f64 v[5:6], s[6:7], v[17:18], v[13:14]
.LBB38_7:                               ;   in Loop: Header=BB38_4 Depth=1
	v_cndmask_b32_e64 v7, 0, 1, s[18:19]
	v_cmp_ne_u32_e64 s[0:1], 1, v7
	s_andn2_b64 vcc, exec, s[18:19]
	s_cbranch_vccnz .LBB38_16
; %bb.8:                                ;   in Loop: Header=BB38_4 Depth=1
	s_waitcnt vmcnt(0)
	v_mul_f64 v[7:8], s[6:7], v[19:20]
	v_fma_f64 v[7:8], s[2:3], v[7:8], v[15:16]
	s_cbranch_execnz .LBB38_10
.LBB38_9:                               ;   in Loop: Header=BB38_4 Depth=1
	s_waitcnt vmcnt(0)
	v_fma_f64 v[7:8], s[6:7], v[19:20], v[15:16]
.LBB38_10:                              ;   in Loop: Header=BB38_4 Depth=1
	s_and_b64 vcc, exec, s[0:1]
	s_cbranch_vccnz .LBB38_17
; %bb.11:                               ;   in Loop: Header=BB38_4 Depth=1
	s_waitcnt vmcnt(1)
	v_mul_f64 v[13:14], s[6:7], v[9:10]
	v_fma_f64 v[13:14], s[2:3], v[13:14], v[1:2]
	s_cbranch_execnz .LBB38_13
.LBB38_12:                              ;   in Loop: Header=BB38_4 Depth=1
	s_waitcnt vmcnt(1)
	v_fma_f64 v[13:14], s[6:7], v[9:10], v[1:2]
.LBB38_13:                              ;   in Loop: Header=BB38_4 Depth=1
	s_and_b64 vcc, exec, s[0:1]
	s_cbranch_vccnz .LBB38_18
; %bb.14:                               ;   in Loop: Header=BB38_4 Depth=1
	s_waitcnt vmcnt(1)
	v_mul_f64 v[1:2], s[6:7], v[11:12]
	v_fma_f64 v[15:16], s[2:3], v[1:2], v[3:4]
	s_cbranch_execnz .LBB38_3
	s_branch .LBB38_19
.LBB38_15:                              ;   in Loop: Header=BB38_4 Depth=1
                                        ; implicit-def: $vgpr5_vgpr6
	s_branch .LBB38_6
.LBB38_16:                              ;   in Loop: Header=BB38_4 Depth=1
	s_branch .LBB38_9
.LBB38_17:                              ;   in Loop: Header=BB38_4 Depth=1
                                        ; implicit-def: $vgpr13_vgpr14
	s_branch .LBB38_12
.LBB38_18:                              ;   in Loop: Header=BB38_4 Depth=1
.LBB38_19:                              ;   in Loop: Header=BB38_4 Depth=1
	s_waitcnt vmcnt(1)
	v_fma_f64 v[15:16], s[6:7], v[11:12], v[3:4]
	s_branch .LBB38_3
.LBB38_20:
	s_or_b64 exec, exec, s[16:17]
	s_mov_b64 s[14:15], 0
.LBB38_21:
	s_andn2_b64 vcc, exec, s[14:15]
	s_cbranch_vccnz .LBB38_57
; %bb.22:
	v_cmp_lt_i64_e64 s[0:1], s[10:11], 1
	s_and_b64 vcc, exec, s[0:1]
	s_cbranch_vccnz .LBB38_57
; %bb.23:
	v_mov_b32_e32 v1, 0x10000
	s_load_dword s8, s[4:5], 0xc64
	v_mov_b32_e32 v2, 0
	v_cmp_lt_i64_e32 vcc, s[10:11], v[1:2]
	s_mov_b64 s[12:13], 0
	s_and_b64 s[0:1], vcc, exec
	s_cselect_b32 s5, s11, 0
	s_cselect_b32 s4, s10, 0x10000
	s_waitcnt lgkmcnt(0)
	s_and_b32 s16, s8, 0xffff
	v_cmp_neq_f64_e64 s[8:9], s[2:3], 1.0
	v_cmp_lt_u64_e32 vcc, s[10:11], v[1:2]
	s_mul_i32 s18, s16, 3
	s_and_b64 s[0:1], vcc, exec
	s_cselect_b32 s11, s11, 0
	s_cselect_b32 s10, s10, 0x10000
	s_lshl_b32 s17, s16, 1
	s_lshl_b32 s19, s16, 2
	s_branch .LBB38_25
.LBB38_24:                              ;   in Loop: Header=BB38_25 Depth=1
	s_or_b64 exec, exec, s[0:1]
	s_add_u32 s12, s12, s19
	v_mov_b32_e32 v1, s4
	s_addc_u32 s13, s13, 0
	v_mov_b32_e32 v2, s5
	v_cmp_ge_i64_e32 vcc, s[12:13], v[1:2]
	s_cbranch_vccnz .LBB38_57
.LBB38_25:                              ; =>This Inner Loop Header: Depth=1
	v_mov_b32_e32 v2, s13
	v_add_co_u32_e32 v1, vcc, s12, v0
	v_addc_co_u32_e32 v2, vcc, 0, v2, vcc
	v_cmp_gt_i64_e32 vcc, s[4:5], v[1:2]
	s_waitcnt vmcnt(3)
	v_mov_b32_e32 v9, 0
	v_mov_b32_e32 v13, 0
	;; [unrolled: 1-line block ×6, first 2 shown]
	s_and_saveexec_b64 s[0:1], vcc
	s_cbranch_execz .LBB38_27
; %bb.26:                               ;   in Loop: Header=BB38_25 Depth=1
	v_lshlrev_b64 v[3:4], 3, v[1:2]
	v_mov_b32_e32 v6, s25
	v_add_co_u32_e32 v5, vcc, s24, v3
	v_addc_co_u32_e32 v6, vcc, v6, v4, vcc
	v_mov_b32_e32 v7, s27
	v_add_co_u32_e32 v3, vcc, s26, v3
	v_addc_co_u32_e32 v4, vcc, v7, v4, vcc
	global_load_dwordx2 v[15:16], v[5:6], off
	global_load_dwordx2 v[13:14], v[3:4], off
.LBB38_27:                              ;   in Loop: Header=BB38_25 Depth=1
	s_or_b64 exec, exec, s[0:1]
	v_add_co_u32_e32 v3, vcc, s16, v1
	v_addc_co_u32_e32 v4, vcc, 0, v2, vcc
	v_cmp_gt_i64_e32 vcc, s[4:5], v[3:4]
	s_waitcnt vmcnt(2)
	v_mov_b32_e32 v17, 0
	v_mov_b32_e32 v18, 0
	s_and_saveexec_b64 s[0:1], vcc
	s_cbranch_execz .LBB38_29
; %bb.28:                               ;   in Loop: Header=BB38_25 Depth=1
	v_lshlrev_b64 v[5:6], 3, v[3:4]
	v_mov_b32_e32 v8, s25
	v_add_co_u32_e32 v7, vcc, s24, v5
	v_addc_co_u32_e32 v8, vcc, v8, v6, vcc
	v_mov_b32_e32 v9, s27
	v_add_co_u32_e32 v5, vcc, s26, v5
	v_addc_co_u32_e32 v6, vcc, v9, v6, vcc
	global_load_dwordx2 v[17:18], v[7:8], off
	global_load_dwordx2 v[9:10], v[5:6], off
.LBB38_29:                              ;   in Loop: Header=BB38_25 Depth=1
	s_or_b64 exec, exec, s[0:1]
	v_add_co_u32_e32 v5, vcc, s17, v1
	v_addc_co_u32_e32 v6, vcc, 0, v2, vcc
	v_cmp_gt_i64_e32 vcc, s[4:5], v[5:6]
	v_mov_b32_e32 v11, 0
	v_mov_b32_e32 v19, 0
	;; [unrolled: 1-line block ×6, first 2 shown]
	s_and_saveexec_b64 s[0:1], vcc
	s_cbranch_execz .LBB38_31
; %bb.30:                               ;   in Loop: Header=BB38_25 Depth=1
	v_lshlrev_b64 v[7:8], 3, v[5:6]
	v_mov_b32_e32 v19, s25
	v_add_co_u32_e32 v23, vcc, s24, v7
	v_addc_co_u32_e32 v24, vcc, v19, v8, vcc
	v_mov_b32_e32 v19, s27
	v_add_co_u32_e32 v7, vcc, s26, v7
	v_addc_co_u32_e32 v8, vcc, v19, v8, vcc
	global_load_dwordx2 v[21:22], v[23:24], off
	global_load_dwordx2 v[19:20], v[7:8], off
.LBB38_31:                              ;   in Loop: Header=BB38_25 Depth=1
	s_or_b64 exec, exec, s[0:1]
	v_add_co_u32_e32 v7, vcc, s18, v1
	v_addc_co_u32_e32 v8, vcc, 0, v2, vcc
	v_cmp_gt_i64_e32 vcc, s[4:5], v[7:8]
	v_mov_b32_e32 v23, 0
	v_mov_b32_e32 v24, 0
	s_and_saveexec_b64 s[0:1], vcc
	s_cbranch_execz .LBB38_33
; %bb.32:                               ;   in Loop: Header=BB38_25 Depth=1
	v_lshlrev_b64 v[11:12], 3, v[7:8]
	v_mov_b32_e32 v23, s25
	v_add_co_u32_e32 v25, vcc, s24, v11
	v_addc_co_u32_e32 v26, vcc, v23, v12, vcc
	v_mov_b32_e32 v23, s27
	v_add_co_u32_e32 v27, vcc, s26, v11
	v_addc_co_u32_e32 v28, vcc, v23, v12, vcc
	global_load_dwordx2 v[23:24], v[25:26], off
	global_load_dwordx2 v[11:12], v[27:28], off
.LBB38_33:                              ;   in Loop: Header=BB38_25 Depth=1
	s_or_b64 exec, exec, s[0:1]
	s_and_b64 vcc, exec, s[8:9]
	s_cbranch_vccz .LBB38_53
; %bb.34:                               ;   in Loop: Header=BB38_25 Depth=1
	s_waitcnt vmcnt(0)
	v_mul_f64 v[25:26], s[6:7], v[13:14]
	v_fma_f64 v[25:26], s[2:3], v[25:26], v[15:16]
	s_cbranch_execnz .LBB38_36
.LBB38_35:                              ;   in Loop: Header=BB38_25 Depth=1
	s_waitcnt vmcnt(0)
	v_fma_f64 v[25:26], s[6:7], v[13:14], v[15:16]
.LBB38_36:                              ;   in Loop: Header=BB38_25 Depth=1
	s_waitcnt vmcnt(0)
	v_cndmask_b32_e64 v13, 0, 1, s[8:9]
	v_cmp_ne_u32_e64 s[0:1], 1, v13
	s_andn2_b64 vcc, exec, s[8:9]
	s_cbranch_vccnz .LBB38_54
; %bb.37:                               ;   in Loop: Header=BB38_25 Depth=1
	v_mul_f64 v[13:14], s[6:7], v[9:10]
	v_fma_f64 v[13:14], s[2:3], v[13:14], v[17:18]
	s_cbranch_execnz .LBB38_39
.LBB38_38:                              ;   in Loop: Header=BB38_25 Depth=1
	v_fma_f64 v[13:14], s[6:7], v[9:10], v[17:18]
.LBB38_39:                              ;   in Loop: Header=BB38_25 Depth=1
	s_and_b64 vcc, exec, s[0:1]
	s_cbranch_vccnz .LBB38_55
; %bb.40:                               ;   in Loop: Header=BB38_25 Depth=1
	v_mul_f64 v[9:10], s[6:7], v[19:20]
	v_fma_f64 v[9:10], s[2:3], v[9:10], v[21:22]
	s_cbranch_execnz .LBB38_42
.LBB38_41:                              ;   in Loop: Header=BB38_25 Depth=1
	v_fma_f64 v[9:10], s[6:7], v[19:20], v[21:22]
.LBB38_42:                              ;   in Loop: Header=BB38_25 Depth=1
	s_and_b64 vcc, exec, s[0:1]
	s_cbranch_vccnz .LBB38_56
; %bb.43:                               ;   in Loop: Header=BB38_25 Depth=1
	v_mul_f64 v[15:16], s[6:7], v[11:12]
	v_fma_f64 v[15:16], s[2:3], v[15:16], v[23:24]
	s_cbranch_execnz .LBB38_45
.LBB38_44:                              ;   in Loop: Header=BB38_25 Depth=1
	v_fma_f64 v[15:16], s[6:7], v[11:12], v[23:24]
.LBB38_45:                              ;   in Loop: Header=BB38_25 Depth=1
	v_cmp_gt_u64_e32 vcc, s[10:11], v[1:2]
	s_and_saveexec_b64 s[0:1], vcc
	s_xor_b64 s[0:1], exec, s[0:1]
	s_cbranch_execz .LBB38_47
; %bb.46:                               ;   in Loop: Header=BB38_25 Depth=1
	v_lshlrev_b64 v[1:2], 3, v[1:2]
	v_mov_b32_e32 v11, s25
	v_add_co_u32_e32 v1, vcc, s24, v1
	v_addc_co_u32_e32 v2, vcc, v11, v2, vcc
	global_store_dwordx2 v[1:2], v[25:26], off
.LBB38_47:                              ;   in Loop: Header=BB38_25 Depth=1
	s_or_b64 exec, exec, s[0:1]
	v_cmp_gt_u64_e32 vcc, s[10:11], v[3:4]
	s_and_saveexec_b64 s[0:1], vcc
	s_cbranch_execnz .LBB38_50
; %bb.48:                               ;   in Loop: Header=BB38_25 Depth=1
	s_or_b64 exec, exec, s[0:1]
	v_cmp_gt_u64_e32 vcc, s[10:11], v[5:6]
	s_and_saveexec_b64 s[0:1], vcc
	s_cbranch_execnz .LBB38_51
.LBB38_49:                              ;   in Loop: Header=BB38_25 Depth=1
	s_or_b64 exec, exec, s[0:1]
	v_cmp_gt_u64_e32 vcc, s[10:11], v[7:8]
	s_and_saveexec_b64 s[0:1], vcc
	s_cbranch_execz .LBB38_24
	s_branch .LBB38_52
.LBB38_50:                              ;   in Loop: Header=BB38_25 Depth=1
	v_lshlrev_b64 v[1:2], 3, v[3:4]
	v_mov_b32_e32 v3, s25
	v_add_co_u32_e32 v1, vcc, s24, v1
	v_addc_co_u32_e32 v2, vcc, v3, v2, vcc
	global_store_dwordx2 v[1:2], v[13:14], off
	s_or_b64 exec, exec, s[0:1]
	v_cmp_gt_u64_e32 vcc, s[10:11], v[5:6]
	s_and_saveexec_b64 s[0:1], vcc
	s_cbranch_execz .LBB38_49
.LBB38_51:                              ;   in Loop: Header=BB38_25 Depth=1
	v_lshlrev_b64 v[1:2], 3, v[5:6]
	v_mov_b32_e32 v3, s25
	v_add_co_u32_e32 v1, vcc, s24, v1
	v_addc_co_u32_e32 v2, vcc, v3, v2, vcc
	global_store_dwordx2 v[1:2], v[9:10], off
	s_or_b64 exec, exec, s[0:1]
	v_cmp_gt_u64_e32 vcc, s[10:11], v[7:8]
	s_and_saveexec_b64 s[0:1], vcc
	s_cbranch_execz .LBB38_24
.LBB38_52:                              ;   in Loop: Header=BB38_25 Depth=1
	v_lshlrev_b64 v[1:2], 3, v[7:8]
	v_mov_b32_e32 v3, s25
	v_add_co_u32_e32 v1, vcc, s24, v1
	v_addc_co_u32_e32 v2, vcc, v3, v2, vcc
	global_store_dwordx2 v[1:2], v[15:16], off
	s_branch .LBB38_24
.LBB38_53:                              ;   in Loop: Header=BB38_25 Depth=1
                                        ; implicit-def: $vgpr25_vgpr26
	s_branch .LBB38_35
.LBB38_54:                              ;   in Loop: Header=BB38_25 Depth=1
                                        ; implicit-def: $vgpr13_vgpr14
	s_branch .LBB38_38
.LBB38_55:                              ;   in Loop: Header=BB38_25 Depth=1
                                        ; implicit-def: $vgpr9_vgpr10
	s_branch .LBB38_41
.LBB38_56:                              ;   in Loop: Header=BB38_25 Depth=1
                                        ; implicit-def: $vgpr15_vgpr16
	s_branch .LBB38_44
.LBB38_57:
	s_endpgm
	.section	.rodata,"a",@progbits
	.p2align	6, 0x0
	.amdhsa_kernel _ZN2at6native12_GLOBAL__N_125multi_tensor_apply_kernelINS1_18TensorListMetadataILi3EEENS1_32PointwiseOpScalar0dTensorFunctorIdLi3ELi2ELi0EEEJSt10multipliesIdEdEEEvT_T0_DpT1_
		.amdhsa_group_segment_fixed_size 0
		.amdhsa_private_segment_fixed_size 0
		.amdhsa_kernarg_size 3416
		.amdhsa_user_sgpr_count 6
		.amdhsa_user_sgpr_private_segment_buffer 1
		.amdhsa_user_sgpr_dispatch_ptr 0
		.amdhsa_user_sgpr_queue_ptr 0
		.amdhsa_user_sgpr_kernarg_segment_ptr 1
		.amdhsa_user_sgpr_dispatch_id 0
		.amdhsa_user_sgpr_flat_scratch_init 0
		.amdhsa_user_sgpr_private_segment_size 0
		.amdhsa_uses_dynamic_stack 0
		.amdhsa_system_sgpr_private_segment_wavefront_offset 0
		.amdhsa_system_sgpr_workgroup_id_x 1
		.amdhsa_system_sgpr_workgroup_id_y 0
		.amdhsa_system_sgpr_workgroup_id_z 0
		.amdhsa_system_sgpr_workgroup_info 0
		.amdhsa_system_vgpr_workitem_id 0
		.amdhsa_next_free_vgpr 29
		.amdhsa_next_free_sgpr 30
		.amdhsa_reserve_vcc 1
		.amdhsa_reserve_flat_scratch 0
		.amdhsa_float_round_mode_32 0
		.amdhsa_float_round_mode_16_64 0
		.amdhsa_float_denorm_mode_32 3
		.amdhsa_float_denorm_mode_16_64 3
		.amdhsa_dx10_clamp 1
		.amdhsa_ieee_mode 1
		.amdhsa_fp16_overflow 0
		.amdhsa_exception_fp_ieee_invalid_op 0
		.amdhsa_exception_fp_denorm_src 0
		.amdhsa_exception_fp_ieee_div_zero 0
		.amdhsa_exception_fp_ieee_overflow 0
		.amdhsa_exception_fp_ieee_underflow 0
		.amdhsa_exception_fp_ieee_inexact 0
		.amdhsa_exception_int_div_zero 0
	.end_amdhsa_kernel
	.section	.text._ZN2at6native12_GLOBAL__N_125multi_tensor_apply_kernelINS1_18TensorListMetadataILi3EEENS1_32PointwiseOpScalar0dTensorFunctorIdLi3ELi2ELi0EEEJSt10multipliesIdEdEEEvT_T0_DpT1_,"axG",@progbits,_ZN2at6native12_GLOBAL__N_125multi_tensor_apply_kernelINS1_18TensorListMetadataILi3EEENS1_32PointwiseOpScalar0dTensorFunctorIdLi3ELi2ELi0EEEJSt10multipliesIdEdEEEvT_T0_DpT1_,comdat
.Lfunc_end38:
	.size	_ZN2at6native12_GLOBAL__N_125multi_tensor_apply_kernelINS1_18TensorListMetadataILi3EEENS1_32PointwiseOpScalar0dTensorFunctorIdLi3ELi2ELi0EEEJSt10multipliesIdEdEEEvT_T0_DpT1_, .Lfunc_end38-_ZN2at6native12_GLOBAL__N_125multi_tensor_apply_kernelINS1_18TensorListMetadataILi3EEENS1_32PointwiseOpScalar0dTensorFunctorIdLi3ELi2ELi0EEEJSt10multipliesIdEdEEEvT_T0_DpT1_
                                        ; -- End function
	.set _ZN2at6native12_GLOBAL__N_125multi_tensor_apply_kernelINS1_18TensorListMetadataILi3EEENS1_32PointwiseOpScalar0dTensorFunctorIdLi3ELi2ELi0EEEJSt10multipliesIdEdEEEvT_T0_DpT1_.num_vgpr, 29
	.set _ZN2at6native12_GLOBAL__N_125multi_tensor_apply_kernelINS1_18TensorListMetadataILi3EEENS1_32PointwiseOpScalar0dTensorFunctorIdLi3ELi2ELi0EEEJSt10multipliesIdEdEEEvT_T0_DpT1_.num_agpr, 0
	.set _ZN2at6native12_GLOBAL__N_125multi_tensor_apply_kernelINS1_18TensorListMetadataILi3EEENS1_32PointwiseOpScalar0dTensorFunctorIdLi3ELi2ELi0EEEJSt10multipliesIdEdEEEvT_T0_DpT1_.numbered_sgpr, 30
	.set _ZN2at6native12_GLOBAL__N_125multi_tensor_apply_kernelINS1_18TensorListMetadataILi3EEENS1_32PointwiseOpScalar0dTensorFunctorIdLi3ELi2ELi0EEEJSt10multipliesIdEdEEEvT_T0_DpT1_.num_named_barrier, 0
	.set _ZN2at6native12_GLOBAL__N_125multi_tensor_apply_kernelINS1_18TensorListMetadataILi3EEENS1_32PointwiseOpScalar0dTensorFunctorIdLi3ELi2ELi0EEEJSt10multipliesIdEdEEEvT_T0_DpT1_.private_seg_size, 0
	.set _ZN2at6native12_GLOBAL__N_125multi_tensor_apply_kernelINS1_18TensorListMetadataILi3EEENS1_32PointwiseOpScalar0dTensorFunctorIdLi3ELi2ELi0EEEJSt10multipliesIdEdEEEvT_T0_DpT1_.uses_vcc, 1
	.set _ZN2at6native12_GLOBAL__N_125multi_tensor_apply_kernelINS1_18TensorListMetadataILi3EEENS1_32PointwiseOpScalar0dTensorFunctorIdLi3ELi2ELi0EEEJSt10multipliesIdEdEEEvT_T0_DpT1_.uses_flat_scratch, 0
	.set _ZN2at6native12_GLOBAL__N_125multi_tensor_apply_kernelINS1_18TensorListMetadataILi3EEENS1_32PointwiseOpScalar0dTensorFunctorIdLi3ELi2ELi0EEEJSt10multipliesIdEdEEEvT_T0_DpT1_.has_dyn_sized_stack, 0
	.set _ZN2at6native12_GLOBAL__N_125multi_tensor_apply_kernelINS1_18TensorListMetadataILi3EEENS1_32PointwiseOpScalar0dTensorFunctorIdLi3ELi2ELi0EEEJSt10multipliesIdEdEEEvT_T0_DpT1_.has_recursion, 0
	.set _ZN2at6native12_GLOBAL__N_125multi_tensor_apply_kernelINS1_18TensorListMetadataILi3EEENS1_32PointwiseOpScalar0dTensorFunctorIdLi3ELi2ELi0EEEJSt10multipliesIdEdEEEvT_T0_DpT1_.has_indirect_call, 0
	.section	.AMDGPU.csdata,"",@progbits
; Kernel info:
; codeLenInByte = 1596
; TotalNumSgprs: 34
; NumVgprs: 29
; ScratchSize: 0
; MemoryBound: 1
; FloatMode: 240
; IeeeMode: 1
; LDSByteSize: 0 bytes/workgroup (compile time only)
; SGPRBlocks: 4
; VGPRBlocks: 7
; NumSGPRsForWavesPerEU: 34
; NumVGPRsForWavesPerEU: 29
; Occupancy: 8
; WaveLimiterHint : 0
; COMPUTE_PGM_RSRC2:SCRATCH_EN: 0
; COMPUTE_PGM_RSRC2:USER_SGPR: 6
; COMPUTE_PGM_RSRC2:TRAP_HANDLER: 0
; COMPUTE_PGM_RSRC2:TGID_X_EN: 1
; COMPUTE_PGM_RSRC2:TGID_Y_EN: 0
; COMPUTE_PGM_RSRC2:TGID_Z_EN: 0
; COMPUTE_PGM_RSRC2:TIDIG_COMP_CNT: 0
	.section	.text._ZN2at6native12_GLOBAL__N_125multi_tensor_apply_kernelINS1_18TensorListMetadataILi3EEENS1_32PointwiseOpScalar0dTensorFunctorIfLi3ELi2ELi0EEEJSt10multipliesIfEfEEEvT_T0_DpT1_,"axG",@progbits,_ZN2at6native12_GLOBAL__N_125multi_tensor_apply_kernelINS1_18TensorListMetadataILi3EEENS1_32PointwiseOpScalar0dTensorFunctorIfLi3ELi2ELi0EEEJSt10multipliesIfEfEEEvT_T0_DpT1_,comdat
	.globl	_ZN2at6native12_GLOBAL__N_125multi_tensor_apply_kernelINS1_18TensorListMetadataILi3EEENS1_32PointwiseOpScalar0dTensorFunctorIfLi3ELi2ELi0EEEJSt10multipliesIfEfEEEvT_T0_DpT1_ ; -- Begin function _ZN2at6native12_GLOBAL__N_125multi_tensor_apply_kernelINS1_18TensorListMetadataILi3EEENS1_32PointwiseOpScalar0dTensorFunctorIfLi3ELi2ELi0EEEJSt10multipliesIfEfEEEvT_T0_DpT1_
	.p2align	8
	.type	_ZN2at6native12_GLOBAL__N_125multi_tensor_apply_kernelINS1_18TensorListMetadataILi3EEENS1_32PointwiseOpScalar0dTensorFunctorIfLi3ELi2ELi0EEEJSt10multipliesIfEfEEEvT_T0_DpT1_,@function
_ZN2at6native12_GLOBAL__N_125multi_tensor_apply_kernelINS1_18TensorListMetadataILi3EEENS1_32PointwiseOpScalar0dTensorFunctorIfLi3ELi2ELi0EEEJSt10multipliesIfEfEEEvT_T0_DpT1_: ; @_ZN2at6native12_GLOBAL__N_125multi_tensor_apply_kernelINS1_18TensorListMetadataILi3EEENS1_32PointwiseOpScalar0dTensorFunctorIfLi3ELi2ELi0EEEJSt10multipliesIfEfEEEvT_T0_DpT1_
; %bb.0:
	v_mov_b32_e32 v1, s6
	global_load_ubyte v1, v1, s[4:5] offset:1536
	s_add_u32 s0, s4, s6
	s_mul_hi_u32 s1, s6, 3
	s_mul_i32 s6, s6, 3
	s_addc_u32 s2, s5, 0
	s_add_u32 s0, s0, s6
	s_addc_u32 s1, s2, s1
	s_load_dword s2, s[0:1], 0x740
	s_load_dword s18, s[4:5], 0xc4c
	s_mov_b32 s13, 0
	s_mov_b32 s15, s13
	s_waitcnt lgkmcnt(0)
	s_ashr_i32 s3, s2, 31
	s_waitcnt vmcnt(0)
	v_readfirstlane_b32 s0, v1
	s_lshl_b32 s12, s0, 3
	s_load_dwordx2 s[8:9], s[4:5], s12 offset:0x0
	s_load_dwordx2 s[6:7], s[4:5], s12 offset:0x180
	;; [unrolled: 1-line block ×4, first 2 shown]
	s_lshl_b64 s[0:1], s[2:3], 18
	s_waitcnt lgkmcnt(0)
	s_add_u32 s19, s8, s0
	s_load_dword s20, s[6:7], 0x0
	s_addc_u32 s21, s9, s1
	s_and_b32 s12, s19, 15
	s_add_u32 s6, s6, s0
	s_add_u32 s22, s10, s0
	s_addc_u32 s23, s11, s1
	s_or_b32 s6, s22, s6
	s_and_b32 s6, s6, 15
	s_cmp_lg_u32 s6, 0
	s_cselect_b64 s[24:25], -1, 0
	s_lshl_b64 s[2:3], s[2:3], 16
	s_sub_u32 s6, s16, s2
	s_subb_u32 s7, s17, s3
	s_and_b32 s14, s16, 3
	s_or_b64 s[2:3], s[12:13], s[14:15]
	s_cmp_lg_u64 s[2:3], 0
	s_cselect_b64 s[2:3], -1, 0
	s_or_b64 s[2:3], s[24:25], s[2:3]
	s_andn2_b64 vcc, exec, s[2:3]
	s_mov_b64 s[2:3], -1
	s_cbranch_vccz .LBB39_5
; %bb.1:
	v_mov_b32_e32 v1, 0x10000
	v_mov_b32_e32 v2, 0
	v_cmp_lt_i64_e32 vcc, s[6:7], v[1:2]
	v_mov_b32_e32 v2, 0
	s_and_b64 s[2:3], vcc, exec
	s_cselect_b32 s13, s7, 0
	s_cselect_b32 s12, s6, 0x10000
	v_lshlrev_b32_e32 v1, 2, v0
	v_cmp_gt_i64_e32 vcc, s[12:13], v[1:2]
	s_and_saveexec_b64 s[14:15], vcc
	s_cbranch_execz .LBB39_4
; %bb.2:
	s_load_dword s2, s[4:5], 0xc5c
	v_mov_b32_e32 v1, v2
	v_lshlrev_b32_e32 v2, 4, v0
	v_mov_b32_e32 v4, s1
	v_add_co_u32_e64 v3, s[0:1], s0, v2
	s_waitcnt lgkmcnt(0)
	s_and_b32 s24, s2, 0xffff
	v_mov_b32_e32 v2, v1
	v_cmp_eq_f32_e64 vcc, s18, 1.0
	v_addc_co_u32_e64 v4, s[0:1], 0, v4, s[0:1]
	s_lshl_b32 s25, s24, 4
	s_mov_b64 s[16:17], 0
	v_mov_b32_e32 v5, s9
	v_mov_b32_e32 v6, s11
	;; [unrolled: 1-line block ×3, first 2 shown]
.LBB39_3:                               ; =>This Inner Loop Header: Depth=1
	v_add_co_u32_e64 v15, s[0:1], s8, v3
	v_addc_co_u32_e64 v16, s[0:1], v5, v4, s[0:1]
	v_add_co_u32_e64 v17, s[0:1], s10, v3
	v_addc_co_u32_e64 v18, s[0:1], v6, v4, s[0:1]
	global_load_dwordx4 v[7:10], v[17:18], off
	global_load_dwordx4 v[11:14], v[15:16], off
	v_add_co_u32_e64 v1, s[0:1], s24, v1
	v_addc_co_u32_e64 v2, s[0:1], 0, v2, s[0:1]
	v_add_co_u32_e64 v3, s[2:3], s25, v3
	v_addc_co_u32_e64 v4, s[2:3], 0, v4, s[2:3]
	s_waitcnt vmcnt(1)
	v_mul_f32_e32 v18, s20, v7
	s_waitcnt vmcnt(0)
	v_fma_f32 v17, s20, v7, v11
	v_fma_f32 v19, s20, v8, v12
	v_mul_f32_e32 v20, s20, v8
	v_lshlrev_b64 v[7:8], 2, v[1:2]
	v_fma_f32 v21, s20, v9, v13
	v_mul_f32_e32 v9, s20, v9
	v_fma_f32 v22, s20, v10, v14
	v_mul_f32_e32 v10, s20, v10
	v_cmp_le_i64_e64 s[0:1], s[12:13], v[7:8]
	v_fma_f32 v7, s18, v18, v11
	v_fma_f32 v8, s18, v20, v12
	;; [unrolled: 1-line block ×3, first 2 shown]
	v_fmac_f32_e32 v14, s18, v10
	v_cndmask_b32_e32 v7, v7, v17, vcc
	v_cndmask_b32_e32 v8, v8, v19, vcc
	s_or_b64 s[16:17], s[0:1], s[16:17]
	v_cndmask_b32_e32 v9, v9, v21, vcc
	v_cndmask_b32_e32 v10, v14, v22, vcc
	global_store_dwordx4 v[15:16], v[7:10], off
	s_andn2_b64 exec, exec, s[16:17]
	s_cbranch_execnz .LBB39_3
.LBB39_4:
	s_or_b64 exec, exec, s[14:15]
	s_mov_b64 s[2:3], 0
.LBB39_5:
	s_andn2_b64 vcc, exec, s[2:3]
	s_cbranch_vccnz .LBB39_25
; %bb.6:
	v_cmp_lt_i64_e64 s[0:1], s[6:7], 1
	s_and_b64 vcc, exec, s[0:1]
	s_cbranch_vccnz .LBB39_25
; %bb.7:
	v_mov_b32_e32 v1, 0x10000
	s_load_dword s4, s[4:5], 0xc5c
	v_mov_b32_e32 v2, 0
	v_cmp_lt_i64_e32 vcc, s[6:7], v[1:2]
	s_and_b64 s[0:1], vcc, exec
	v_cmp_lt_u64_e32 vcc, s[6:7], v[1:2]
	s_cselect_b32 s3, s7, 0
	s_cselect_b32 s2, s6, 0x10000
	s_waitcnt lgkmcnt(0)
	s_and_b32 s10, s4, 0xffff
	s_and_b64 s[4:5], vcc, exec
	v_cmp_eq_f32_e64 s[0:1], s18, 1.0
	s_cselect_b32 s5, s7, 0
	s_cselect_b32 s4, s6, 0x10000
	s_lshl_b32 s11, s10, 1
	s_mul_i32 s12, s10, 3
	s_lshl_b32 s13, s10, 2
	s_mov_b64 s[6:7], 0
	s_branch .LBB39_9
.LBB39_8:                               ;   in Loop: Header=BB39_9 Depth=1
	s_or_b64 exec, exec, s[8:9]
	s_add_u32 s6, s6, s13
	v_mov_b32_e32 v1, s2
	s_addc_u32 s7, s7, 0
	v_mov_b32_e32 v2, s3
	v_cmp_ge_i64_e32 vcc, s[6:7], v[1:2]
	s_cbranch_vccnz .LBB39_25
.LBB39_9:                               ; =>This Inner Loop Header: Depth=1
	v_mov_b32_e32 v2, s7
	v_add_co_u32_e32 v1, vcc, s6, v0
	v_addc_co_u32_e32 v2, vcc, 0, v2, vcc
	v_cmp_gt_i64_e32 vcc, s[2:3], v[1:2]
	s_waitcnt vmcnt(0)
	v_mov_b32_e32 v11, 0
	v_mov_b32_e32 v9, 0
	s_and_saveexec_b64 s[8:9], vcc
	s_cbranch_execz .LBB39_11
; %bb.10:                               ;   in Loop: Header=BB39_9 Depth=1
	v_lshlrev_b64 v[3:4], 2, v[1:2]
	v_mov_b32_e32 v6, s21
	v_add_co_u32_e32 v5, vcc, s19, v3
	v_addc_co_u32_e32 v6, vcc, v6, v4, vcc
	v_mov_b32_e32 v7, s23
	v_add_co_u32_e32 v3, vcc, s22, v3
	v_addc_co_u32_e32 v4, vcc, v7, v4, vcc
	global_load_dword v9, v[5:6], off
	global_load_dword v11, v[3:4], off
.LBB39_11:                              ;   in Loop: Header=BB39_9 Depth=1
	s_or_b64 exec, exec, s[8:9]
	v_add_co_u32_e32 v3, vcc, s10, v1
	v_addc_co_u32_e32 v4, vcc, 0, v2, vcc
	v_cmp_gt_i64_e32 vcc, s[2:3], v[3:4]
	v_mov_b32_e32 v10, 0
	v_mov_b32_e32 v13, 0
	;; [unrolled: 1-line block ×3, first 2 shown]
	s_and_saveexec_b64 s[8:9], vcc
	s_cbranch_execz .LBB39_13
; %bb.12:                               ;   in Loop: Header=BB39_9 Depth=1
	v_lshlrev_b64 v[5:6], 2, v[3:4]
	v_mov_b32_e32 v8, s21
	v_add_co_u32_e32 v7, vcc, s19, v5
	v_addc_co_u32_e32 v8, vcc, v8, v6, vcc
	v_mov_b32_e32 v12, s23
	v_add_co_u32_e32 v5, vcc, s22, v5
	v_addc_co_u32_e32 v6, vcc, v12, v6, vcc
	global_load_dword v12, v[7:8], off
	global_load_dword v13, v[5:6], off
.LBB39_13:                              ;   in Loop: Header=BB39_9 Depth=1
	s_or_b64 exec, exec, s[8:9]
	v_add_co_u32_e32 v5, vcc, s11, v1
	v_addc_co_u32_e32 v6, vcc, 0, v2, vcc
	v_cmp_gt_i64_e32 vcc, s[2:3], v[5:6]
	v_mov_b32_e32 v14, 0
	s_and_saveexec_b64 s[8:9], vcc
	s_cbranch_execz .LBB39_15
; %bb.14:                               ;   in Loop: Header=BB39_9 Depth=1
	v_lshlrev_b64 v[7:8], 2, v[5:6]
	v_mov_b32_e32 v10, s21
	v_add_co_u32_e32 v15, vcc, s19, v7
	v_addc_co_u32_e32 v16, vcc, v10, v8, vcc
	v_mov_b32_e32 v10, s23
	v_add_co_u32_e32 v7, vcc, s22, v7
	v_addc_co_u32_e32 v8, vcc, v10, v8, vcc
	global_load_dword v14, v[15:16], off
	global_load_dword v10, v[7:8], off
.LBB39_15:                              ;   in Loop: Header=BB39_9 Depth=1
	s_or_b64 exec, exec, s[8:9]
	v_add_co_u32_e32 v7, vcc, s12, v1
	v_addc_co_u32_e32 v8, vcc, 0, v2, vcc
	v_cmp_gt_i64_e32 vcc, s[2:3], v[7:8]
	v_mov_b32_e32 v16, 0
	v_mov_b32_e32 v15, 0
	s_and_saveexec_b64 s[8:9], vcc
	s_cbranch_execnz .LBB39_20
; %bb.16:                               ;   in Loop: Header=BB39_9 Depth=1
	s_or_b64 exec, exec, s[8:9]
	v_cmp_gt_u64_e32 vcc, s[4:5], v[1:2]
	s_and_saveexec_b64 s[8:9], vcc
	s_cbranch_execnz .LBB39_21
.LBB39_17:                              ;   in Loop: Header=BB39_9 Depth=1
	s_or_b64 exec, exec, s[8:9]
	v_cmp_gt_u64_e32 vcc, s[4:5], v[3:4]
	s_and_saveexec_b64 s[8:9], vcc
	s_cbranch_execnz .LBB39_22
.LBB39_18:                              ;   in Loop: Header=BB39_9 Depth=1
	s_or_b64 exec, exec, s[8:9]
	v_cmp_gt_u64_e32 vcc, s[4:5], v[5:6]
	s_and_saveexec_b64 s[8:9], vcc
	s_cbranch_execnz .LBB39_23
.LBB39_19:                              ;   in Loop: Header=BB39_9 Depth=1
	s_or_b64 exec, exec, s[8:9]
	v_cmp_gt_u64_e32 vcc, s[4:5], v[7:8]
	s_and_saveexec_b64 s[8:9], vcc
	s_cbranch_execz .LBB39_8
	s_branch .LBB39_24
.LBB39_20:                              ;   in Loop: Header=BB39_9 Depth=1
	v_lshlrev_b64 v[15:16], 2, v[7:8]
	v_mov_b32_e32 v18, s21
	v_add_co_u32_e32 v17, vcc, s19, v15
	v_addc_co_u32_e32 v18, vcc, v18, v16, vcc
	v_mov_b32_e32 v20, s23
	v_add_co_u32_e32 v19, vcc, s22, v15
	v_addc_co_u32_e32 v20, vcc, v20, v16, vcc
	global_load_dword v15, v[17:18], off
	global_load_dword v16, v[19:20], off
	s_or_b64 exec, exec, s[8:9]
	v_cmp_gt_u64_e32 vcc, s[4:5], v[1:2]
	s_and_saveexec_b64 s[8:9], vcc
	s_cbranch_execz .LBB39_17
.LBB39_21:                              ;   in Loop: Header=BB39_9 Depth=1
	v_lshlrev_b64 v[1:2], 2, v[1:2]
	v_mov_b32_e32 v17, s21
	v_add_co_u32_e32 v1, vcc, s19, v1
	v_addc_co_u32_e32 v2, vcc, v17, v2, vcc
	s_waitcnt vmcnt(0)
	v_fma_f32 v17, s20, v11, v9
	v_mul_f32_e32 v11, s20, v11
	v_fmac_f32_e32 v9, s18, v11
	v_cndmask_b32_e64 v9, v9, v17, s[0:1]
	global_store_dword v[1:2], v9, off
	s_or_b64 exec, exec, s[8:9]
	v_cmp_gt_u64_e32 vcc, s[4:5], v[3:4]
	s_and_saveexec_b64 s[8:9], vcc
	s_cbranch_execz .LBB39_18
.LBB39_22:                              ;   in Loop: Header=BB39_9 Depth=1
	s_waitcnt vmcnt(0)
	v_mul_f32_e32 v2, s20, v13
	v_fma_f32 v1, s20, v13, v12
	v_fmac_f32_e32 v12, s18, v2
	v_cndmask_b32_e64 v9, v12, v1, s[0:1]
	v_lshlrev_b64 v[1:2], 2, v[3:4]
	v_mov_b32_e32 v3, s21
	v_add_co_u32_e32 v1, vcc, s19, v1
	v_addc_co_u32_e32 v2, vcc, v3, v2, vcc
	global_store_dword v[1:2], v9, off
	s_or_b64 exec, exec, s[8:9]
	v_cmp_gt_u64_e32 vcc, s[4:5], v[5:6]
	s_and_saveexec_b64 s[8:9], vcc
	s_cbranch_execz .LBB39_19
.LBB39_23:                              ;   in Loop: Header=BB39_9 Depth=1
	s_waitcnt vmcnt(0)
	v_mul_f32_e32 v2, s20, v10
	v_fma_f32 v1, s20, v10, v14
	v_fmac_f32_e32 v14, s18, v2
	v_cndmask_b32_e64 v3, v14, v1, s[0:1]
	v_lshlrev_b64 v[1:2], 2, v[5:6]
	v_mov_b32_e32 v4, s21
	v_add_co_u32_e32 v1, vcc, s19, v1
	v_addc_co_u32_e32 v2, vcc, v4, v2, vcc
	global_store_dword v[1:2], v3, off
	s_or_b64 exec, exec, s[8:9]
	v_cmp_gt_u64_e32 vcc, s[4:5], v[7:8]
	s_and_saveexec_b64 s[8:9], vcc
	s_cbranch_execz .LBB39_8
.LBB39_24:                              ;   in Loop: Header=BB39_9 Depth=1
	s_waitcnt vmcnt(0)
	v_mul_f32_e32 v2, s20, v16
	v_fma_f32 v1, s20, v16, v15
	v_fmac_f32_e32 v15, s18, v2
	v_cndmask_b32_e64 v3, v15, v1, s[0:1]
	v_lshlrev_b64 v[1:2], 2, v[7:8]
	v_mov_b32_e32 v4, s21
	v_add_co_u32_e32 v1, vcc, s19, v1
	v_addc_co_u32_e32 v2, vcc, v4, v2, vcc
	global_store_dword v[1:2], v3, off
	s_branch .LBB39_8
.LBB39_25:
	s_endpgm
	.section	.rodata,"a",@progbits
	.p2align	6, 0x0
	.amdhsa_kernel _ZN2at6native12_GLOBAL__N_125multi_tensor_apply_kernelINS1_18TensorListMetadataILi3EEENS1_32PointwiseOpScalar0dTensorFunctorIfLi3ELi2ELi0EEEJSt10multipliesIfEfEEEvT_T0_DpT1_
		.amdhsa_group_segment_fixed_size 0
		.amdhsa_private_segment_fixed_size 0
		.amdhsa_kernarg_size 3408
		.amdhsa_user_sgpr_count 6
		.amdhsa_user_sgpr_private_segment_buffer 1
		.amdhsa_user_sgpr_dispatch_ptr 0
		.amdhsa_user_sgpr_queue_ptr 0
		.amdhsa_user_sgpr_kernarg_segment_ptr 1
		.amdhsa_user_sgpr_dispatch_id 0
		.amdhsa_user_sgpr_flat_scratch_init 0
		.amdhsa_user_sgpr_private_segment_size 0
		.amdhsa_uses_dynamic_stack 0
		.amdhsa_system_sgpr_private_segment_wavefront_offset 0
		.amdhsa_system_sgpr_workgroup_id_x 1
		.amdhsa_system_sgpr_workgroup_id_y 0
		.amdhsa_system_sgpr_workgroup_id_z 0
		.amdhsa_system_sgpr_workgroup_info 0
		.amdhsa_system_vgpr_workitem_id 0
		.amdhsa_next_free_vgpr 23
		.amdhsa_next_free_sgpr 26
		.amdhsa_reserve_vcc 1
		.amdhsa_reserve_flat_scratch 0
		.amdhsa_float_round_mode_32 0
		.amdhsa_float_round_mode_16_64 0
		.amdhsa_float_denorm_mode_32 3
		.amdhsa_float_denorm_mode_16_64 3
		.amdhsa_dx10_clamp 1
		.amdhsa_ieee_mode 1
		.amdhsa_fp16_overflow 0
		.amdhsa_exception_fp_ieee_invalid_op 0
		.amdhsa_exception_fp_denorm_src 0
		.amdhsa_exception_fp_ieee_div_zero 0
		.amdhsa_exception_fp_ieee_overflow 0
		.amdhsa_exception_fp_ieee_underflow 0
		.amdhsa_exception_fp_ieee_inexact 0
		.amdhsa_exception_int_div_zero 0
	.end_amdhsa_kernel
	.section	.text._ZN2at6native12_GLOBAL__N_125multi_tensor_apply_kernelINS1_18TensorListMetadataILi3EEENS1_32PointwiseOpScalar0dTensorFunctorIfLi3ELi2ELi0EEEJSt10multipliesIfEfEEEvT_T0_DpT1_,"axG",@progbits,_ZN2at6native12_GLOBAL__N_125multi_tensor_apply_kernelINS1_18TensorListMetadataILi3EEENS1_32PointwiseOpScalar0dTensorFunctorIfLi3ELi2ELi0EEEJSt10multipliesIfEfEEEvT_T0_DpT1_,comdat
.Lfunc_end39:
	.size	_ZN2at6native12_GLOBAL__N_125multi_tensor_apply_kernelINS1_18TensorListMetadataILi3EEENS1_32PointwiseOpScalar0dTensorFunctorIfLi3ELi2ELi0EEEJSt10multipliesIfEfEEEvT_T0_DpT1_, .Lfunc_end39-_ZN2at6native12_GLOBAL__N_125multi_tensor_apply_kernelINS1_18TensorListMetadataILi3EEENS1_32PointwiseOpScalar0dTensorFunctorIfLi3ELi2ELi0EEEJSt10multipliesIfEfEEEvT_T0_DpT1_
                                        ; -- End function
	.set _ZN2at6native12_GLOBAL__N_125multi_tensor_apply_kernelINS1_18TensorListMetadataILi3EEENS1_32PointwiseOpScalar0dTensorFunctorIfLi3ELi2ELi0EEEJSt10multipliesIfEfEEEvT_T0_DpT1_.num_vgpr, 23
	.set _ZN2at6native12_GLOBAL__N_125multi_tensor_apply_kernelINS1_18TensorListMetadataILi3EEENS1_32PointwiseOpScalar0dTensorFunctorIfLi3ELi2ELi0EEEJSt10multipliesIfEfEEEvT_T0_DpT1_.num_agpr, 0
	.set _ZN2at6native12_GLOBAL__N_125multi_tensor_apply_kernelINS1_18TensorListMetadataILi3EEENS1_32PointwiseOpScalar0dTensorFunctorIfLi3ELi2ELi0EEEJSt10multipliesIfEfEEEvT_T0_DpT1_.numbered_sgpr, 26
	.set _ZN2at6native12_GLOBAL__N_125multi_tensor_apply_kernelINS1_18TensorListMetadataILi3EEENS1_32PointwiseOpScalar0dTensorFunctorIfLi3ELi2ELi0EEEJSt10multipliesIfEfEEEvT_T0_DpT1_.num_named_barrier, 0
	.set _ZN2at6native12_GLOBAL__N_125multi_tensor_apply_kernelINS1_18TensorListMetadataILi3EEENS1_32PointwiseOpScalar0dTensorFunctorIfLi3ELi2ELi0EEEJSt10multipliesIfEfEEEvT_T0_DpT1_.private_seg_size, 0
	.set _ZN2at6native12_GLOBAL__N_125multi_tensor_apply_kernelINS1_18TensorListMetadataILi3EEENS1_32PointwiseOpScalar0dTensorFunctorIfLi3ELi2ELi0EEEJSt10multipliesIfEfEEEvT_T0_DpT1_.uses_vcc, 1
	.set _ZN2at6native12_GLOBAL__N_125multi_tensor_apply_kernelINS1_18TensorListMetadataILi3EEENS1_32PointwiseOpScalar0dTensorFunctorIfLi3ELi2ELi0EEEJSt10multipliesIfEfEEEvT_T0_DpT1_.uses_flat_scratch, 0
	.set _ZN2at6native12_GLOBAL__N_125multi_tensor_apply_kernelINS1_18TensorListMetadataILi3EEENS1_32PointwiseOpScalar0dTensorFunctorIfLi3ELi2ELi0EEEJSt10multipliesIfEfEEEvT_T0_DpT1_.has_dyn_sized_stack, 0
	.set _ZN2at6native12_GLOBAL__N_125multi_tensor_apply_kernelINS1_18TensorListMetadataILi3EEENS1_32PointwiseOpScalar0dTensorFunctorIfLi3ELi2ELi0EEEJSt10multipliesIfEfEEEvT_T0_DpT1_.has_recursion, 0
	.set _ZN2at6native12_GLOBAL__N_125multi_tensor_apply_kernelINS1_18TensorListMetadataILi3EEENS1_32PointwiseOpScalar0dTensorFunctorIfLi3ELi2ELi0EEEJSt10multipliesIfEfEEEvT_T0_DpT1_.has_indirect_call, 0
	.section	.AMDGPU.csdata,"",@progbits
; Kernel info:
; codeLenInByte = 1408
; TotalNumSgprs: 30
; NumVgprs: 23
; ScratchSize: 0
; MemoryBound: 0
; FloatMode: 240
; IeeeMode: 1
; LDSByteSize: 0 bytes/workgroup (compile time only)
; SGPRBlocks: 3
; VGPRBlocks: 5
; NumSGPRsForWavesPerEU: 30
; NumVGPRsForWavesPerEU: 23
; Occupancy: 10
; WaveLimiterHint : 0
; COMPUTE_PGM_RSRC2:SCRATCH_EN: 0
; COMPUTE_PGM_RSRC2:USER_SGPR: 6
; COMPUTE_PGM_RSRC2:TRAP_HANDLER: 0
; COMPUTE_PGM_RSRC2:TGID_X_EN: 1
; COMPUTE_PGM_RSRC2:TGID_Y_EN: 0
; COMPUTE_PGM_RSRC2:TGID_Z_EN: 0
; COMPUTE_PGM_RSRC2:TIDIG_COMP_CNT: 0
	.section	.text._ZN2at6native12_GLOBAL__N_125multi_tensor_apply_kernelINS1_18TensorListMetadataILi3EEENS1_32PointwiseOpScalar0dTensorFunctorIN3c107complexIdEELi3ELi2ELi0EEEJSt10multipliesIS8_ES8_EEEvT_T0_DpT1_,"axG",@progbits,_ZN2at6native12_GLOBAL__N_125multi_tensor_apply_kernelINS1_18TensorListMetadataILi3EEENS1_32PointwiseOpScalar0dTensorFunctorIN3c107complexIdEELi3ELi2ELi0EEEJSt10multipliesIS8_ES8_EEEvT_T0_DpT1_,comdat
	.globl	_ZN2at6native12_GLOBAL__N_125multi_tensor_apply_kernelINS1_18TensorListMetadataILi3EEENS1_32PointwiseOpScalar0dTensorFunctorIN3c107complexIdEELi3ELi2ELi0EEEJSt10multipliesIS8_ES8_EEEvT_T0_DpT1_ ; -- Begin function _ZN2at6native12_GLOBAL__N_125multi_tensor_apply_kernelINS1_18TensorListMetadataILi3EEENS1_32PointwiseOpScalar0dTensorFunctorIN3c107complexIdEELi3ELi2ELi0EEEJSt10multipliesIS8_ES8_EEEvT_T0_DpT1_
	.p2align	8
	.type	_ZN2at6native12_GLOBAL__N_125multi_tensor_apply_kernelINS1_18TensorListMetadataILi3EEENS1_32PointwiseOpScalar0dTensorFunctorIN3c107complexIdEELi3ELi2ELi0EEEJSt10multipliesIS8_ES8_EEEvT_T0_DpT1_,@function
_ZN2at6native12_GLOBAL__N_125multi_tensor_apply_kernelINS1_18TensorListMetadataILi3EEENS1_32PointwiseOpScalar0dTensorFunctorIN3c107complexIdEELi3ELi2ELi0EEEJSt10multipliesIS8_ES8_EEEvT_T0_DpT1_: ; @_ZN2at6native12_GLOBAL__N_125multi_tensor_apply_kernelINS1_18TensorListMetadataILi3EEENS1_32PointwiseOpScalar0dTensorFunctorIN3c107complexIdEELi3ELi2ELi0EEEJSt10multipliesIS8_ES8_EEEvT_T0_DpT1_
; %bb.0:
	v_mov_b32_e32 v1, s6
	global_load_ubyte v1, v1, s[4:5] offset:1536
	s_add_u32 s0, s4, s6
	s_mul_hi_u32 s1, s6, 3
	s_mul_i32 s6, s6, 3
	s_addc_u32 s2, s5, 0
	s_add_u32 s0, s0, s6
	s_addc_u32 s1, s2, s1
	s_load_dword s2, s[0:1], 0x740
	s_load_dwordx4 s[8:11], s[4:5], 0xc50
	s_mov_b32 s1, 0
	s_mov_b32 s21, s1
	s_waitcnt lgkmcnt(0)
	s_ashr_i32 s3, s2, 31
	s_lshl_b64 s[18:19], s[2:3], 20
	s_waitcnt vmcnt(0)
	v_readfirstlane_b32 s0, v1
	s_lshl_b32 s0, s0, 3
	s_load_dwordx2 s[6:7], s[4:5], s0 offset:0x0
	s_load_dwordx2 s[16:17], s[4:5], s0 offset:0x180
	;; [unrolled: 1-line block ×4, first 2 shown]
	s_waitcnt lgkmcnt(0)
	s_add_u32 s6, s6, s18
	s_addc_u32 s7, s7, s19
	s_add_u32 s0, s16, s18
	s_load_dwordx4 s[12:15], s[16:17], 0x0
	s_add_u32 s16, s24, s18
	s_addc_u32 s17, s25, s19
	s_or_b32 s18, s16, s0
	s_lshl_b64 s[2:3], s[2:3], 16
	s_and_b32 s0, s6, 63
	s_and_b32 s18, s18, 63
	s_cmp_lg_u32 s18, 0
	s_cselect_b64 s[24:25], -1, 0
	s_sub_u32 s18, s22, s2
	s_subb_u32 s19, s23, s3
	s_and_b32 s20, s22, 3
	s_or_b64 s[0:1], s[0:1], s[20:21]
	s_cmp_lg_u64 s[0:1], 0
	s_cselect_b64 s[0:1], -1, 0
	s_or_b64 s[0:1], s[24:25], s[0:1]
	s_andn2_b64 vcc, exec, s[0:1]
	s_mov_b64 s[0:1], -1
	s_cbranch_vccz .LBB40_5
; %bb.1:
	v_mov_b32_e32 v1, 0x10000
	v_mov_b32_e32 v2, 0
	v_cmp_lt_i64_e32 vcc, s[18:19], v[1:2]
	v_mov_b32_e32 v2, 0
	s_and_b64 s[0:1], vcc, exec
	s_cselect_b32 s21, s19, 0
	s_cselect_b32 s20, s18, 0x10000
	v_lshlrev_b32_e32 v1, 2, v0
	v_cmp_gt_i64_e32 vcc, s[20:21], v[1:2]
	s_and_saveexec_b64 s[22:23], vcc
	s_cbranch_execz .LBB40_4
; %bb.2:
	v_cmp_eq_f64_e64 s[0:1], s[8:9], 1.0
	v_cmp_eq_f64_e64 s[2:3], s[10:11], 0
	s_load_dword s26, s[4:5], 0xc6c
	v_mov_b32_e32 v1, v2
	v_mov_b32_e32 v2, v1
	s_mov_b64 s[24:25], 0
	v_lshlrev_b32_e32 v3, 6, v0
	s_waitcnt lgkmcnt(0)
	s_and_b32 s30, s26, 0xffff
	s_lshl_b32 s31, s30, 6
	s_and_b64 vcc, s[0:1], s[2:3]
	s_mov_b64 s[26:27], s[6:7]
	s_mov_b64 s[28:29], s[16:17]
	v_mov_b32_e32 v1, v0
.LBB40_3:                               ; =>This Inner Loop Header: Depth=1
	v_add_co_u32_e64 v1, s[2:3], s30, v1
	v_mov_b32_e32 v5, s29
	v_add_co_u32_e64 v36, s[0:1], s28, v3
	v_addc_co_u32_e64 v2, s[2:3], 0, v2, s[2:3]
	v_mov_b32_e32 v4, s27
	v_add_co_u32_e64 v38, s[2:3], s26, v3
	v_addc_co_u32_e64 v37, s[0:1], 0, v5, s[0:1]
	v_addc_co_u32_e64 v39, s[2:3], 0, v4, s[2:3]
	global_load_dwordx4 v[4:7], v[36:37], off
	global_load_dwordx4 v[8:11], v[36:37], off offset:16
	global_load_dwordx4 v[12:15], v[36:37], off offset:32
	;; [unrolled: 1-line block ×3, first 2 shown]
	global_load_dwordx4 v[20:23], v[38:39], off
	global_load_dwordx4 v[24:27], v[38:39], off offset:16
	global_load_dwordx4 v[28:31], v[38:39], off offset:32
	;; [unrolled: 1-line block ×3, first 2 shown]
	s_add_u32 s28, s28, s31
	v_lshlrev_b64 v[40:41], 2, v[1:2]
	s_addc_u32 s29, s29, 0
	s_add_u32 s26, s26, s31
	v_cmp_le_i64_e64 s[0:1], s[20:21], v[40:41]
	s_addc_u32 s27, s27, 0
	s_or_b64 s[24:25], s[0:1], s[24:25]
	s_waitcnt vmcnt(7)
	v_mul_f64 v[36:37], s[12:13], v[6:7]
	v_mul_f64 v[6:7], s[14:15], v[6:7]
	v_fma_f64 v[36:37], s[14:15], v[4:5], v[36:37]
	v_fma_f64 v[4:5], s[12:13], v[4:5], -v[6:7]
	s_waitcnt vmcnt(6)
	v_mul_f64 v[6:7], s[12:13], v[10:11]
	v_mul_f64 v[10:11], s[14:15], v[10:11]
	v_fma_f64 v[6:7], s[14:15], v[8:9], v[6:7]
	v_fma_f64 v[8:9], s[12:13], v[8:9], -v[10:11]
	;; [unrolled: 5-line block ×4, first 2 shown]
	v_mul_f64 v[18:19], s[10:11], v[36:37]
	v_fma_f64 v[18:19], s[8:9], v[4:5], -v[18:19]
	v_cndmask_b32_e32 v19, v19, v5, vcc
	v_cndmask_b32_e32 v18, v18, v4, vcc
	v_mul_f64 v[4:5], s[10:11], v[4:5]
	v_fma_f64 v[4:5], s[8:9], v[36:37], v[4:5]
	v_cndmask_b32_e32 v5, v5, v37, vcc
	v_cndmask_b32_e32 v4, v4, v36, vcc
	v_mul_f64 v[36:37], s[10:11], v[6:7]
	v_fma_f64 v[36:37], s[8:9], v[8:9], -v[36:37]
	v_cndmask_b32_e32 v37, v37, v9, vcc
	v_cndmask_b32_e32 v36, v36, v8, vcc
	v_mul_f64 v[8:9], s[10:11], v[8:9]
	v_fma_f64 v[8:9], s[8:9], v[6:7], v[8:9]
	v_cndmask_b32_e32 v9, v9, v7, vcc
	v_cndmask_b32_e32 v8, v8, v6, vcc
	;; [unrolled: 8-line block ×3, first 2 shown]
	v_mul_f64 v[6:7], s[10:11], v[14:15]
	s_waitcnt vmcnt(2)
	v_add_f64 v[10:11], v[26:27], v[8:9]
	v_add_f64 v[8:9], v[24:25], v[36:37]
	v_fma_f64 v[6:7], s[8:9], v[16:17], -v[6:7]
	v_cndmask_b32_e32 v45, v7, v17, vcc
	v_cndmask_b32_e32 v44, v6, v16, vcc
	v_mul_f64 v[6:7], s[10:11], v[16:17]
	v_fma_f64 v[6:7], s[8:9], v[14:15], v[6:7]
	v_cndmask_b32_e32 v17, v7, v15, vcc
	v_cndmask_b32_e32 v16, v6, v14, vcc
	v_add_f64 v[6:7], v[22:23], v[4:5]
	v_add_f64 v[4:5], v[20:21], v[18:19]
	s_waitcnt vmcnt(1)
	v_add_f64 v[14:15], v[30:31], v[12:13]
	v_add_f64 v[12:13], v[28:29], v[42:43]
	s_waitcnt vmcnt(0)
	v_add_f64 v[18:19], v[34:35], v[16:17]
	v_add_f64 v[16:17], v[32:33], v[44:45]
	global_store_dwordx4 v[38:39], v[4:7], off
	global_store_dwordx4 v[38:39], v[8:11], off offset:16
	global_store_dwordx4 v[38:39], v[12:15], off offset:32
	;; [unrolled: 1-line block ×3, first 2 shown]
	s_andn2_b64 exec, exec, s[24:25]
	s_cbranch_execnz .LBB40_3
.LBB40_4:
	s_or_b64 exec, exec, s[22:23]
	s_mov_b64 s[0:1], 0
.LBB40_5:
	s_andn2_b64 vcc, exec, s[0:1]
	s_cbranch_vccnz .LBB40_25
; %bb.6:
	v_cmp_lt_i64_e64 s[0:1], s[18:19], 1
	s_and_b64 vcc, exec, s[0:1]
	s_cbranch_vccnz .LBB40_25
; %bb.7:
	v_cmp_eq_f64_e64 s[0:1], s[8:9], 1.0
	v_cmp_eq_f64_e64 s[20:21], s[10:11], 0
	v_mov_b32_e32 v1, 0x10000
	s_load_dword s4, s[4:5], 0xc6c
	v_mov_b32_e32 v2, 0
	v_cmp_lt_i64_e32 vcc, s[18:19], v[1:2]
	s_and_b64 s[2:3], vcc, exec
	v_cmp_lt_u64_e32 vcc, s[18:19], v[1:2]
	s_cselect_b32 s3, s19, 0
	s_cselect_b32 s2, s18, 0x10000
	s_waitcnt lgkmcnt(0)
	s_and_b32 s22, s4, 0xffff
	s_and_b64 s[0:1], s[0:1], s[20:21]
	s_and_b64 s[20:21], vcc, exec
	s_mov_b64 s[4:5], 0
	s_cselect_b32 s19, s19, 0
	s_cselect_b32 s18, s18, 0x10000
	s_lshl_b32 s23, s22, 1
	s_mul_i32 s24, s22, 3
	s_lshl_b32 s25, s22, 2
	s_branch .LBB40_9
.LBB40_8:                               ;   in Loop: Header=BB40_9 Depth=1
	s_or_b64 exec, exec, s[20:21]
	s_add_u32 s4, s4, s25
	s_waitcnt vmcnt(0)
	v_mov_b32_e32 v1, s2
	s_addc_u32 s5, s5, 0
	v_mov_b32_e32 v2, s3
	v_cmp_ge_i64_e32 vcc, s[4:5], v[1:2]
	s_cbranch_vccnz .LBB40_25
.LBB40_9:                               ; =>This Inner Loop Header: Depth=1
	v_mov_b32_e32 v1, s5
	v_add_co_u32_e32 v33, vcc, s4, v0
	v_addc_co_u32_e32 v34, vcc, 0, v1, vcc
	v_cmp_gt_i64_e32 vcc, s[2:3], v[33:34]
	v_mov_b32_e32 v3, 0
	v_mov_b32_e32 v19, 0
	;; [unrolled: 1-line block ×10, first 2 shown]
	s_and_saveexec_b64 s[20:21], vcc
	s_cbranch_execz .LBB40_11
; %bb.10:                               ;   in Loop: Header=BB40_9 Depth=1
	v_lshlrev_b64 v[1:2], 4, v[33:34]
	v_mov_b32_e32 v5, s17
	v_add_co_u32_e32 v9, vcc, s16, v1
	v_addc_co_u32_e32 v10, vcc, v5, v2, vcc
	v_mov_b32_e32 v5, s7
	v_add_co_u32_e32 v1, vcc, s6, v1
	v_addc_co_u32_e32 v2, vcc, v5, v2, vcc
	global_load_dwordx4 v[5:8], v[1:2], off
	global_load_dwordx4 v[17:20], v[9:10], off
.LBB40_11:                              ;   in Loop: Header=BB40_9 Depth=1
	s_or_b64 exec, exec, s[20:21]
	v_add_co_u32_e32 v35, vcc, s22, v33
	v_addc_co_u32_e32 v36, vcc, 0, v34, vcc
	v_cmp_gt_i64_e32 vcc, s[2:3], v[35:36]
	v_mov_b32_e32 v1, 0
	v_mov_b32_e32 v15, 0
	;; [unrolled: 1-line block ×6, first 2 shown]
	s_and_saveexec_b64 s[20:21], vcc
	s_cbranch_execz .LBB40_13
; %bb.12:                               ;   in Loop: Header=BB40_9 Depth=1
	v_lshlrev_b64 v[1:2], 4, v[35:36]
	v_mov_b32_e32 v3, s17
	v_add_co_u32_e32 v9, vcc, s16, v1
	v_addc_co_u32_e32 v10, vcc, v3, v2, vcc
	v_mov_b32_e32 v3, s7
	v_add_co_u32_e32 v11, vcc, s6, v1
	v_addc_co_u32_e32 v12, vcc, v3, v2, vcc
	global_load_dwordx4 v[13:16], v[11:12], off
	global_load_dwordx4 v[1:4], v[9:10], off
.LBB40_13:                              ;   in Loop: Header=BB40_9 Depth=1
	s_or_b64 exec, exec, s[20:21]
	v_add_co_u32_e32 v37, vcc, s23, v33
	v_addc_co_u32_e32 v38, vcc, 0, v34, vcc
	v_cmp_gt_i64_e32 vcc, s[2:3], v[37:38]
	v_mov_b32_e32 v11, 0
	v_mov_b32_e32 v31, 0
	;; [unrolled: 1-line block ×10, first 2 shown]
	s_and_saveexec_b64 s[20:21], vcc
	s_cbranch_execz .LBB40_15
; %bb.14:                               ;   in Loop: Header=BB40_9 Depth=1
	v_lshlrev_b64 v[9:10], 4, v[37:38]
	v_mov_b32_e32 v21, s17
	v_add_co_u32_e32 v25, vcc, s16, v9
	v_addc_co_u32_e32 v26, vcc, v21, v10, vcc
	v_mov_b32_e32 v21, s7
	v_add_co_u32_e32 v9, vcc, s6, v9
	v_addc_co_u32_e32 v10, vcc, v21, v10, vcc
	global_load_dwordx4 v[21:24], v[9:10], off
	global_load_dwordx4 v[29:32], v[25:26], off
.LBB40_15:                              ;   in Loop: Header=BB40_9 Depth=1
	s_or_b64 exec, exec, s[20:21]
	v_add_co_u32_e32 v39, vcc, s24, v33
	v_addc_co_u32_e32 v40, vcc, 0, v34, vcc
	v_cmp_gt_i64_e32 vcc, s[2:3], v[39:40]
	v_mov_b32_e32 v9, 0
	v_mov_b32_e32 v27, 0
	;; [unrolled: 1-line block ×6, first 2 shown]
	s_and_saveexec_b64 s[20:21], vcc
	s_cbranch_execnz .LBB40_20
; %bb.16:                               ;   in Loop: Header=BB40_9 Depth=1
	s_or_b64 exec, exec, s[20:21]
	v_cmp_gt_u64_e32 vcc, s[18:19], v[33:34]
	s_and_saveexec_b64 s[20:21], vcc
	s_cbranch_execnz .LBB40_21
.LBB40_17:                              ;   in Loop: Header=BB40_9 Depth=1
	s_or_b64 exec, exec, s[20:21]
	v_cmp_gt_u64_e32 vcc, s[18:19], v[35:36]
	s_and_saveexec_b64 s[20:21], vcc
	s_cbranch_execnz .LBB40_22
.LBB40_18:                              ;   in Loop: Header=BB40_9 Depth=1
	s_or_b64 exec, exec, s[20:21]
	v_cmp_gt_u64_e32 vcc, s[18:19], v[37:38]
	s_and_saveexec_b64 s[20:21], vcc
	s_cbranch_execnz .LBB40_23
.LBB40_19:                              ;   in Loop: Header=BB40_9 Depth=1
	s_or_b64 exec, exec, s[20:21]
	v_cmp_gt_u64_e32 vcc, s[18:19], v[39:40]
	s_and_saveexec_b64 s[20:21], vcc
	s_cbranch_execz .LBB40_8
	s_branch .LBB40_24
.LBB40_20:                              ;   in Loop: Header=BB40_9 Depth=1
	v_lshlrev_b64 v[9:10], 4, v[39:40]
	v_mov_b32_e32 v11, s17
	v_add_co_u32_e32 v41, vcc, s16, v9
	v_addc_co_u32_e32 v42, vcc, v11, v10, vcc
	v_mov_b32_e32 v11, s7
	v_add_co_u32_e32 v43, vcc, s6, v9
	v_addc_co_u32_e32 v44, vcc, v11, v10, vcc
	global_load_dwordx4 v[25:28], v[43:44], off
	global_load_dwordx4 v[9:12], v[41:42], off
	s_or_b64 exec, exec, s[20:21]
	v_cmp_gt_u64_e32 vcc, s[18:19], v[33:34]
	s_and_saveexec_b64 s[20:21], vcc
	s_cbranch_execz .LBB40_17
.LBB40_21:                              ;   in Loop: Header=BB40_9 Depth=1
	s_waitcnt vmcnt(0)
	v_mul_f64 v[41:42], s[14:15], v[17:18]
	v_mul_f64 v[43:44], s[14:15], v[19:20]
	v_fma_f64 v[19:20], s[12:13], v[19:20], v[41:42]
	v_fma_f64 v[17:18], s[12:13], v[17:18], -v[43:44]
	v_mul_f64 v[41:42], s[10:11], v[19:20]
	v_mul_f64 v[43:44], s[10:11], v[17:18]
	v_fma_f64 v[41:42], s[8:9], v[17:18], -v[41:42]
	v_fma_f64 v[43:44], s[8:9], v[19:20], v[43:44]
	v_cndmask_b32_e64 v18, v42, v18, s[0:1]
	v_cndmask_b32_e64 v17, v41, v17, s[0:1]
	;; [unrolled: 1-line block ×4, first 2 shown]
	v_add_f64 v[5:6], v[5:6], v[17:18]
	v_add_f64 v[7:8], v[7:8], v[19:20]
	v_lshlrev_b64 v[17:18], 4, v[33:34]
	v_mov_b32_e32 v19, s7
	v_add_co_u32_e32 v17, vcc, s6, v17
	v_addc_co_u32_e32 v18, vcc, v19, v18, vcc
	global_store_dwordx4 v[17:18], v[5:8], off
	s_or_b64 exec, exec, s[20:21]
	v_cmp_gt_u64_e32 vcc, s[18:19], v[35:36]
	s_and_saveexec_b64 s[20:21], vcc
	s_cbranch_execz .LBB40_18
.LBB40_22:                              ;   in Loop: Header=BB40_9 Depth=1
	s_waitcnt vmcnt(0)
	v_mul_f64 v[5:6], s[14:15], v[1:2]
	v_mul_f64 v[7:8], s[14:15], v[3:4]
	v_fma_f64 v[3:4], s[12:13], v[3:4], v[5:6]
	v_fma_f64 v[1:2], s[12:13], v[1:2], -v[7:8]
	v_mul_f64 v[5:6], s[10:11], v[3:4]
	v_mul_f64 v[7:8], s[10:11], v[1:2]
	v_fma_f64 v[5:6], s[8:9], v[1:2], -v[5:6]
	v_fma_f64 v[7:8], s[8:9], v[3:4], v[7:8]
	v_cndmask_b32_e64 v2, v6, v2, s[0:1]
	v_cndmask_b32_e64 v1, v5, v1, s[0:1]
	v_cndmask_b32_e64 v4, v8, v4, s[0:1]
	v_cndmask_b32_e64 v3, v7, v3, s[0:1]
	v_add_f64 v[3:4], v[15:16], v[3:4]
	v_add_f64 v[1:2], v[13:14], v[1:2]
	v_lshlrev_b64 v[5:6], 4, v[35:36]
	v_mov_b32_e32 v7, s7
	v_add_co_u32_e32 v5, vcc, s6, v5
	v_addc_co_u32_e32 v6, vcc, v7, v6, vcc
	global_store_dwordx4 v[5:6], v[1:4], off
	s_or_b64 exec, exec, s[20:21]
	v_cmp_gt_u64_e32 vcc, s[18:19], v[37:38]
	s_and_saveexec_b64 s[20:21], vcc
	s_cbranch_execz .LBB40_19
.LBB40_23:                              ;   in Loop: Header=BB40_9 Depth=1
	s_waitcnt vmcnt(0)
	v_mul_f64 v[1:2], s[14:15], v[29:30]
	v_mul_f64 v[3:4], s[14:15], v[31:32]
	v_fma_f64 v[1:2], s[12:13], v[31:32], v[1:2]
	v_fma_f64 v[3:4], s[12:13], v[29:30], -v[3:4]
	v_mul_f64 v[5:6], s[10:11], v[1:2]
	v_mul_f64 v[7:8], s[10:11], v[3:4]
	v_fma_f64 v[5:6], s[8:9], v[3:4], -v[5:6]
	v_fma_f64 v[7:8], s[8:9], v[1:2], v[7:8]
	v_cndmask_b32_e64 v6, v6, v4, s[0:1]
	v_cndmask_b32_e64 v5, v5, v3, s[0:1]
	;; [unrolled: 1-line block ×4, first 2 shown]
	v_add_f64 v[3:4], v[23:24], v[1:2]
	v_add_f64 v[1:2], v[21:22], v[5:6]
	v_lshlrev_b64 v[5:6], 4, v[37:38]
	v_mov_b32_e32 v7, s7
	v_add_co_u32_e32 v5, vcc, s6, v5
	v_addc_co_u32_e32 v6, vcc, v7, v6, vcc
	global_store_dwordx4 v[5:6], v[1:4], off
	s_or_b64 exec, exec, s[20:21]
	v_cmp_gt_u64_e32 vcc, s[18:19], v[39:40]
	s_and_saveexec_b64 s[20:21], vcc
	s_cbranch_execz .LBB40_8
.LBB40_24:                              ;   in Loop: Header=BB40_9 Depth=1
	s_waitcnt vmcnt(0)
	v_mul_f64 v[1:2], s[14:15], v[9:10]
	v_mul_f64 v[3:4], s[14:15], v[11:12]
	v_fma_f64 v[1:2], s[12:13], v[11:12], v[1:2]
	v_fma_f64 v[3:4], s[12:13], v[9:10], -v[3:4]
	v_mul_f64 v[5:6], s[10:11], v[1:2]
	v_mul_f64 v[7:8], s[10:11], v[3:4]
	v_fma_f64 v[5:6], s[8:9], v[3:4], -v[5:6]
	v_fma_f64 v[7:8], s[8:9], v[1:2], v[7:8]
	v_cndmask_b32_e64 v6, v6, v4, s[0:1]
	v_cndmask_b32_e64 v5, v5, v3, s[0:1]
	;; [unrolled: 1-line block ×4, first 2 shown]
	v_add_f64 v[3:4], v[27:28], v[1:2]
	v_add_f64 v[1:2], v[25:26], v[5:6]
	v_lshlrev_b64 v[5:6], 4, v[39:40]
	v_mov_b32_e32 v7, s7
	v_add_co_u32_e32 v5, vcc, s6, v5
	v_addc_co_u32_e32 v6, vcc, v7, v6, vcc
	global_store_dwordx4 v[5:6], v[1:4], off
	s_branch .LBB40_8
.LBB40_25:
	s_endpgm
	.section	.rodata,"a",@progbits
	.p2align	6, 0x0
	.amdhsa_kernel _ZN2at6native12_GLOBAL__N_125multi_tensor_apply_kernelINS1_18TensorListMetadataILi3EEENS1_32PointwiseOpScalar0dTensorFunctorIN3c107complexIdEELi3ELi2ELi0EEEJSt10multipliesIS8_ES8_EEEvT_T0_DpT1_
		.amdhsa_group_segment_fixed_size 0
		.amdhsa_private_segment_fixed_size 0
		.amdhsa_kernarg_size 3424
		.amdhsa_user_sgpr_count 6
		.amdhsa_user_sgpr_private_segment_buffer 1
		.amdhsa_user_sgpr_dispatch_ptr 0
		.amdhsa_user_sgpr_queue_ptr 0
		.amdhsa_user_sgpr_kernarg_segment_ptr 1
		.amdhsa_user_sgpr_dispatch_id 0
		.amdhsa_user_sgpr_flat_scratch_init 0
		.amdhsa_user_sgpr_private_segment_size 0
		.amdhsa_uses_dynamic_stack 0
		.amdhsa_system_sgpr_private_segment_wavefront_offset 0
		.amdhsa_system_sgpr_workgroup_id_x 1
		.amdhsa_system_sgpr_workgroup_id_y 0
		.amdhsa_system_sgpr_workgroup_id_z 0
		.amdhsa_system_sgpr_workgroup_info 0
		.amdhsa_system_vgpr_workitem_id 0
		.amdhsa_next_free_vgpr 46
		.amdhsa_next_free_sgpr 32
		.amdhsa_reserve_vcc 1
		.amdhsa_reserve_flat_scratch 0
		.amdhsa_float_round_mode_32 0
		.amdhsa_float_round_mode_16_64 0
		.amdhsa_float_denorm_mode_32 3
		.amdhsa_float_denorm_mode_16_64 3
		.amdhsa_dx10_clamp 1
		.amdhsa_ieee_mode 1
		.amdhsa_fp16_overflow 0
		.amdhsa_exception_fp_ieee_invalid_op 0
		.amdhsa_exception_fp_denorm_src 0
		.amdhsa_exception_fp_ieee_div_zero 0
		.amdhsa_exception_fp_ieee_overflow 0
		.amdhsa_exception_fp_ieee_underflow 0
		.amdhsa_exception_fp_ieee_inexact 0
		.amdhsa_exception_int_div_zero 0
	.end_amdhsa_kernel
	.section	.text._ZN2at6native12_GLOBAL__N_125multi_tensor_apply_kernelINS1_18TensorListMetadataILi3EEENS1_32PointwiseOpScalar0dTensorFunctorIN3c107complexIdEELi3ELi2ELi0EEEJSt10multipliesIS8_ES8_EEEvT_T0_DpT1_,"axG",@progbits,_ZN2at6native12_GLOBAL__N_125multi_tensor_apply_kernelINS1_18TensorListMetadataILi3EEENS1_32PointwiseOpScalar0dTensorFunctorIN3c107complexIdEELi3ELi2ELi0EEEJSt10multipliesIS8_ES8_EEEvT_T0_DpT1_,comdat
.Lfunc_end40:
	.size	_ZN2at6native12_GLOBAL__N_125multi_tensor_apply_kernelINS1_18TensorListMetadataILi3EEENS1_32PointwiseOpScalar0dTensorFunctorIN3c107complexIdEELi3ELi2ELi0EEEJSt10multipliesIS8_ES8_EEEvT_T0_DpT1_, .Lfunc_end40-_ZN2at6native12_GLOBAL__N_125multi_tensor_apply_kernelINS1_18TensorListMetadataILi3EEENS1_32PointwiseOpScalar0dTensorFunctorIN3c107complexIdEELi3ELi2ELi0EEEJSt10multipliesIS8_ES8_EEEvT_T0_DpT1_
                                        ; -- End function
	.set _ZN2at6native12_GLOBAL__N_125multi_tensor_apply_kernelINS1_18TensorListMetadataILi3EEENS1_32PointwiseOpScalar0dTensorFunctorIN3c107complexIdEELi3ELi2ELi0EEEJSt10multipliesIS8_ES8_EEEvT_T0_DpT1_.num_vgpr, 46
	.set _ZN2at6native12_GLOBAL__N_125multi_tensor_apply_kernelINS1_18TensorListMetadataILi3EEENS1_32PointwiseOpScalar0dTensorFunctorIN3c107complexIdEELi3ELi2ELi0EEEJSt10multipliesIS8_ES8_EEEvT_T0_DpT1_.num_agpr, 0
	.set _ZN2at6native12_GLOBAL__N_125multi_tensor_apply_kernelINS1_18TensorListMetadataILi3EEENS1_32PointwiseOpScalar0dTensorFunctorIN3c107complexIdEELi3ELi2ELi0EEEJSt10multipliesIS8_ES8_EEEvT_T0_DpT1_.numbered_sgpr, 32
	.set _ZN2at6native12_GLOBAL__N_125multi_tensor_apply_kernelINS1_18TensorListMetadataILi3EEENS1_32PointwiseOpScalar0dTensorFunctorIN3c107complexIdEELi3ELi2ELi0EEEJSt10multipliesIS8_ES8_EEEvT_T0_DpT1_.num_named_barrier, 0
	.set _ZN2at6native12_GLOBAL__N_125multi_tensor_apply_kernelINS1_18TensorListMetadataILi3EEENS1_32PointwiseOpScalar0dTensorFunctorIN3c107complexIdEELi3ELi2ELi0EEEJSt10multipliesIS8_ES8_EEEvT_T0_DpT1_.private_seg_size, 0
	.set _ZN2at6native12_GLOBAL__N_125multi_tensor_apply_kernelINS1_18TensorListMetadataILi3EEENS1_32PointwiseOpScalar0dTensorFunctorIN3c107complexIdEELi3ELi2ELi0EEEJSt10multipliesIS8_ES8_EEEvT_T0_DpT1_.uses_vcc, 1
	.set _ZN2at6native12_GLOBAL__N_125multi_tensor_apply_kernelINS1_18TensorListMetadataILi3EEENS1_32PointwiseOpScalar0dTensorFunctorIN3c107complexIdEELi3ELi2ELi0EEEJSt10multipliesIS8_ES8_EEEvT_T0_DpT1_.uses_flat_scratch, 0
	.set _ZN2at6native12_GLOBAL__N_125multi_tensor_apply_kernelINS1_18TensorListMetadataILi3EEENS1_32PointwiseOpScalar0dTensorFunctorIN3c107complexIdEELi3ELi2ELi0EEEJSt10multipliesIS8_ES8_EEEvT_T0_DpT1_.has_dyn_sized_stack, 0
	.set _ZN2at6native12_GLOBAL__N_125multi_tensor_apply_kernelINS1_18TensorListMetadataILi3EEENS1_32PointwiseOpScalar0dTensorFunctorIN3c107complexIdEELi3ELi2ELi0EEEJSt10multipliesIS8_ES8_EEEvT_T0_DpT1_.has_recursion, 0
	.set _ZN2at6native12_GLOBAL__N_125multi_tensor_apply_kernelINS1_18TensorListMetadataILi3EEENS1_32PointwiseOpScalar0dTensorFunctorIN3c107complexIdEELi3ELi2ELi0EEEJSt10multipliesIS8_ES8_EEEvT_T0_DpT1_.has_indirect_call, 0
	.section	.AMDGPU.csdata,"",@progbits
; Kernel info:
; codeLenInByte = 2252
; TotalNumSgprs: 36
; NumVgprs: 46
; ScratchSize: 0
; MemoryBound: 1
; FloatMode: 240
; IeeeMode: 1
; LDSByteSize: 0 bytes/workgroup (compile time only)
; SGPRBlocks: 4
; VGPRBlocks: 11
; NumSGPRsForWavesPerEU: 36
; NumVGPRsForWavesPerEU: 46
; Occupancy: 5
; WaveLimiterHint : 0
; COMPUTE_PGM_RSRC2:SCRATCH_EN: 0
; COMPUTE_PGM_RSRC2:USER_SGPR: 6
; COMPUTE_PGM_RSRC2:TRAP_HANDLER: 0
; COMPUTE_PGM_RSRC2:TGID_X_EN: 1
; COMPUTE_PGM_RSRC2:TGID_Y_EN: 0
; COMPUTE_PGM_RSRC2:TGID_Z_EN: 0
; COMPUTE_PGM_RSRC2:TIDIG_COMP_CNT: 0
	.section	.text._ZN2at6native12_GLOBAL__N_125multi_tensor_apply_kernelINS1_18TensorListMetadataILi3EEENS1_32PointwiseOpScalar0dTensorFunctorIN3c107complexIfEELi3ELi2ELi0EEEJSt10multipliesIS8_ES8_EEEvT_T0_DpT1_,"axG",@progbits,_ZN2at6native12_GLOBAL__N_125multi_tensor_apply_kernelINS1_18TensorListMetadataILi3EEENS1_32PointwiseOpScalar0dTensorFunctorIN3c107complexIfEELi3ELi2ELi0EEEJSt10multipliesIS8_ES8_EEEvT_T0_DpT1_,comdat
	.globl	_ZN2at6native12_GLOBAL__N_125multi_tensor_apply_kernelINS1_18TensorListMetadataILi3EEENS1_32PointwiseOpScalar0dTensorFunctorIN3c107complexIfEELi3ELi2ELi0EEEJSt10multipliesIS8_ES8_EEEvT_T0_DpT1_ ; -- Begin function _ZN2at6native12_GLOBAL__N_125multi_tensor_apply_kernelINS1_18TensorListMetadataILi3EEENS1_32PointwiseOpScalar0dTensorFunctorIN3c107complexIfEELi3ELi2ELi0EEEJSt10multipliesIS8_ES8_EEEvT_T0_DpT1_
	.p2align	8
	.type	_ZN2at6native12_GLOBAL__N_125multi_tensor_apply_kernelINS1_18TensorListMetadataILi3EEENS1_32PointwiseOpScalar0dTensorFunctorIN3c107complexIfEELi3ELi2ELi0EEEJSt10multipliesIS8_ES8_EEEvT_T0_DpT1_,@function
_ZN2at6native12_GLOBAL__N_125multi_tensor_apply_kernelINS1_18TensorListMetadataILi3EEENS1_32PointwiseOpScalar0dTensorFunctorIN3c107complexIfEELi3ELi2ELi0EEEJSt10multipliesIS8_ES8_EEEvT_T0_DpT1_: ; @_ZN2at6native12_GLOBAL__N_125multi_tensor_apply_kernelINS1_18TensorListMetadataILi3EEENS1_32PointwiseOpScalar0dTensorFunctorIN3c107complexIfEELi3ELi2ELi0EEEJSt10multipliesIS8_ES8_EEEvT_T0_DpT1_
; %bb.0:
	v_mov_b32_e32 v1, s6
	global_load_ubyte v1, v1, s[4:5] offset:1536
	s_add_u32 s0, s4, s6
	s_mul_hi_u32 s1, s6, 3
	s_mul_i32 s6, s6, 3
	s_addc_u32 s2, s5, 0
	s_add_u32 s0, s0, s6
	s_addc_u32 s1, s2, s1
	s_load_dword s2, s[0:1], 0x740
	s_load_dwordx2 s[6:7], s[4:5], 0xc50
	s_mov_b32 s1, 0
	s_mov_b32 s17, s1
	s_waitcnt lgkmcnt(0)
	s_ashr_i32 s3, s2, 31
	s_lshl_b64 s[14:15], s[2:3], 19
	s_waitcnt vmcnt(0)
	v_readfirstlane_b32 s0, v1
	s_lshl_b32 s0, s0, 3
	s_load_dwordx2 s[8:9], s[4:5], s0 offset:0x0
	s_load_dwordx2 s[12:13], s[4:5], s0 offset:0x180
	;; [unrolled: 1-line block ×4, first 2 shown]
	s_waitcnt lgkmcnt(0)
	s_add_u32 s8, s8, s14
	s_addc_u32 s9, s9, s15
	s_add_u32 s0, s12, s14
	s_load_dwordx2 s[10:11], s[12:13], 0x0
	s_add_u32 s12, s20, s14
	s_addc_u32 s13, s21, s15
	s_or_b32 s14, s12, s0
	s_lshl_b64 s[2:3], s[2:3], 16
	s_and_b32 s0, s8, 31
	s_and_b32 s14, s14, 31
	s_cmp_lg_u32 s14, 0
	s_cselect_b64 s[20:21], -1, 0
	s_sub_u32 s14, s18, s2
	s_subb_u32 s15, s19, s3
	s_and_b32 s16, s18, 3
	s_or_b64 s[0:1], s[0:1], s[16:17]
	s_cmp_lg_u64 s[0:1], 0
	s_cselect_b64 s[0:1], -1, 0
	s_or_b64 s[0:1], s[20:21], s[0:1]
	s_andn2_b64 vcc, exec, s[0:1]
	s_mov_b64 s[0:1], -1
	s_cbranch_vccz .LBB41_5
; %bb.1:
	v_mov_b32_e32 v1, 0x10000
	v_mov_b32_e32 v2, 0
	v_cmp_lt_i64_e32 vcc, s[14:15], v[1:2]
	v_mov_b32_e32 v2, 0
	s_and_b64 s[0:1], vcc, exec
	s_cselect_b32 s17, s15, 0
	s_cselect_b32 s16, s14, 0x10000
	v_lshlrev_b32_e32 v1, 2, v0
	v_cmp_gt_i64_e32 vcc, s[16:17], v[1:2]
	s_and_saveexec_b64 s[18:19], vcc
	s_cbranch_execz .LBB41_4
; %bb.2:
	s_load_dword s20, s[4:5], 0xc64
	s_and_b32 s2, s7, 0x7fffffff
	v_mov_b32_e32 v1, v2
	s_cmp_eq_u32 s2, 0
	v_cmp_eq_f32_e64 s[0:1], s6, 1.0
	s_cselect_b64 s[2:3], -1, 0
	s_waitcnt lgkmcnt(0)
	s_and_b32 s26, s20, 0xffff
	v_mov_b32_e32 v2, v1
	s_and_b64 vcc, s[0:1], s[2:3]
	v_lshlrev_b32_e32 v3, 5, v0
	s_lshl_b32 s27, s26, 5
	s_mov_b64 s[20:21], 0
	s_mov_b64 s[22:23], s[8:9]
	;; [unrolled: 1-line block ×3, first 2 shown]
	v_mov_b32_e32 v1, v0
.LBB41_3:                               ; =>This Inner Loop Header: Depth=1
	v_mov_b32_e32 v5, s25
	v_add_co_u32_e64 v16, s[0:1], s24, v3
	v_mov_b32_e32 v4, s23
	v_add_co_u32_e64 v18, s[2:3], s22, v3
	v_addc_co_u32_e64 v17, s[0:1], 0, v5, s[0:1]
	v_addc_co_u32_e64 v19, s[2:3], 0, v4, s[2:3]
	global_load_dwordx4 v[4:7], v[16:17], off
	global_load_dwordx4 v[8:11], v[16:17], off offset:16
	global_load_dwordx4 v[12:15], v[18:19], off
	v_add_co_u32_e64 v1, s[0:1], s26, v1
	v_addc_co_u32_e64 v2, s[0:1], 0, v2, s[0:1]
	s_add_u32 s24, s24, s27
	s_addc_u32 s25, s25, 0
	s_add_u32 s22, s22, s27
	s_addc_u32 s23, s23, 0
	s_waitcnt vmcnt(2)
	v_mul_f32_e32 v16, s11, v5
	v_mul_f32_e32 v17, s10, v5
	;; [unrolled: 1-line block ×4, first 2 shown]
	s_waitcnt vmcnt(1)
	v_mul_f32_e32 v7, s11, v9
	v_fma_f32 v16, v4, s10, -v16
	v_fmac_f32_e32 v17, s11, v4
	v_fma_f32 v22, v6, s10, -v5
	v_fmac_f32_e32 v20, s11, v6
	v_fma_f32 v23, v8, s10, -v7
	global_load_dwordx4 v[4:7], v[18:19], off offset:16
	v_mul_f32_e32 v21, s10, v9
	v_mul_f32_e32 v9, s11, v11
	v_fmac_f32_e32 v21, s11, v8
	v_fma_f32 v24, v10, s10, -v9
	v_lshlrev_b64 v[8:9], 2, v[1:2]
	v_mul_f32_e32 v11, s10, v11
	v_cmp_le_i64_e64 s[0:1], s[16:17], v[8:9]
	v_mul_f32_e32 v8, s7, v17
	v_mul_f32_e32 v9, s7, v16
	v_fma_f32 v8, v16, s6, -v8
	v_fmac_f32_e32 v9, s6, v17
	v_fmac_f32_e32 v11, s11, v10
	v_mul_f32_e32 v10, s7, v20
	v_cndmask_b32_e32 v8, v8, v16, vcc
	v_mul_f32_e32 v16, s7, v22
	v_cndmask_b32_e32 v9, v9, v17, vcc
	v_mul_f32_e32 v17, s7, v21
	v_fma_f32 v10, v22, s6, -v10
	v_fmac_f32_e32 v16, s6, v20
	v_fma_f32 v17, v23, s6, -v17
	v_cndmask_b32_e32 v10, v10, v22, vcc
	v_mul_f32_e32 v22, s7, v23
	v_cndmask_b32_e32 v16, v16, v20, vcc
	v_mul_f32_e32 v20, s7, v11
	;; [unrolled: 2-line block ×3, first 2 shown]
	v_fmac_f32_e32 v22, s6, v21
	v_fma_f32 v20, v24, s6, -v20
	v_fmac_f32_e32 v23, s6, v11
	s_or_b64 s[20:21], s[0:1], s[20:21]
	v_cndmask_b32_e32 v21, v22, v21, vcc
	v_cndmask_b32_e32 v20, v20, v24, vcc
	v_cndmask_b32_e32 v22, v23, v11, vcc
	s_waitcnt vmcnt(1)
	v_add_f32_e32 v8, v12, v8
	v_add_f32_e32 v9, v13, v9
	v_add_f32_e32 v10, v14, v10
	v_add_f32_e32 v11, v15, v16
	s_waitcnt vmcnt(0)
	v_add_f32_e32 v4, v4, v17
	v_add_f32_e32 v5, v5, v21
	;; [unrolled: 1-line block ×4, first 2 shown]
	global_store_dwordx4 v[18:19], v[8:11], off
	global_store_dwordx4 v[18:19], v[4:7], off offset:16
	s_andn2_b64 exec, exec, s[20:21]
	s_cbranch_execnz .LBB41_3
.LBB41_4:
	s_or_b64 exec, exec, s[18:19]
	s_mov_b64 s[0:1], 0
.LBB41_5:
	s_andn2_b64 vcc, exec, s[0:1]
	s_cbranch_vccnz .LBB41_25
; %bb.6:
	v_cmp_lt_i64_e64 s[0:1], s[14:15], 1
	s_and_b64 vcc, exec, s[0:1]
	s_cbranch_vccnz .LBB41_25
; %bb.7:
	v_mov_b32_e32 v1, 0x10000
	s_load_dword s4, s[4:5], 0xc64
	v_mov_b32_e32 v2, 0
	v_cmp_lt_i64_e32 vcc, s[14:15], v[1:2]
	s_and_b64 s[0:1], vcc, exec
	s_cselect_b32 s3, s15, 0
	s_cselect_b32 s2, s14, 0x10000
	s_waitcnt lgkmcnt(0)
	s_and_b32 s18, s4, 0xffff
	s_and_b32 s4, s7, 0x7fffffff
	s_cmp_eq_u32 s4, 0
	v_cmp_eq_f32_e64 s[0:1], s6, 1.0
	s_cselect_b64 s[4:5], -1, 0
	v_cmp_lt_u64_e32 vcc, s[14:15], v[1:2]
	s_and_b64 s[0:1], s[0:1], s[4:5]
	s_and_b64 s[4:5], vcc, exec
	s_cselect_b32 s5, s15, 0
	s_cselect_b32 s4, s14, 0x10000
	s_lshl_b32 s19, s18, 1
	s_mul_i32 s20, s18, 3
	s_lshl_b32 s21, s18, 2
	s_mov_b64 s[14:15], 0
	s_branch .LBB41_9
.LBB41_8:                               ;   in Loop: Header=BB41_9 Depth=1
	s_or_b64 exec, exec, s[16:17]
	s_add_u32 s14, s14, s21
	v_mov_b32_e32 v1, s2
	s_addc_u32 s15, s15, 0
	v_mov_b32_e32 v2, s3
	v_cmp_ge_i64_e32 vcc, s[14:15], v[1:2]
	s_cbranch_vccnz .LBB41_25
.LBB41_9:                               ; =>This Inner Loop Header: Depth=1
	v_mov_b32_e32 v2, s15
	v_add_co_u32_e32 v1, vcc, s14, v0
	v_addc_co_u32_e32 v2, vcc, 0, v2, vcc
	v_cmp_gt_i64_e32 vcc, s[2:3], v[1:2]
	s_waitcnt vmcnt(0)
	v_mov_b32_e32 v12, 0
	v_mov_b32_e32 v11, 0
	;; [unrolled: 1-line block ×4, first 2 shown]
	s_and_saveexec_b64 s[16:17], vcc
	s_cbranch_execz .LBB41_11
; %bb.10:                               ;   in Loop: Header=BB41_9 Depth=1
	v_lshlrev_b64 v[3:4], 3, v[1:2]
	v_mov_b32_e32 v6, s13
	v_add_co_u32_e32 v5, vcc, s12, v3
	v_addc_co_u32_e32 v6, vcc, v6, v4, vcc
	v_mov_b32_e32 v7, s9
	v_add_co_u32_e32 v3, vcc, s8, v3
	v_addc_co_u32_e32 v4, vcc, v7, v4, vcc
	global_load_dwordx2 v[7:8], v[3:4], off
	global_load_dwordx2 v[11:12], v[5:6], off
.LBB41_11:                              ;   in Loop: Header=BB41_9 Depth=1
	s_or_b64 exec, exec, s[16:17]
	v_add_co_u32_e32 v5, vcc, s18, v1
	v_addc_co_u32_e32 v6, vcc, 0, v2, vcc
	v_cmp_gt_i64_e32 vcc, s[2:3], v[5:6]
	v_mov_b32_e32 v4, 0
	v_mov_b32_e32 v18, 0
	;; [unrolled: 1-line block ×5, first 2 shown]
	s_and_saveexec_b64 s[16:17], vcc
	s_cbranch_execz .LBB41_13
; %bb.12:                               ;   in Loop: Header=BB41_9 Depth=1
	v_lshlrev_b64 v[9:10], 3, v[5:6]
	v_mov_b32_e32 v3, s13
	v_add_co_u32_e32 v15, vcc, s12, v9
	v_addc_co_u32_e32 v16, vcc, v3, v10, vcc
	v_mov_b32_e32 v3, s9
	v_add_co_u32_e32 v9, vcc, s8, v9
	v_addc_co_u32_e32 v10, vcc, v3, v10, vcc
	global_load_dwordx2 v[13:14], v[9:10], off
	global_load_dwordx2 v[17:18], v[15:16], off
.LBB41_13:                              ;   in Loop: Header=BB41_9 Depth=1
	s_or_b64 exec, exec, s[16:17]
	v_add_co_u32_e32 v9, vcc, s19, v1
	v_addc_co_u32_e32 v10, vcc, 0, v2, vcc
	v_cmp_gt_i64_e32 vcc, s[2:3], v[9:10]
	v_mov_b32_e32 v3, 0
	v_mov_b32_e32 v20, 0
	;; [unrolled: 1-line block ×3, first 2 shown]
	s_and_saveexec_b64 s[16:17], vcc
	s_cbranch_execz .LBB41_15
; %bb.14:                               ;   in Loop: Header=BB41_9 Depth=1
	v_lshlrev_b64 v[3:4], 3, v[9:10]
	v_mov_b32_e32 v16, s13
	v_add_co_u32_e32 v15, vcc, s12, v3
	v_addc_co_u32_e32 v16, vcc, v16, v4, vcc
	v_mov_b32_e32 v19, s9
	v_add_co_u32_e32 v21, vcc, s8, v3
	v_addc_co_u32_e32 v22, vcc, v19, v4, vcc
	global_load_dwordx2 v[19:20], v[21:22], off
	global_load_dwordx2 v[3:4], v[15:16], off
.LBB41_15:                              ;   in Loop: Header=BB41_9 Depth=1
	s_or_b64 exec, exec, s[16:17]
	v_add_co_u32_e32 v15, vcc, s20, v1
	v_addc_co_u32_e32 v16, vcc, 0, v2, vcc
	v_cmp_gt_i64_e32 vcc, s[2:3], v[15:16]
	v_mov_b32_e32 v24, 0
	v_mov_b32_e32 v23, 0
	;; [unrolled: 1-line block ×4, first 2 shown]
	s_and_saveexec_b64 s[16:17], vcc
	s_cbranch_execnz .LBB41_20
; %bb.16:                               ;   in Loop: Header=BB41_9 Depth=1
	s_or_b64 exec, exec, s[16:17]
	v_cmp_gt_u64_e32 vcc, s[4:5], v[1:2]
	s_and_saveexec_b64 s[16:17], vcc
	s_cbranch_execnz .LBB41_21
.LBB41_17:                              ;   in Loop: Header=BB41_9 Depth=1
	s_or_b64 exec, exec, s[16:17]
	v_cmp_gt_u64_e32 vcc, s[4:5], v[5:6]
	s_and_saveexec_b64 s[16:17], vcc
	s_cbranch_execnz .LBB41_22
.LBB41_18:                              ;   in Loop: Header=BB41_9 Depth=1
	s_or_b64 exec, exec, s[16:17]
	v_cmp_gt_u64_e32 vcc, s[4:5], v[9:10]
	s_and_saveexec_b64 s[16:17], vcc
	s_cbranch_execnz .LBB41_23
.LBB41_19:                              ;   in Loop: Header=BB41_9 Depth=1
	s_or_b64 exec, exec, s[16:17]
	v_cmp_gt_u64_e32 vcc, s[4:5], v[15:16]
	s_and_saveexec_b64 s[16:17], vcc
	s_cbranch_execz .LBB41_8
	s_branch .LBB41_24
.LBB41_20:                              ;   in Loop: Header=BB41_9 Depth=1
	v_lshlrev_b64 v[21:22], 3, v[15:16]
	v_mov_b32_e32 v24, s13
	v_add_co_u32_e32 v23, vcc, s12, v21
	v_addc_co_u32_e32 v24, vcc, v24, v22, vcc
	v_mov_b32_e32 v25, s9
	v_add_co_u32_e32 v21, vcc, s8, v21
	v_addc_co_u32_e32 v22, vcc, v25, v22, vcc
	global_load_dwordx2 v[21:22], v[21:22], off
	s_nop 0
	global_load_dwordx2 v[23:24], v[23:24], off
	s_or_b64 exec, exec, s[16:17]
	v_cmp_gt_u64_e32 vcc, s[4:5], v[1:2]
	s_and_saveexec_b64 s[16:17], vcc
	s_cbranch_execz .LBB41_17
.LBB41_21:                              ;   in Loop: Header=BB41_9 Depth=1
	s_waitcnt vmcnt(0)
	v_mul_f32_e32 v25, s11, v11
	v_fmac_f32_e32 v25, s10, v12
	v_mul_f32_e32 v12, s11, v12
	v_fma_f32 v11, v11, s10, -v12
	v_mul_f32_e32 v12, s7, v11
	v_fmac_f32_e32 v12, s6, v25
	v_cndmask_b32_e64 v12, v12, v25, s[0:1]
	v_add_f32_e32 v8, v8, v12
	v_mul_f32_e32 v12, s7, v25
	v_fma_f32 v12, v11, s6, -v12
	v_lshlrev_b64 v[1:2], 3, v[1:2]
	v_cndmask_b32_e64 v11, v12, v11, s[0:1]
	v_add_f32_e32 v7, v7, v11
	v_mov_b32_e32 v11, s9
	v_add_co_u32_e32 v1, vcc, s8, v1
	v_addc_co_u32_e32 v2, vcc, v11, v2, vcc
	global_store_dwordx2 v[1:2], v[7:8], off
	s_or_b64 exec, exec, s[16:17]
	v_cmp_gt_u64_e32 vcc, s[4:5], v[5:6]
	s_and_saveexec_b64 s[16:17], vcc
	s_cbranch_execz .LBB41_18
.LBB41_22:                              ;   in Loop: Header=BB41_9 Depth=1
	s_waitcnt vmcnt(0)
	v_mul_f32_e32 v1, s11, v18
	v_mul_f32_e32 v2, s11, v17
	v_fma_f32 v1, v17, s10, -v1
	v_fmac_f32_e32 v2, s10, v18
	v_mul_f32_e32 v7, s7, v2
	v_mul_f32_e32 v8, s7, v1
	v_lshlrev_b64 v[5:6], 3, v[5:6]
	v_fma_f32 v7, v1, s6, -v7
	v_fmac_f32_e32 v8, s6, v2
	v_cndmask_b32_e64 v1, v7, v1, s[0:1]
	v_cndmask_b32_e64 v2, v8, v2, s[0:1]
	v_mov_b32_e32 v7, s9
	v_add_co_u32_e32 v5, vcc, s8, v5
	v_add_f32_e32 v1, v13, v1
	v_add_f32_e32 v2, v14, v2
	v_addc_co_u32_e32 v6, vcc, v7, v6, vcc
	global_store_dwordx2 v[5:6], v[1:2], off
	s_or_b64 exec, exec, s[16:17]
	v_cmp_gt_u64_e32 vcc, s[4:5], v[9:10]
	s_and_saveexec_b64 s[16:17], vcc
	s_cbranch_execz .LBB41_19
.LBB41_23:                              ;   in Loop: Header=BB41_9 Depth=1
	s_waitcnt vmcnt(0)
	v_mul_f32_e32 v1, s11, v4
	v_mul_f32_e32 v2, s11, v3
	v_fma_f32 v1, v3, s10, -v1
	v_fmac_f32_e32 v2, s10, v4
	v_mul_f32_e32 v3, s7, v2
	v_mul_f32_e32 v4, s7, v1
	v_fma_f32 v3, v1, s6, -v3
	v_fmac_f32_e32 v4, s6, v2
	v_cndmask_b32_e64 v1, v3, v1, s[0:1]
	v_cndmask_b32_e64 v2, v4, v2, s[0:1]
	v_lshlrev_b64 v[3:4], 3, v[9:10]
	v_mov_b32_e32 v5, s9
	v_add_co_u32_e32 v3, vcc, s8, v3
	v_add_f32_e32 v1, v19, v1
	v_add_f32_e32 v2, v20, v2
	v_addc_co_u32_e32 v4, vcc, v5, v4, vcc
	global_store_dwordx2 v[3:4], v[1:2], off
	s_or_b64 exec, exec, s[16:17]
	v_cmp_gt_u64_e32 vcc, s[4:5], v[15:16]
	s_and_saveexec_b64 s[16:17], vcc
	s_cbranch_execz .LBB41_8
.LBB41_24:                              ;   in Loop: Header=BB41_9 Depth=1
	s_waitcnt vmcnt(0)
	v_mul_f32_e32 v1, s11, v24
	v_mul_f32_e32 v2, s11, v23
	v_fma_f32 v1, v23, s10, -v1
	v_fmac_f32_e32 v2, s10, v24
	v_mul_f32_e32 v3, s7, v2
	v_mul_f32_e32 v4, s7, v1
	v_fma_f32 v3, v1, s6, -v3
	v_fmac_f32_e32 v4, s6, v2
	v_cndmask_b32_e64 v1, v3, v1, s[0:1]
	v_cndmask_b32_e64 v2, v4, v2, s[0:1]
	v_lshlrev_b64 v[3:4], 3, v[15:16]
	v_mov_b32_e32 v5, s9
	v_add_co_u32_e32 v3, vcc, s8, v3
	v_add_f32_e32 v1, v21, v1
	v_add_f32_e32 v2, v22, v2
	v_addc_co_u32_e32 v4, vcc, v5, v4, vcc
	global_store_dwordx2 v[3:4], v[1:2], off
	s_branch .LBB41_8
.LBB41_25:
	s_endpgm
	.section	.rodata,"a",@progbits
	.p2align	6, 0x0
	.amdhsa_kernel _ZN2at6native12_GLOBAL__N_125multi_tensor_apply_kernelINS1_18TensorListMetadataILi3EEENS1_32PointwiseOpScalar0dTensorFunctorIN3c107complexIfEELi3ELi2ELi0EEEJSt10multipliesIS8_ES8_EEEvT_T0_DpT1_
		.amdhsa_group_segment_fixed_size 0
		.amdhsa_private_segment_fixed_size 0
		.amdhsa_kernarg_size 3416
		.amdhsa_user_sgpr_count 6
		.amdhsa_user_sgpr_private_segment_buffer 1
		.amdhsa_user_sgpr_dispatch_ptr 0
		.amdhsa_user_sgpr_queue_ptr 0
		.amdhsa_user_sgpr_kernarg_segment_ptr 1
		.amdhsa_user_sgpr_dispatch_id 0
		.amdhsa_user_sgpr_flat_scratch_init 0
		.amdhsa_user_sgpr_private_segment_size 0
		.amdhsa_uses_dynamic_stack 0
		.amdhsa_system_sgpr_private_segment_wavefront_offset 0
		.amdhsa_system_sgpr_workgroup_id_x 1
		.amdhsa_system_sgpr_workgroup_id_y 0
		.amdhsa_system_sgpr_workgroup_id_z 0
		.amdhsa_system_sgpr_workgroup_info 0
		.amdhsa_system_vgpr_workitem_id 0
		.amdhsa_next_free_vgpr 26
		.amdhsa_next_free_sgpr 28
		.amdhsa_reserve_vcc 1
		.amdhsa_reserve_flat_scratch 0
		.amdhsa_float_round_mode_32 0
		.amdhsa_float_round_mode_16_64 0
		.amdhsa_float_denorm_mode_32 3
		.amdhsa_float_denorm_mode_16_64 3
		.amdhsa_dx10_clamp 1
		.amdhsa_ieee_mode 1
		.amdhsa_fp16_overflow 0
		.amdhsa_exception_fp_ieee_invalid_op 0
		.amdhsa_exception_fp_denorm_src 0
		.amdhsa_exception_fp_ieee_div_zero 0
		.amdhsa_exception_fp_ieee_overflow 0
		.amdhsa_exception_fp_ieee_underflow 0
		.amdhsa_exception_fp_ieee_inexact 0
		.amdhsa_exception_int_div_zero 0
	.end_amdhsa_kernel
	.section	.text._ZN2at6native12_GLOBAL__N_125multi_tensor_apply_kernelINS1_18TensorListMetadataILi3EEENS1_32PointwiseOpScalar0dTensorFunctorIN3c107complexIfEELi3ELi2ELi0EEEJSt10multipliesIS8_ES8_EEEvT_T0_DpT1_,"axG",@progbits,_ZN2at6native12_GLOBAL__N_125multi_tensor_apply_kernelINS1_18TensorListMetadataILi3EEENS1_32PointwiseOpScalar0dTensorFunctorIN3c107complexIfEELi3ELi2ELi0EEEJSt10multipliesIS8_ES8_EEEvT_T0_DpT1_,comdat
.Lfunc_end41:
	.size	_ZN2at6native12_GLOBAL__N_125multi_tensor_apply_kernelINS1_18TensorListMetadataILi3EEENS1_32PointwiseOpScalar0dTensorFunctorIN3c107complexIfEELi3ELi2ELi0EEEJSt10multipliesIS8_ES8_EEEvT_T0_DpT1_, .Lfunc_end41-_ZN2at6native12_GLOBAL__N_125multi_tensor_apply_kernelINS1_18TensorListMetadataILi3EEENS1_32PointwiseOpScalar0dTensorFunctorIN3c107complexIfEELi3ELi2ELi0EEEJSt10multipliesIS8_ES8_EEEvT_T0_DpT1_
                                        ; -- End function
	.set _ZN2at6native12_GLOBAL__N_125multi_tensor_apply_kernelINS1_18TensorListMetadataILi3EEENS1_32PointwiseOpScalar0dTensorFunctorIN3c107complexIfEELi3ELi2ELi0EEEJSt10multipliesIS8_ES8_EEEvT_T0_DpT1_.num_vgpr, 26
	.set _ZN2at6native12_GLOBAL__N_125multi_tensor_apply_kernelINS1_18TensorListMetadataILi3EEENS1_32PointwiseOpScalar0dTensorFunctorIN3c107complexIfEELi3ELi2ELi0EEEJSt10multipliesIS8_ES8_EEEvT_T0_DpT1_.num_agpr, 0
	.set _ZN2at6native12_GLOBAL__N_125multi_tensor_apply_kernelINS1_18TensorListMetadataILi3EEENS1_32PointwiseOpScalar0dTensorFunctorIN3c107complexIfEELi3ELi2ELi0EEEJSt10multipliesIS8_ES8_EEEvT_T0_DpT1_.numbered_sgpr, 28
	.set _ZN2at6native12_GLOBAL__N_125multi_tensor_apply_kernelINS1_18TensorListMetadataILi3EEENS1_32PointwiseOpScalar0dTensorFunctorIN3c107complexIfEELi3ELi2ELi0EEEJSt10multipliesIS8_ES8_EEEvT_T0_DpT1_.num_named_barrier, 0
	.set _ZN2at6native12_GLOBAL__N_125multi_tensor_apply_kernelINS1_18TensorListMetadataILi3EEENS1_32PointwiseOpScalar0dTensorFunctorIN3c107complexIfEELi3ELi2ELi0EEEJSt10multipliesIS8_ES8_EEEvT_T0_DpT1_.private_seg_size, 0
	.set _ZN2at6native12_GLOBAL__N_125multi_tensor_apply_kernelINS1_18TensorListMetadataILi3EEENS1_32PointwiseOpScalar0dTensorFunctorIN3c107complexIfEELi3ELi2ELi0EEEJSt10multipliesIS8_ES8_EEEvT_T0_DpT1_.uses_vcc, 1
	.set _ZN2at6native12_GLOBAL__N_125multi_tensor_apply_kernelINS1_18TensorListMetadataILi3EEENS1_32PointwiseOpScalar0dTensorFunctorIN3c107complexIfEELi3ELi2ELi0EEEJSt10multipliesIS8_ES8_EEEvT_T0_DpT1_.uses_flat_scratch, 0
	.set _ZN2at6native12_GLOBAL__N_125multi_tensor_apply_kernelINS1_18TensorListMetadataILi3EEENS1_32PointwiseOpScalar0dTensorFunctorIN3c107complexIfEELi3ELi2ELi0EEEJSt10multipliesIS8_ES8_EEEvT_T0_DpT1_.has_dyn_sized_stack, 0
	.set _ZN2at6native12_GLOBAL__N_125multi_tensor_apply_kernelINS1_18TensorListMetadataILi3EEENS1_32PointwiseOpScalar0dTensorFunctorIN3c107complexIfEELi3ELi2ELi0EEEJSt10multipliesIS8_ES8_EEEvT_T0_DpT1_.has_recursion, 0
	.set _ZN2at6native12_GLOBAL__N_125multi_tensor_apply_kernelINS1_18TensorListMetadataILi3EEENS1_32PointwiseOpScalar0dTensorFunctorIN3c107complexIfEELi3ELi2ELi0EEEJSt10multipliesIS8_ES8_EEEvT_T0_DpT1_.has_indirect_call, 0
	.section	.AMDGPU.csdata,"",@progbits
; Kernel info:
; codeLenInByte = 1796
; TotalNumSgprs: 32
; NumVgprs: 26
; ScratchSize: 0
; MemoryBound: 0
; FloatMode: 240
; IeeeMode: 1
; LDSByteSize: 0 bytes/workgroup (compile time only)
; SGPRBlocks: 3
; VGPRBlocks: 6
; NumSGPRsForWavesPerEU: 32
; NumVGPRsForWavesPerEU: 26
; Occupancy: 9
; WaveLimiterHint : 0
; COMPUTE_PGM_RSRC2:SCRATCH_EN: 0
; COMPUTE_PGM_RSRC2:USER_SGPR: 6
; COMPUTE_PGM_RSRC2:TRAP_HANDLER: 0
; COMPUTE_PGM_RSRC2:TGID_X_EN: 1
; COMPUTE_PGM_RSRC2:TGID_Y_EN: 0
; COMPUTE_PGM_RSRC2:TGID_Z_EN: 0
; COMPUTE_PGM_RSRC2:TIDIG_COMP_CNT: 0
	.section	.text._ZN2at6native12_GLOBAL__N_125multi_tensor_apply_kernelINS1_18TensorListMetadataILi3EEENS1_32PointwiseOpScalar0dTensorFunctorIN3c104HalfELi3ELi2ELi0EEEJSt10multipliesIfEfEEEvT_T0_DpT1_,"axG",@progbits,_ZN2at6native12_GLOBAL__N_125multi_tensor_apply_kernelINS1_18TensorListMetadataILi3EEENS1_32PointwiseOpScalar0dTensorFunctorIN3c104HalfELi3ELi2ELi0EEEJSt10multipliesIfEfEEEvT_T0_DpT1_,comdat
	.globl	_ZN2at6native12_GLOBAL__N_125multi_tensor_apply_kernelINS1_18TensorListMetadataILi3EEENS1_32PointwiseOpScalar0dTensorFunctorIN3c104HalfELi3ELi2ELi0EEEJSt10multipliesIfEfEEEvT_T0_DpT1_ ; -- Begin function _ZN2at6native12_GLOBAL__N_125multi_tensor_apply_kernelINS1_18TensorListMetadataILi3EEENS1_32PointwiseOpScalar0dTensorFunctorIN3c104HalfELi3ELi2ELi0EEEJSt10multipliesIfEfEEEvT_T0_DpT1_
	.p2align	8
	.type	_ZN2at6native12_GLOBAL__N_125multi_tensor_apply_kernelINS1_18TensorListMetadataILi3EEENS1_32PointwiseOpScalar0dTensorFunctorIN3c104HalfELi3ELi2ELi0EEEJSt10multipliesIfEfEEEvT_T0_DpT1_,@function
_ZN2at6native12_GLOBAL__N_125multi_tensor_apply_kernelINS1_18TensorListMetadataILi3EEENS1_32PointwiseOpScalar0dTensorFunctorIN3c104HalfELi3ELi2ELi0EEEJSt10multipliesIfEfEEEvT_T0_DpT1_: ; @_ZN2at6native12_GLOBAL__N_125multi_tensor_apply_kernelINS1_18TensorListMetadataILi3EEENS1_32PointwiseOpScalar0dTensorFunctorIN3c104HalfELi3ELi2ELi0EEEJSt10multipliesIfEfEEEvT_T0_DpT1_
; %bb.0:
	v_mov_b32_e32 v1, s6
	global_load_ubyte v1, v1, s[4:5] offset:1536
	s_add_u32 s0, s4, s6
	s_mul_hi_u32 s1, s6, 3
	s_mul_i32 s6, s6, 3
	s_addc_u32 s2, s5, 0
	s_add_u32 s0, s0, s6
	s_addc_u32 s1, s2, s1
	s_load_dword s6, s[0:1], 0x740
	v_mov_b32_e32 v2, 0
	s_mov_b32 s15, 0
	s_waitcnt lgkmcnt(0)
	s_ashr_i32 s7, s6, 31
	s_waitcnt vmcnt(0)
	v_readfirstlane_b32 s0, v1
	s_lshl_b32 s0, s0, 3
	s_load_dwordx2 s[10:11], s[4:5], s0 offset:0x180
	s_load_dwordx2 s[2:3], s[4:5], s0 offset:0x300
	s_waitcnt lgkmcnt(0)
	global_load_ushort v1, v2, s[10:11]
	s_load_dword s16, s[4:5], 0xc4c
	s_load_dwordx2 s[8:9], s[4:5], s0 offset:0x0
	s_load_dwordx2 s[12:13], s[4:5], s0 offset:0x480
	s_lshl_b64 s[0:1], s[6:7], 17
	s_mov_b32 s11, s15
	s_waitcnt lgkmcnt(0)
	s_add_u32 s17, s8, s0
	s_addc_u32 s18, s9, s1
	s_and_b32 s14, s17, 7
	s_add_u32 s10, s10, s0
	s_add_u32 s19, s2, s0
	s_addc_u32 s20, s3, s1
	s_or_b32 s10, s19, s10
	s_and_b32 s10, s10, 7
	s_cmp_lg_u32 s10, 0
	s_cselect_b64 s[22:23], -1, 0
	s_lshl_b64 s[6:7], s[6:7], 16
	s_sub_u32 s6, s12, s6
	s_subb_u32 s7, s13, s7
	s_and_b32 s10, s12, 3
	s_or_b64 s[10:11], s[14:15], s[10:11]
	s_cmp_lg_u64 s[10:11], 0
	s_cselect_b64 s[10:11], -1, 0
	s_or_b64 s[10:11], s[22:23], s[10:11]
	s_andn2_b64 vcc, exec, s[10:11]
	s_mov_b64 s[10:11], -1
	s_waitcnt vmcnt(0)
	v_cvt_f32_f16_e32 v9, v1
	s_cbranch_vccz .LBB42_5
; %bb.1:
	v_mov_b32_e32 v3, 0x10000
	v_mov_b32_e32 v4, 0
	v_cmp_lt_i64_e32 vcc, s[6:7], v[3:4]
	v_lshlrev_b32_e32 v1, 2, v0
	s_and_b64 s[10:11], vcc, exec
	s_cselect_b32 s11, s7, 0
	s_cselect_b32 s10, s6, 0x10000
	v_cmp_gt_i64_e32 vcc, s[10:11], v[1:2]
	s_and_saveexec_b64 s[12:13], vcc
	s_cbranch_execz .LBB42_4
; %bb.2:
	s_load_dword s14, s[4:5], 0xc5c
	v_mov_b32_e32 v1, v2
	v_lshlrev_b32_e32 v2, 3, v0
	v_mov_b32_e32 v4, s1
	v_add_co_u32_e64 v3, s[0:1], s0, v2
	s_waitcnt lgkmcnt(0)
	s_and_b32 s21, s14, 0xffff
	v_mov_b32_e32 v2, v1
	v_cmp_eq_f32_e64 vcc, s16, 1.0
	v_addc_co_u32_e64 v4, s[0:1], 0, v4, s[0:1]
	s_lshl_b32 s22, s21, 3
	s_mov_b64 s[14:15], 0
	v_mov_b32_e32 v5, s9
	v_mov_b32_e32 v6, s3
	;; [unrolled: 1-line block ×3, first 2 shown]
.LBB42_3:                               ; =>This Inner Loop Header: Depth=1
	v_add_co_u32_e64 v7, s[0:1], s8, v3
	v_addc_co_u32_e64 v8, s[0:1], v5, v4, s[0:1]
	v_add_co_u32_e64 v10, s[0:1], s2, v3
	v_addc_co_u32_e64 v11, s[0:1], v6, v4, s[0:1]
	global_load_dwordx2 v[12:13], v[10:11], off
	global_load_dwordx2 v[14:15], v[7:8], off
	v_add_co_u32_e64 v1, s[0:1], s21, v1
	v_addc_co_u32_e64 v2, s[0:1], 0, v2, s[0:1]
	v_add_co_u32_e64 v3, s[0:1], s22, v3
	v_addc_co_u32_e64 v4, s[0:1], 0, v4, s[0:1]
	s_waitcnt vmcnt(1)
	v_cvt_f32_f16_e32 v10, v12
	v_cvt_f32_f16_sdwa v11, v12 dst_sel:DWORD dst_unused:UNUSED_PAD src0_sel:WORD_1
	v_cvt_f32_f16_e32 v17, v13
	v_cvt_f32_f16_sdwa v19, v13 dst_sel:DWORD dst_unused:UNUSED_PAD src0_sel:WORD_1
	v_mul_f32_e32 v10, v9, v10
	v_mul_f32_e32 v11, v9, v11
	;; [unrolled: 1-line block ×4, first 2 shown]
	s_waitcnt vmcnt(0)
	v_fma_mix_f32 v16, v9, v12, v14 op_sel_hi:[0,1,1]
	v_fma_mix_f32 v12, v9, v12, v14 op_sel:[0,1,1] op_sel_hi:[0,1,1]
	v_fma_mix_f32 v18, v9, v13, v15 op_sel_hi:[0,1,1]
	v_fma_mix_f32 v13, v9, v13, v15 op_sel:[0,1,1] op_sel_hi:[0,1,1]
	;; [unrolled: 2-line block ×4, first 2 shown]
	v_cndmask_b32_e32 v16, v20, v16, vcc
	v_cndmask_b32_e32 v12, v14, v12, vcc
	;; [unrolled: 1-line block ×4, first 2 shown]
	v_lshlrev_b64 v[10:11], 2, v[1:2]
	v_cvt_f16_f32_e32 v15, v16
	v_cvt_f16_f32_e32 v12, v12
	;; [unrolled: 1-line block ×4, first 2 shown]
	v_cmp_le_i64_e64 s[0:1], s[10:11], v[10:11]
	v_pack_b32_f16 v10, v15, v12
	s_or_b64 s[14:15], s[0:1], s[14:15]
	v_pack_b32_f16 v11, v14, v13
	global_store_dwordx2 v[7:8], v[10:11], off
	s_andn2_b64 exec, exec, s[14:15]
	s_cbranch_execnz .LBB42_3
.LBB42_4:
	s_or_b64 exec, exec, s[12:13]
	s_mov_b64 s[10:11], 0
.LBB42_5:
	s_andn2_b64 vcc, exec, s[10:11]
	s_cbranch_vccnz .LBB42_25
; %bb.6:
	v_cmp_lt_i64_e64 s[0:1], s[6:7], 1
	s_and_b64 vcc, exec, s[0:1]
	s_cbranch_vccnz .LBB42_25
; %bb.7:
	v_mov_b32_e32 v1, 0x10000
	s_load_dword s4, s[4:5], 0xc5c
	v_mov_b32_e32 v2, 0
	v_cmp_lt_i64_e32 vcc, s[6:7], v[1:2]
	s_and_b64 s[0:1], vcc, exec
	v_cmp_lt_u64_e32 vcc, s[6:7], v[1:2]
	s_cselect_b32 s3, s7, 0
	s_cselect_b32 s2, s6, 0x10000
	s_waitcnt lgkmcnt(0)
	s_and_b32 s10, s4, 0xffff
	s_and_b64 s[4:5], vcc, exec
	v_cmp_eq_f32_e64 s[0:1], s16, 1.0
	s_cselect_b32 s5, s7, 0
	s_cselect_b32 s4, s6, 0x10000
	s_lshl_b32 s11, s10, 1
	s_mul_i32 s12, s10, 3
	s_lshl_b32 s13, s10, 2
	s_mov_b64 s[6:7], 0
	s_branch .LBB42_9
.LBB42_8:                               ;   in Loop: Header=BB42_9 Depth=1
	s_or_b64 exec, exec, s[8:9]
	s_add_u32 s6, s6, s13
	v_mov_b32_e32 v1, s2
	s_addc_u32 s7, s7, 0
	v_mov_b32_e32 v2, s3
	v_cmp_ge_i64_e32 vcc, s[6:7], v[1:2]
	s_cbranch_vccnz .LBB42_25
.LBB42_9:                               ; =>This Inner Loop Header: Depth=1
	v_mov_b32_e32 v2, s7
	v_add_co_u32_e32 v1, vcc, s6, v0
	v_addc_co_u32_e32 v2, vcc, 0, v2, vcc
	v_cmp_gt_i64_e32 vcc, s[2:3], v[1:2]
	v_mov_b32_e32 v12, 0
	v_mov_b32_e32 v10, 0
	s_and_saveexec_b64 s[8:9], vcc
	s_cbranch_execz .LBB42_11
; %bb.10:                               ;   in Loop: Header=BB42_9 Depth=1
	v_lshlrev_b64 v[3:4], 1, v[1:2]
	v_mov_b32_e32 v6, s18
	v_add_co_u32_e32 v5, vcc, s17, v3
	v_addc_co_u32_e32 v6, vcc, v6, v4, vcc
	v_mov_b32_e32 v7, s20
	v_add_co_u32_e32 v3, vcc, s19, v3
	v_addc_co_u32_e32 v4, vcc, v7, v4, vcc
	global_load_ushort v7, v[5:6], off
	global_load_ushort v8, v[3:4], off
	s_waitcnt vmcnt(1)
	v_cvt_f32_f16_e32 v10, v7
	s_waitcnt vmcnt(0)
	v_cvt_f32_f16_e32 v12, v8
.LBB42_11:                              ;   in Loop: Header=BB42_9 Depth=1
	s_or_b64 exec, exec, s[8:9]
	v_add_co_u32_e32 v3, vcc, s10, v1
	v_addc_co_u32_e32 v4, vcc, 0, v2, vcc
	v_cmp_gt_i64_e32 vcc, s[2:3], v[3:4]
	v_mov_b32_e32 v11, 0
	v_mov_b32_e32 v14, 0
	;; [unrolled: 1-line block ×3, first 2 shown]
	s_and_saveexec_b64 s[8:9], vcc
	s_cbranch_execz .LBB42_13
; %bb.12:                               ;   in Loop: Header=BB42_9 Depth=1
	v_lshlrev_b64 v[5:6], 1, v[3:4]
	v_mov_b32_e32 v8, s18
	v_add_co_u32_e32 v7, vcc, s17, v5
	v_addc_co_u32_e32 v8, vcc, v8, v6, vcc
	v_mov_b32_e32 v13, s20
	v_add_co_u32_e32 v5, vcc, s19, v5
	v_addc_co_u32_e32 v6, vcc, v13, v6, vcc
	global_load_ushort v13, v[7:8], off
	global_load_ushort v14, v[5:6], off
	s_waitcnt vmcnt(1)
	v_cvt_f32_f16_e32 v13, v13
	s_waitcnt vmcnt(0)
	v_cvt_f32_f16_e32 v14, v14
.LBB42_13:                              ;   in Loop: Header=BB42_9 Depth=1
	s_or_b64 exec, exec, s[8:9]
	v_add_co_u32_e32 v5, vcc, s11, v1
	v_addc_co_u32_e32 v6, vcc, 0, v2, vcc
	v_cmp_gt_i64_e32 vcc, s[2:3], v[5:6]
	v_mov_b32_e32 v15, 0
	s_and_saveexec_b64 s[8:9], vcc
	s_cbranch_execz .LBB42_15
; %bb.14:                               ;   in Loop: Header=BB42_9 Depth=1
	v_lshlrev_b64 v[7:8], 1, v[5:6]
	v_mov_b32_e32 v11, s18
	v_add_co_u32_e32 v15, vcc, s17, v7
	v_addc_co_u32_e32 v16, vcc, v11, v8, vcc
	v_mov_b32_e32 v11, s20
	v_add_co_u32_e32 v7, vcc, s19, v7
	v_addc_co_u32_e32 v8, vcc, v11, v8, vcc
	global_load_ushort v11, v[15:16], off
	global_load_ushort v17, v[7:8], off
	s_waitcnt vmcnt(1)
	v_cvt_f32_f16_e32 v15, v11
	s_waitcnt vmcnt(0)
	v_cvt_f32_f16_e32 v11, v17
.LBB42_15:                              ;   in Loop: Header=BB42_9 Depth=1
	s_or_b64 exec, exec, s[8:9]
	v_add_co_u32_e32 v7, vcc, s12, v1
	v_addc_co_u32_e32 v8, vcc, 0, v2, vcc
	v_cmp_gt_i64_e32 vcc, s[2:3], v[7:8]
	v_mov_b32_e32 v17, 0
	v_mov_b32_e32 v16, 0
	s_and_saveexec_b64 s[8:9], vcc
	s_cbranch_execnz .LBB42_20
; %bb.16:                               ;   in Loop: Header=BB42_9 Depth=1
	s_or_b64 exec, exec, s[8:9]
	v_cmp_gt_u64_e32 vcc, s[4:5], v[1:2]
	s_and_saveexec_b64 s[8:9], vcc
	s_cbranch_execnz .LBB42_21
.LBB42_17:                              ;   in Loop: Header=BB42_9 Depth=1
	s_or_b64 exec, exec, s[8:9]
	v_cmp_gt_u64_e32 vcc, s[4:5], v[3:4]
	s_and_saveexec_b64 s[8:9], vcc
	s_cbranch_execnz .LBB42_22
.LBB42_18:                              ;   in Loop: Header=BB42_9 Depth=1
	s_or_b64 exec, exec, s[8:9]
	v_cmp_gt_u64_e32 vcc, s[4:5], v[5:6]
	s_and_saveexec_b64 s[8:9], vcc
	s_cbranch_execnz .LBB42_23
.LBB42_19:                              ;   in Loop: Header=BB42_9 Depth=1
	s_or_b64 exec, exec, s[8:9]
	v_cmp_gt_u64_e32 vcc, s[4:5], v[7:8]
	s_and_saveexec_b64 s[8:9], vcc
	s_cbranch_execz .LBB42_8
	s_branch .LBB42_24
.LBB42_20:                              ;   in Loop: Header=BB42_9 Depth=1
	v_lshlrev_b64 v[16:17], 1, v[7:8]
	v_mov_b32_e32 v19, s18
	v_add_co_u32_e32 v18, vcc, s17, v16
	v_addc_co_u32_e32 v19, vcc, v19, v17, vcc
	v_mov_b32_e32 v20, s20
	v_add_co_u32_e32 v16, vcc, s19, v16
	v_addc_co_u32_e32 v17, vcc, v20, v17, vcc
	global_load_ushort v20, v[18:19], off
	global_load_ushort v21, v[16:17], off
	s_waitcnt vmcnt(1)
	v_cvt_f32_f16_e32 v16, v20
	s_waitcnt vmcnt(0)
	v_cvt_f32_f16_e32 v17, v21
	s_or_b64 exec, exec, s[8:9]
	v_cmp_gt_u64_e32 vcc, s[4:5], v[1:2]
	s_and_saveexec_b64 s[8:9], vcc
	s_cbranch_execz .LBB42_17
.LBB42_21:                              ;   in Loop: Header=BB42_9 Depth=1
	v_fma_f32 v19, v9, v12, v10
	v_mul_f32_e32 v12, v12, v9
	v_fmac_f32_e32 v10, s16, v12
	v_cndmask_b32_e64 v10, v10, v19, s[0:1]
	v_lshlrev_b64 v[1:2], 1, v[1:2]
	v_cvt_f16_f32_e32 v10, v10
	v_mov_b32_e32 v18, s18
	v_add_co_u32_e32 v1, vcc, s17, v1
	v_addc_co_u32_e32 v2, vcc, v18, v2, vcc
	global_store_short v[1:2], v10, off
	s_or_b64 exec, exec, s[8:9]
	v_cmp_gt_u64_e32 vcc, s[4:5], v[3:4]
	s_and_saveexec_b64 s[8:9], vcc
	s_cbranch_execz .LBB42_18
.LBB42_22:                              ;   in Loop: Header=BB42_9 Depth=1
	v_mul_f32_e32 v2, v14, v9
	v_fma_f32 v1, v9, v14, v13
	v_fmac_f32_e32 v13, s16, v2
	v_cndmask_b32_e64 v1, v13, v1, s[0:1]
	v_cvt_f16_f32_e32 v10, v1
	v_lshlrev_b64 v[1:2], 1, v[3:4]
	v_mov_b32_e32 v3, s18
	v_add_co_u32_e32 v1, vcc, s17, v1
	v_addc_co_u32_e32 v2, vcc, v3, v2, vcc
	global_store_short v[1:2], v10, off
	s_or_b64 exec, exec, s[8:9]
	v_cmp_gt_u64_e32 vcc, s[4:5], v[5:6]
	s_and_saveexec_b64 s[8:9], vcc
	s_cbranch_execz .LBB42_19
.LBB42_23:                              ;   in Loop: Header=BB42_9 Depth=1
	v_mul_f32_e32 v2, v11, v9
	v_fma_f32 v1, v9, v11, v15
	v_fmac_f32_e32 v15, s16, v2
	v_cndmask_b32_e64 v1, v15, v1, s[0:1]
	v_cvt_f16_f32_e32 v3, v1
	v_lshlrev_b64 v[1:2], 1, v[5:6]
	v_mov_b32_e32 v4, s18
	v_add_co_u32_e32 v1, vcc, s17, v1
	v_addc_co_u32_e32 v2, vcc, v4, v2, vcc
	global_store_short v[1:2], v3, off
	s_or_b64 exec, exec, s[8:9]
	v_cmp_gt_u64_e32 vcc, s[4:5], v[7:8]
	s_and_saveexec_b64 s[8:9], vcc
	s_cbranch_execz .LBB42_8
.LBB42_24:                              ;   in Loop: Header=BB42_9 Depth=1
	v_mul_f32_e32 v2, v17, v9
	v_fma_f32 v1, v9, v17, v16
	v_fmac_f32_e32 v16, s16, v2
	v_cndmask_b32_e64 v1, v16, v1, s[0:1]
	v_cvt_f16_f32_e32 v3, v1
	v_lshlrev_b64 v[1:2], 1, v[7:8]
	v_mov_b32_e32 v4, s18
	v_add_co_u32_e32 v1, vcc, s17, v1
	v_addc_co_u32_e32 v2, vcc, v4, v2, vcc
	global_store_short v[1:2], v3, off
	s_branch .LBB42_8
.LBB42_25:
	s_endpgm
	.section	.rodata,"a",@progbits
	.p2align	6, 0x0
	.amdhsa_kernel _ZN2at6native12_GLOBAL__N_125multi_tensor_apply_kernelINS1_18TensorListMetadataILi3EEENS1_32PointwiseOpScalar0dTensorFunctorIN3c104HalfELi3ELi2ELi0EEEJSt10multipliesIfEfEEEvT_T0_DpT1_
		.amdhsa_group_segment_fixed_size 0
		.amdhsa_private_segment_fixed_size 0
		.amdhsa_kernarg_size 3408
		.amdhsa_user_sgpr_count 6
		.amdhsa_user_sgpr_private_segment_buffer 1
		.amdhsa_user_sgpr_dispatch_ptr 0
		.amdhsa_user_sgpr_queue_ptr 0
		.amdhsa_user_sgpr_kernarg_segment_ptr 1
		.amdhsa_user_sgpr_dispatch_id 0
		.amdhsa_user_sgpr_flat_scratch_init 0
		.amdhsa_user_sgpr_private_segment_size 0
		.amdhsa_uses_dynamic_stack 0
		.amdhsa_system_sgpr_private_segment_wavefront_offset 0
		.amdhsa_system_sgpr_workgroup_id_x 1
		.amdhsa_system_sgpr_workgroup_id_y 0
		.amdhsa_system_sgpr_workgroup_id_z 0
		.amdhsa_system_sgpr_workgroup_info 0
		.amdhsa_system_vgpr_workitem_id 0
		.amdhsa_next_free_vgpr 22
		.amdhsa_next_free_sgpr 24
		.amdhsa_reserve_vcc 1
		.amdhsa_reserve_flat_scratch 0
		.amdhsa_float_round_mode_32 0
		.amdhsa_float_round_mode_16_64 0
		.amdhsa_float_denorm_mode_32 3
		.amdhsa_float_denorm_mode_16_64 3
		.amdhsa_dx10_clamp 1
		.amdhsa_ieee_mode 1
		.amdhsa_fp16_overflow 0
		.amdhsa_exception_fp_ieee_invalid_op 0
		.amdhsa_exception_fp_denorm_src 0
		.amdhsa_exception_fp_ieee_div_zero 0
		.amdhsa_exception_fp_ieee_overflow 0
		.amdhsa_exception_fp_ieee_underflow 0
		.amdhsa_exception_fp_ieee_inexact 0
		.amdhsa_exception_int_div_zero 0
	.end_amdhsa_kernel
	.section	.text._ZN2at6native12_GLOBAL__N_125multi_tensor_apply_kernelINS1_18TensorListMetadataILi3EEENS1_32PointwiseOpScalar0dTensorFunctorIN3c104HalfELi3ELi2ELi0EEEJSt10multipliesIfEfEEEvT_T0_DpT1_,"axG",@progbits,_ZN2at6native12_GLOBAL__N_125multi_tensor_apply_kernelINS1_18TensorListMetadataILi3EEENS1_32PointwiseOpScalar0dTensorFunctorIN3c104HalfELi3ELi2ELi0EEEJSt10multipliesIfEfEEEvT_T0_DpT1_,comdat
.Lfunc_end42:
	.size	_ZN2at6native12_GLOBAL__N_125multi_tensor_apply_kernelINS1_18TensorListMetadataILi3EEENS1_32PointwiseOpScalar0dTensorFunctorIN3c104HalfELi3ELi2ELi0EEEJSt10multipliesIfEfEEEvT_T0_DpT1_, .Lfunc_end42-_ZN2at6native12_GLOBAL__N_125multi_tensor_apply_kernelINS1_18TensorListMetadataILi3EEENS1_32PointwiseOpScalar0dTensorFunctorIN3c104HalfELi3ELi2ELi0EEEJSt10multipliesIfEfEEEvT_T0_DpT1_
                                        ; -- End function
	.set _ZN2at6native12_GLOBAL__N_125multi_tensor_apply_kernelINS1_18TensorListMetadataILi3EEENS1_32PointwiseOpScalar0dTensorFunctorIN3c104HalfELi3ELi2ELi0EEEJSt10multipliesIfEfEEEvT_T0_DpT1_.num_vgpr, 22
	.set _ZN2at6native12_GLOBAL__N_125multi_tensor_apply_kernelINS1_18TensorListMetadataILi3EEENS1_32PointwiseOpScalar0dTensorFunctorIN3c104HalfELi3ELi2ELi0EEEJSt10multipliesIfEfEEEvT_T0_DpT1_.num_agpr, 0
	.set _ZN2at6native12_GLOBAL__N_125multi_tensor_apply_kernelINS1_18TensorListMetadataILi3EEENS1_32PointwiseOpScalar0dTensorFunctorIN3c104HalfELi3ELi2ELi0EEEJSt10multipliesIfEfEEEvT_T0_DpT1_.numbered_sgpr, 24
	.set _ZN2at6native12_GLOBAL__N_125multi_tensor_apply_kernelINS1_18TensorListMetadataILi3EEENS1_32PointwiseOpScalar0dTensorFunctorIN3c104HalfELi3ELi2ELi0EEEJSt10multipliesIfEfEEEvT_T0_DpT1_.num_named_barrier, 0
	.set _ZN2at6native12_GLOBAL__N_125multi_tensor_apply_kernelINS1_18TensorListMetadataILi3EEENS1_32PointwiseOpScalar0dTensorFunctorIN3c104HalfELi3ELi2ELi0EEEJSt10multipliesIfEfEEEvT_T0_DpT1_.private_seg_size, 0
	.set _ZN2at6native12_GLOBAL__N_125multi_tensor_apply_kernelINS1_18TensorListMetadataILi3EEENS1_32PointwiseOpScalar0dTensorFunctorIN3c104HalfELi3ELi2ELi0EEEJSt10multipliesIfEfEEEvT_T0_DpT1_.uses_vcc, 1
	.set _ZN2at6native12_GLOBAL__N_125multi_tensor_apply_kernelINS1_18TensorListMetadataILi3EEENS1_32PointwiseOpScalar0dTensorFunctorIN3c104HalfELi3ELi2ELi0EEEJSt10multipliesIfEfEEEvT_T0_DpT1_.uses_flat_scratch, 0
	.set _ZN2at6native12_GLOBAL__N_125multi_tensor_apply_kernelINS1_18TensorListMetadataILi3EEENS1_32PointwiseOpScalar0dTensorFunctorIN3c104HalfELi3ELi2ELi0EEEJSt10multipliesIfEfEEEvT_T0_DpT1_.has_dyn_sized_stack, 0
	.set _ZN2at6native12_GLOBAL__N_125multi_tensor_apply_kernelINS1_18TensorListMetadataILi3EEENS1_32PointwiseOpScalar0dTensorFunctorIN3c104HalfELi3ELi2ELi0EEEJSt10multipliesIfEfEEEvT_T0_DpT1_.has_recursion, 0
	.set _ZN2at6native12_GLOBAL__N_125multi_tensor_apply_kernelINS1_18TensorListMetadataILi3EEENS1_32PointwiseOpScalar0dTensorFunctorIN3c104HalfELi3ELi2ELi0EEEJSt10multipliesIfEfEEEvT_T0_DpT1_.has_indirect_call, 0
	.section	.AMDGPU.csdata,"",@progbits
; Kernel info:
; codeLenInByte = 1540
; TotalNumSgprs: 28
; NumVgprs: 22
; ScratchSize: 0
; MemoryBound: 0
; FloatMode: 240
; IeeeMode: 1
; LDSByteSize: 0 bytes/workgroup (compile time only)
; SGPRBlocks: 3
; VGPRBlocks: 5
; NumSGPRsForWavesPerEU: 28
; NumVGPRsForWavesPerEU: 22
; Occupancy: 10
; WaveLimiterHint : 0
; COMPUTE_PGM_RSRC2:SCRATCH_EN: 0
; COMPUTE_PGM_RSRC2:USER_SGPR: 6
; COMPUTE_PGM_RSRC2:TRAP_HANDLER: 0
; COMPUTE_PGM_RSRC2:TGID_X_EN: 1
; COMPUTE_PGM_RSRC2:TGID_Y_EN: 0
; COMPUTE_PGM_RSRC2:TGID_Z_EN: 0
; COMPUTE_PGM_RSRC2:TIDIG_COMP_CNT: 0
	.section	.text._ZN2at6native12_GLOBAL__N_125multi_tensor_apply_kernelINS1_18TensorListMetadataILi3EEENS1_32PointwiseOpScalar0dTensorFunctorIN3c108BFloat16ELi3ELi2ELi0EEEJSt10multipliesIfEfEEEvT_T0_DpT1_,"axG",@progbits,_ZN2at6native12_GLOBAL__N_125multi_tensor_apply_kernelINS1_18TensorListMetadataILi3EEENS1_32PointwiseOpScalar0dTensorFunctorIN3c108BFloat16ELi3ELi2ELi0EEEJSt10multipliesIfEfEEEvT_T0_DpT1_,comdat
	.globl	_ZN2at6native12_GLOBAL__N_125multi_tensor_apply_kernelINS1_18TensorListMetadataILi3EEENS1_32PointwiseOpScalar0dTensorFunctorIN3c108BFloat16ELi3ELi2ELi0EEEJSt10multipliesIfEfEEEvT_T0_DpT1_ ; -- Begin function _ZN2at6native12_GLOBAL__N_125multi_tensor_apply_kernelINS1_18TensorListMetadataILi3EEENS1_32PointwiseOpScalar0dTensorFunctorIN3c108BFloat16ELi3ELi2ELi0EEEJSt10multipliesIfEfEEEvT_T0_DpT1_
	.p2align	8
	.type	_ZN2at6native12_GLOBAL__N_125multi_tensor_apply_kernelINS1_18TensorListMetadataILi3EEENS1_32PointwiseOpScalar0dTensorFunctorIN3c108BFloat16ELi3ELi2ELi0EEEJSt10multipliesIfEfEEEvT_T0_DpT1_,@function
_ZN2at6native12_GLOBAL__N_125multi_tensor_apply_kernelINS1_18TensorListMetadataILi3EEENS1_32PointwiseOpScalar0dTensorFunctorIN3c108BFloat16ELi3ELi2ELi0EEEJSt10multipliesIfEfEEEvT_T0_DpT1_: ; @_ZN2at6native12_GLOBAL__N_125multi_tensor_apply_kernelINS1_18TensorListMetadataILi3EEENS1_32PointwiseOpScalar0dTensorFunctorIN3c108BFloat16ELi3ELi2ELi0EEEJSt10multipliesIfEfEEEvT_T0_DpT1_
; %bb.0:
	v_mov_b32_e32 v1, s6
	global_load_ubyte v1, v1, s[4:5] offset:1536
	s_add_u32 s0, s4, s6
	s_mul_hi_u32 s1, s6, 3
	s_mul_i32 s6, s6, 3
	s_addc_u32 s2, s5, 0
	s_add_u32 s0, s0, s6
	s_addc_u32 s1, s2, s1
	s_load_dword s2, s[0:1], 0x740
	v_mov_b32_e32 v2, 0
	s_mov_b32 s17, 0
	s_waitcnt lgkmcnt(0)
	s_ashr_i32 s3, s2, 31
	s_waitcnt vmcnt(0)
	v_readfirstlane_b32 s0, v1
	s_lshl_b32 s0, s0, 3
	s_load_dwordx2 s[6:7], s[4:5], s0 offset:0x180
	s_load_dwordx2 s[10:11], s[4:5], s0 offset:0x300
	s_waitcnt lgkmcnt(0)
	global_load_ushort v1, v2, s[6:7]
	s_load_dword s20, s[4:5], 0xc4c
	s_load_dwordx2 s[12:13], s[4:5], s0 offset:0x0
	s_load_dwordx2 s[14:15], s[4:5], s0 offset:0x480
	s_lshl_b64 s[0:1], s[2:3], 17
	s_mov_b32 s7, s17
	s_waitcnt lgkmcnt(0)
	s_add_u32 s21, s12, s0
	s_addc_u32 s22, s13, s1
	s_and_b32 s16, s21, 7
	s_add_u32 s6, s6, s0
	s_add_u32 s23, s10, s0
	s_addc_u32 s24, s11, s1
	s_or_b32 s6, s23, s6
	s_and_b32 s6, s6, 7
	s_cmp_lg_u32 s6, 0
	s_cselect_b64 s[18:19], -1, 0
	s_lshl_b64 s[2:3], s[2:3], 16
	s_sub_u32 s8, s14, s2
	s_subb_u32 s9, s15, s3
	s_and_b32 s6, s14, 3
	s_or_b64 s[2:3], s[16:17], s[6:7]
	s_cmp_lg_u64 s[2:3], 0
	s_cselect_b64 s[2:3], -1, 0
	s_or_b64 s[2:3], s[18:19], s[2:3]
	s_andn2_b64 vcc, exec, s[2:3]
	s_mov_b64 s[2:3], -1
	s_waitcnt vmcnt(0)
	v_lshlrev_b32_e32 v13, 16, v1
	s_cbranch_vccz .LBB43_5
; %bb.1:
	v_mov_b32_e32 v3, 0x10000
	v_mov_b32_e32 v4, 0
	v_cmp_lt_i64_e32 vcc, s[8:9], v[3:4]
	v_lshlrev_b32_e32 v1, 2, v0
	s_and_b64 s[2:3], vcc, exec
	s_cselect_b32 s15, s9, 0
	s_cselect_b32 s14, s8, 0x10000
	v_cmp_gt_i64_e32 vcc, s[14:15], v[1:2]
	s_and_saveexec_b64 s[16:17], vcc
	s_cbranch_execz .LBB43_4
; %bb.2:
	s_load_dword s2, s[4:5], 0xc5c
	v_mov_b32_e32 v1, v2
	v_lshlrev_b32_e32 v2, 3, v0
	v_mov_b32_e32 v4, s1
	v_add_co_u32_e64 v3, s[0:1], s0, v2
	s_waitcnt lgkmcnt(0)
	s_and_b32 s25, s2, 0xffff
	v_mov_b32_e32 v2, v1
	v_cmp_eq_f32_e64 vcc, s20, 1.0
	v_addc_co_u32_e64 v4, s[0:1], 0, v4, s[0:1]
	s_lshl_b32 s26, s25, 3
	s_mov_b64 s[18:19], 0
	v_mov_b32_e32 v5, s13
	v_mov_b32_e32 v6, s11
	s_movk_i32 s11, 0x7fff
	v_mov_b32_e32 v7, 0x7fc0
	v_mov_b32_e32 v8, 0x7fc00000
	;; [unrolled: 1-line block ×3, first 2 shown]
.LBB43_3:                               ; =>This Inner Loop Header: Depth=1
	v_add_co_u32_e64 v9, s[0:1], s12, v3
	v_addc_co_u32_e64 v10, s[0:1], v5, v4, s[0:1]
	v_add_co_u32_e64 v11, s[0:1], s10, v3
	v_addc_co_u32_e64 v12, s[0:1], v6, v4, s[0:1]
	global_load_dwordx2 v[14:15], v[11:12], off
	global_load_dwordx2 v[16:17], v[9:10], off
	v_add_co_u32_e64 v1, s[0:1], s25, v1
	v_addc_co_u32_e64 v2, s[0:1], 0, v2, s[0:1]
	v_add_co_u32_e64 v3, s[0:1], s26, v3
	v_lshlrev_b64 v[11:12], 2, v[1:2]
	v_addc_co_u32_e64 v4, s[0:1], 0, v4, s[0:1]
	v_cmp_le_i64_e64 s[0:1], s[14:15], v[11:12]
	s_or_b64 s[18:19], s[0:1], s[18:19]
	s_waitcnt vmcnt(1)
	v_lshlrev_b32_e32 v12, 16, v14
	s_waitcnt vmcnt(0)
	v_lshlrev_b32_e32 v11, 16, v16
	v_and_b32_e32 v18, 0xffff0000, v16
	v_and_b32_e32 v19, 0xffff0000, v14
	v_fma_f32 v20, v13, v12, v11
	v_mul_f32_e32 v12, v13, v12
	v_alignbit_b32 v16, v17, v16, 16
	v_and_b32_e32 v17, 0xffff0000, v17
	v_alignbit_b32 v14, v15, v14, 16
	v_and_b32_e32 v15, 0xffff0000, v15
	v_fmac_f32_e32 v11, s20, v12
	v_fma_f32 v12, v13, v19, v18
	v_mul_f32_e32 v19, v13, v19
	v_and_b32_e32 v16, 0xffff0000, v16
	v_and_b32_e32 v14, 0xffff0000, v14
	v_fmac_f32_e32 v18, s20, v19
	v_fma_f32 v19, v13, v15, v17
	v_mul_f32_e32 v15, v13, v15
	v_fmac_f32_e32 v17, s20, v15
	v_fma_f32 v15, v13, v14, v16
	v_mul_f32_e32 v14, v13, v14
	v_cndmask_b32_e32 v11, v11, v20, vcc
	v_cndmask_b32_e32 v12, v18, v12, vcc
	v_fmac_f32_e32 v16, s20, v14
	v_cndmask_b32_e32 v14, v17, v19, vcc
	v_bfe_u32 v17, v11, 16, 1
	v_bfe_u32 v18, v12, 16, 1
	v_cndmask_b32_e32 v15, v16, v15, vcc
	v_bfe_u32 v16, v14, 16, 1
	v_add3_u32 v17, v11, v17, s11
	v_add3_u32 v18, v12, v18, s11
	v_bfe_u32 v19, v15, 16, 1
	v_add3_u32 v16, v14, v16, s11
	v_lshrrev_b32_e32 v17, 16, v17
	v_and_b32_e32 v18, 0xffff0000, v18
	v_cmp_o_f32_e64 s[0:1], v12, v12
	v_add3_u32 v12, v15, v19, s11
	v_cmp_o_f32_e64 s[6:7], v11, v11
	v_and_b32_e32 v16, 0xffff0000, v16
	v_cmp_o_f32_e64 s[2:3], v14, v14
	v_cndmask_b32_e64 v11, v7, v17, s[6:7]
	v_cndmask_b32_e64 v14, v8, v18, s[0:1]
	v_lshrrev_b32_e32 v12, 16, v12
	v_cmp_o_f32_e64 s[0:1], v15, v15
	v_cndmask_b32_e64 v15, v8, v16, s[2:3]
	v_or_b32_e32 v11, v11, v14
	v_cndmask_b32_e64 v12, v7, v12, s[0:1]
	v_or3_b32 v12, 0, v12, v15
	v_or3_b32 v11, v11, 0, 0
	global_store_dwordx2 v[9:10], v[11:12], off
	s_andn2_b64 exec, exec, s[18:19]
	s_cbranch_execnz .LBB43_3
.LBB43_4:
	s_or_b64 exec, exec, s[16:17]
	s_mov_b64 s[2:3], 0
.LBB43_5:
	s_andn2_b64 vcc, exec, s[2:3]
	s_cbranch_vccnz .LBB43_25
; %bb.6:
	v_cmp_lt_i64_e64 s[0:1], s[8:9], 1
	s_and_b64 vcc, exec, s[0:1]
	s_cbranch_vccnz .LBB43_25
; %bb.7:
	v_mov_b32_e32 v1, 0x10000
	s_load_dword s4, s[4:5], 0xc5c
	v_mov_b32_e32 v2, 0
	v_cmp_lt_i64_e32 vcc, s[8:9], v[1:2]
	s_mov_b32 s10, 0
	s_and_b64 s[0:1], vcc, exec
	v_cmp_lt_u64_e32 vcc, s[8:9], v[1:2]
	s_cselect_b32 s3, s9, 0
	s_cselect_b32 s2, s8, 0x10000
	s_waitcnt lgkmcnt(0)
	s_and_b32 s11, s4, 0xffff
	s_and_b64 s[4:5], vcc, exec
	v_cmp_eq_f32_e64 s[0:1], s20, 1.0
	s_cselect_b32 s5, s9, 0
	s_cselect_b32 s4, s8, 0x10000
	s_lshl_b32 s12, s11, 1
	s_mul_i32 s13, s11, 3
	s_lshl_b32 s14, s11, 2
	s_mov_b64 s[6:7], 0
	s_movk_i32 s15, 0x7fff
	v_mov_b32_e32 v14, 0x7fc0
	s_branch .LBB43_9
.LBB43_8:                               ;   in Loop: Header=BB43_9 Depth=1
	s_or_b64 exec, exec, s[8:9]
	s_add_u32 s6, s6, s14
	v_mov_b32_e32 v1, s2
	s_addc_u32 s7, s7, 0
	v_mov_b32_e32 v2, s3
	v_cmp_ge_i64_e32 vcc, s[6:7], v[1:2]
	s_cbranch_vccnz .LBB43_25
.LBB43_9:                               ; =>This Inner Loop Header: Depth=1
	v_mov_b32_e32 v1, s7
	v_add_co_u32_e32 v5, vcc, s6, v0
	v_addc_co_u32_e32 v6, vcc, 0, v1, vcc
	v_cmp_gt_i64_e32 vcc, s[2:3], v[5:6]
	v_mov_b32_e32 v1, 0
	v_mov_b32_e32 v3, 0
	;; [unrolled: 1-line block ×4, first 2 shown]
	s_and_saveexec_b64 s[8:9], vcc
	s_cbranch_execz .LBB43_11
; %bb.10:                               ;   in Loop: Header=BB43_9 Depth=1
	v_lshlrev_b64 v[1:2], 1, v[5:6]
	v_mov_b32_e32 v4, s22
	v_add_co_u32_e32 v3, vcc, s21, v1
	v_addc_co_u32_e32 v4, vcc, v4, v2, vcc
	v_mov_b32_e32 v7, s24
	v_add_co_u32_e32 v1, vcc, s23, v1
	v_addc_co_u32_e32 v2, vcc, v7, v2, vcc
	global_load_ushort v7, v[3:4], off
	global_load_ushort v8, v[1:2], off
	v_mov_b32_e32 v4, s10
	v_mov_b32_e32 v2, s10
	s_waitcnt vmcnt(1)
	v_and_b32_e32 v3, 0xffff, v7
	s_waitcnt vmcnt(0)
	v_and_b32_e32 v1, 0xffff, v8
.LBB43_11:                              ;   in Loop: Header=BB43_9 Depth=1
	s_or_b64 exec, exec, s[8:9]
	v_add_co_u32_e32 v7, vcc, s11, v5
	v_addc_co_u32_e32 v8, vcc, 0, v6, vcc
	v_cmp_gt_i64_e32 vcc, s[2:3], v[7:8]
	s_and_saveexec_b64 s[8:9], vcc
	s_cbranch_execz .LBB43_13
; %bb.12:                               ;   in Loop: Header=BB43_9 Depth=1
	v_lshlrev_b64 v[9:10], 1, v[7:8]
	v_mov_b32_e32 v12, s24
	v_add_co_u32_e32 v11, vcc, s23, v9
	v_addc_co_u32_e32 v12, vcc, v12, v10, vcc
	v_mov_b32_e32 v15, s22
	v_add_co_u32_e32 v9, vcc, s21, v9
	v_addc_co_u32_e32 v10, vcc, v15, v10, vcc
	global_load_ushort v15, v[9:10], off
	global_load_ushort v16, v[11:12], off
	s_waitcnt vmcnt(1)
	v_lshl_or_b32 v3, v15, 16, v3
	s_waitcnt vmcnt(0)
	v_lshl_or_b32 v1, v16, 16, v1
.LBB43_13:                              ;   in Loop: Header=BB43_9 Depth=1
	s_or_b64 exec, exec, s[8:9]
	v_add_co_u32_e32 v9, vcc, s12, v5
	v_addc_co_u32_e32 v10, vcc, 0, v6, vcc
	v_cmp_gt_i64_e32 vcc, s[2:3], v[9:10]
	s_and_saveexec_b64 s[8:9], vcc
	s_cbranch_execz .LBB43_15
; %bb.14:                               ;   in Loop: Header=BB43_9 Depth=1
	v_lshlrev_b64 v[11:12], 1, v[9:10]
	v_mov_b32_e32 v16, s24
	v_add_co_u32_e32 v15, vcc, s23, v11
	v_addc_co_u32_e32 v16, vcc, v16, v12, vcc
	v_mov_b32_e32 v17, s22
	v_add_co_u32_e32 v11, vcc, s21, v11
	v_addc_co_u32_e32 v12, vcc, v17, v12, vcc
	global_load_ushort v17, v[11:12], off
	global_load_ushort v18, v[15:16], off
	s_waitcnt vmcnt(1)
	v_or_b32_e32 v4, v17, v4
	s_waitcnt vmcnt(0)
	v_or_b32_e32 v2, v18, v2
.LBB43_15:                              ;   in Loop: Header=BB43_9 Depth=1
	s_or_b64 exec, exec, s[8:9]
	v_add_co_u32_e32 v11, vcc, s13, v5
	v_addc_co_u32_e32 v12, vcc, 0, v6, vcc
	v_cmp_gt_i64_e32 vcc, s[2:3], v[11:12]
	s_and_saveexec_b64 s[8:9], vcc
	s_cbranch_execnz .LBB43_20
; %bb.16:                               ;   in Loop: Header=BB43_9 Depth=1
	s_or_b64 exec, exec, s[8:9]
	v_cmp_gt_u64_e32 vcc, s[4:5], v[5:6]
	s_and_saveexec_b64 s[8:9], vcc
	s_cbranch_execnz .LBB43_21
.LBB43_17:                              ;   in Loop: Header=BB43_9 Depth=1
	s_or_b64 exec, exec, s[8:9]
	v_cmp_gt_u64_e32 vcc, s[4:5], v[7:8]
	s_and_saveexec_b64 s[8:9], vcc
	s_cbranch_execnz .LBB43_22
.LBB43_18:                              ;   in Loop: Header=BB43_9 Depth=1
	s_or_b64 exec, exec, s[8:9]
	v_cmp_gt_u64_e32 vcc, s[4:5], v[9:10]
	s_and_saveexec_b64 s[8:9], vcc
	s_cbranch_execnz .LBB43_23
.LBB43_19:                              ;   in Loop: Header=BB43_9 Depth=1
	s_or_b64 exec, exec, s[8:9]
	v_cmp_gt_u64_e32 vcc, s[4:5], v[11:12]
	s_and_saveexec_b64 s[8:9], vcc
	s_cbranch_execz .LBB43_8
	s_branch .LBB43_24
.LBB43_20:                              ;   in Loop: Header=BB43_9 Depth=1
	v_lshlrev_b64 v[15:16], 1, v[11:12]
	v_mov_b32_e32 v18, s24
	v_add_co_u32_e32 v17, vcc, s23, v15
	v_addc_co_u32_e32 v18, vcc, v18, v16, vcc
	v_mov_b32_e32 v19, s22
	v_add_co_u32_e32 v15, vcc, s21, v15
	v_addc_co_u32_e32 v16, vcc, v19, v16, vcc
	global_load_ushort v19, v[15:16], off
	global_load_ushort v20, v[17:18], off
	s_waitcnt vmcnt(1)
	v_lshlrev_b32_e32 v15, 16, v19
	s_waitcnt vmcnt(0)
	v_lshlrev_b32_e32 v16, 16, v20
	v_or_b32_e32 v4, v15, v4
	v_or_b32_e32 v2, v16, v2
	s_or_b64 exec, exec, s[8:9]
	v_cmp_gt_u64_e32 vcc, s[4:5], v[5:6]
	s_and_saveexec_b64 s[8:9], vcc
	s_cbranch_execz .LBB43_17
.LBB43_21:                              ;   in Loop: Header=BB43_9 Depth=1
	v_lshlrev_b32_e32 v15, 16, v1
	v_lshlrev_b32_e32 v16, 16, v3
	v_fma_f32 v17, v13, v15, v16
	v_mul_f32_e32 v15, v13, v15
	v_lshlrev_b64 v[5:6], 1, v[5:6]
	v_fmac_f32_e32 v16, s20, v15
	v_cndmask_b32_e64 v15, v16, v17, s[0:1]
	v_mov_b32_e32 v17, s22
	v_add_co_u32_e32 v5, vcc, s21, v5
	v_bfe_u32 v16, v15, 16, 1
	v_addc_co_u32_e32 v6, vcc, v17, v6, vcc
	v_add3_u32 v16, v15, v16, s15
	v_cmp_o_f32_e32 vcc, v15, v15
	v_cndmask_b32_sdwa v15, v14, v16, vcc dst_sel:DWORD dst_unused:UNUSED_PAD src0_sel:DWORD src1_sel:WORD_1
	global_store_short v[5:6], v15, off
	s_or_b64 exec, exec, s[8:9]
	v_cmp_gt_u64_e32 vcc, s[4:5], v[7:8]
	s_and_saveexec_b64 s[8:9], vcc
	s_cbranch_execz .LBB43_18
.LBB43_22:                              ;   in Loop: Header=BB43_9 Depth=1
	v_and_b32_e32 v5, 0xffff0000, v3
	v_and_b32_e32 v6, 0xffff0000, v1
	v_fma_f32 v15, v13, v6, v5
	v_mul_f32_e32 v6, v13, v6
	v_fmac_f32_e32 v5, s20, v6
	v_cndmask_b32_e64 v5, v5, v15, s[0:1]
	v_bfe_u32 v6, v5, 16, 1
	v_add3_u32 v6, v5, v6, s15
	v_cmp_o_f32_e32 vcc, v5, v5
	v_cndmask_b32_sdwa v15, v14, v6, vcc dst_sel:DWORD dst_unused:UNUSED_PAD src0_sel:DWORD src1_sel:WORD_1
	v_lshlrev_b64 v[5:6], 1, v[7:8]
	v_mov_b32_e32 v7, s22
	v_add_co_u32_e32 v5, vcc, s21, v5
	v_addc_co_u32_e32 v6, vcc, v7, v6, vcc
	global_store_short v[5:6], v15, off
	s_or_b64 exec, exec, s[8:9]
	v_cmp_gt_u64_e32 vcc, s[4:5], v[9:10]
	s_and_saveexec_b64 s[8:9], vcc
	s_cbranch_execz .LBB43_19
.LBB43_23:                              ;   in Loop: Header=BB43_9 Depth=1
	v_alignbit_b32 v3, v4, v3, 16
	v_alignbit_b32 v1, v2, v1, 16
	v_and_b32_e32 v3, 0xffff0000, v3
	v_and_b32_e32 v1, 0xffff0000, v1
	v_fma_f32 v5, v13, v1, v3
	v_mul_f32_e32 v1, v13, v1
	v_fmac_f32_e32 v3, s20, v1
	v_cndmask_b32_e64 v1, v3, v5, s[0:1]
	v_bfe_u32 v3, v1, 16, 1
	v_lshlrev_b64 v[5:6], 1, v[9:10]
	v_add3_u32 v3, v1, v3, s15
	v_cmp_o_f32_e32 vcc, v1, v1
	v_cndmask_b32_sdwa v1, v14, v3, vcc dst_sel:DWORD dst_unused:UNUSED_PAD src0_sel:DWORD src1_sel:WORD_1
	v_mov_b32_e32 v3, s22
	v_add_co_u32_e32 v5, vcc, s21, v5
	v_addc_co_u32_e32 v6, vcc, v3, v6, vcc
	global_store_short v[5:6], v1, off
	s_or_b64 exec, exec, s[8:9]
	v_cmp_gt_u64_e32 vcc, s[4:5], v[11:12]
	s_and_saveexec_b64 s[8:9], vcc
	s_cbranch_execz .LBB43_8
.LBB43_24:                              ;   in Loop: Header=BB43_9 Depth=1
	v_and_b32_e32 v1, 0xffff0000, v4
	v_and_b32_e32 v2, 0xffff0000, v2
	v_fma_f32 v3, v13, v2, v1
	v_mul_f32_e32 v2, v13, v2
	v_fmac_f32_e32 v1, s20, v2
	v_cndmask_b32_e64 v1, v1, v3, s[0:1]
	v_bfe_u32 v2, v1, 16, 1
	v_add3_u32 v2, v1, v2, s15
	v_cmp_o_f32_e32 vcc, v1, v1
	v_cndmask_b32_sdwa v3, v14, v2, vcc dst_sel:DWORD dst_unused:UNUSED_PAD src0_sel:DWORD src1_sel:WORD_1
	v_lshlrev_b64 v[1:2], 1, v[11:12]
	v_mov_b32_e32 v4, s22
	v_add_co_u32_e32 v1, vcc, s21, v1
	v_addc_co_u32_e32 v2, vcc, v4, v2, vcc
	global_store_short v[1:2], v3, off
	s_branch .LBB43_8
.LBB43_25:
	s_endpgm
	.section	.rodata,"a",@progbits
	.p2align	6, 0x0
	.amdhsa_kernel _ZN2at6native12_GLOBAL__N_125multi_tensor_apply_kernelINS1_18TensorListMetadataILi3EEENS1_32PointwiseOpScalar0dTensorFunctorIN3c108BFloat16ELi3ELi2ELi0EEEJSt10multipliesIfEfEEEvT_T0_DpT1_
		.amdhsa_group_segment_fixed_size 0
		.amdhsa_private_segment_fixed_size 0
		.amdhsa_kernarg_size 3408
		.amdhsa_user_sgpr_count 6
		.amdhsa_user_sgpr_private_segment_buffer 1
		.amdhsa_user_sgpr_dispatch_ptr 0
		.amdhsa_user_sgpr_queue_ptr 0
		.amdhsa_user_sgpr_kernarg_segment_ptr 1
		.amdhsa_user_sgpr_dispatch_id 0
		.amdhsa_user_sgpr_flat_scratch_init 0
		.amdhsa_user_sgpr_private_segment_size 0
		.amdhsa_uses_dynamic_stack 0
		.amdhsa_system_sgpr_private_segment_wavefront_offset 0
		.amdhsa_system_sgpr_workgroup_id_x 1
		.amdhsa_system_sgpr_workgroup_id_y 0
		.amdhsa_system_sgpr_workgroup_id_z 0
		.amdhsa_system_sgpr_workgroup_info 0
		.amdhsa_system_vgpr_workitem_id 0
		.amdhsa_next_free_vgpr 21
		.amdhsa_next_free_sgpr 27
		.amdhsa_reserve_vcc 1
		.amdhsa_reserve_flat_scratch 0
		.amdhsa_float_round_mode_32 0
		.amdhsa_float_round_mode_16_64 0
		.amdhsa_float_denorm_mode_32 3
		.amdhsa_float_denorm_mode_16_64 3
		.amdhsa_dx10_clamp 1
		.amdhsa_ieee_mode 1
		.amdhsa_fp16_overflow 0
		.amdhsa_exception_fp_ieee_invalid_op 0
		.amdhsa_exception_fp_denorm_src 0
		.amdhsa_exception_fp_ieee_div_zero 0
		.amdhsa_exception_fp_ieee_overflow 0
		.amdhsa_exception_fp_ieee_underflow 0
		.amdhsa_exception_fp_ieee_inexact 0
		.amdhsa_exception_int_div_zero 0
	.end_amdhsa_kernel
	.section	.text._ZN2at6native12_GLOBAL__N_125multi_tensor_apply_kernelINS1_18TensorListMetadataILi3EEENS1_32PointwiseOpScalar0dTensorFunctorIN3c108BFloat16ELi3ELi2ELi0EEEJSt10multipliesIfEfEEEvT_T0_DpT1_,"axG",@progbits,_ZN2at6native12_GLOBAL__N_125multi_tensor_apply_kernelINS1_18TensorListMetadataILi3EEENS1_32PointwiseOpScalar0dTensorFunctorIN3c108BFloat16ELi3ELi2ELi0EEEJSt10multipliesIfEfEEEvT_T0_DpT1_,comdat
.Lfunc_end43:
	.size	_ZN2at6native12_GLOBAL__N_125multi_tensor_apply_kernelINS1_18TensorListMetadataILi3EEENS1_32PointwiseOpScalar0dTensorFunctorIN3c108BFloat16ELi3ELi2ELi0EEEJSt10multipliesIfEfEEEvT_T0_DpT1_, .Lfunc_end43-_ZN2at6native12_GLOBAL__N_125multi_tensor_apply_kernelINS1_18TensorListMetadataILi3EEENS1_32PointwiseOpScalar0dTensorFunctorIN3c108BFloat16ELi3ELi2ELi0EEEJSt10multipliesIfEfEEEvT_T0_DpT1_
                                        ; -- End function
	.set _ZN2at6native12_GLOBAL__N_125multi_tensor_apply_kernelINS1_18TensorListMetadataILi3EEENS1_32PointwiseOpScalar0dTensorFunctorIN3c108BFloat16ELi3ELi2ELi0EEEJSt10multipliesIfEfEEEvT_T0_DpT1_.num_vgpr, 21
	.set _ZN2at6native12_GLOBAL__N_125multi_tensor_apply_kernelINS1_18TensorListMetadataILi3EEENS1_32PointwiseOpScalar0dTensorFunctorIN3c108BFloat16ELi3ELi2ELi0EEEJSt10multipliesIfEfEEEvT_T0_DpT1_.num_agpr, 0
	.set _ZN2at6native12_GLOBAL__N_125multi_tensor_apply_kernelINS1_18TensorListMetadataILi3EEENS1_32PointwiseOpScalar0dTensorFunctorIN3c108BFloat16ELi3ELi2ELi0EEEJSt10multipliesIfEfEEEvT_T0_DpT1_.numbered_sgpr, 27
	.set _ZN2at6native12_GLOBAL__N_125multi_tensor_apply_kernelINS1_18TensorListMetadataILi3EEENS1_32PointwiseOpScalar0dTensorFunctorIN3c108BFloat16ELi3ELi2ELi0EEEJSt10multipliesIfEfEEEvT_T0_DpT1_.num_named_barrier, 0
	.set _ZN2at6native12_GLOBAL__N_125multi_tensor_apply_kernelINS1_18TensorListMetadataILi3EEENS1_32PointwiseOpScalar0dTensorFunctorIN3c108BFloat16ELi3ELi2ELi0EEEJSt10multipliesIfEfEEEvT_T0_DpT1_.private_seg_size, 0
	.set _ZN2at6native12_GLOBAL__N_125multi_tensor_apply_kernelINS1_18TensorListMetadataILi3EEENS1_32PointwiseOpScalar0dTensorFunctorIN3c108BFloat16ELi3ELi2ELi0EEEJSt10multipliesIfEfEEEvT_T0_DpT1_.uses_vcc, 1
	.set _ZN2at6native12_GLOBAL__N_125multi_tensor_apply_kernelINS1_18TensorListMetadataILi3EEENS1_32PointwiseOpScalar0dTensorFunctorIN3c108BFloat16ELi3ELi2ELi0EEEJSt10multipliesIfEfEEEvT_T0_DpT1_.uses_flat_scratch, 0
	.set _ZN2at6native12_GLOBAL__N_125multi_tensor_apply_kernelINS1_18TensorListMetadataILi3EEENS1_32PointwiseOpScalar0dTensorFunctorIN3c108BFloat16ELi3ELi2ELi0EEEJSt10multipliesIfEfEEEvT_T0_DpT1_.has_dyn_sized_stack, 0
	.set _ZN2at6native12_GLOBAL__N_125multi_tensor_apply_kernelINS1_18TensorListMetadataILi3EEENS1_32PointwiseOpScalar0dTensorFunctorIN3c108BFloat16ELi3ELi2ELi0EEEJSt10multipliesIfEfEEEvT_T0_DpT1_.has_recursion, 0
	.set _ZN2at6native12_GLOBAL__N_125multi_tensor_apply_kernelINS1_18TensorListMetadataILi3EEENS1_32PointwiseOpScalar0dTensorFunctorIN3c108BFloat16ELi3ELi2ELi0EEEJSt10multipliesIfEfEEEvT_T0_DpT1_.has_indirect_call, 0
	.section	.AMDGPU.csdata,"",@progbits
; Kernel info:
; codeLenInByte = 1932
; TotalNumSgprs: 31
; NumVgprs: 21
; ScratchSize: 0
; MemoryBound: 0
; FloatMode: 240
; IeeeMode: 1
; LDSByteSize: 0 bytes/workgroup (compile time only)
; SGPRBlocks: 3
; VGPRBlocks: 5
; NumSGPRsForWavesPerEU: 31
; NumVGPRsForWavesPerEU: 21
; Occupancy: 10
; WaveLimiterHint : 0
; COMPUTE_PGM_RSRC2:SCRATCH_EN: 0
; COMPUTE_PGM_RSRC2:USER_SGPR: 6
; COMPUTE_PGM_RSRC2:TRAP_HANDLER: 0
; COMPUTE_PGM_RSRC2:TGID_X_EN: 1
; COMPUTE_PGM_RSRC2:TGID_Y_EN: 0
; COMPUTE_PGM_RSRC2:TGID_Z_EN: 0
; COMPUTE_PGM_RSRC2:TIDIG_COMP_CNT: 0
	.section	.text._ZN2at6native12_GLOBAL__N_125multi_tensor_apply_kernelINS1_18TensorListMetadataILi4EEENS1_24PointwiseOpScalarFunctorIhLi4ELi3ELi3EEEJSt7dividesIhEhEEEvT_T0_DpT1_,"axG",@progbits,_ZN2at6native12_GLOBAL__N_125multi_tensor_apply_kernelINS1_18TensorListMetadataILi4EEENS1_24PointwiseOpScalarFunctorIhLi4ELi3ELi3EEEJSt7dividesIhEhEEEvT_T0_DpT1_,comdat
	.globl	_ZN2at6native12_GLOBAL__N_125multi_tensor_apply_kernelINS1_18TensorListMetadataILi4EEENS1_24PointwiseOpScalarFunctorIhLi4ELi3ELi3EEEJSt7dividesIhEhEEEvT_T0_DpT1_ ; -- Begin function _ZN2at6native12_GLOBAL__N_125multi_tensor_apply_kernelINS1_18TensorListMetadataILi4EEENS1_24PointwiseOpScalarFunctorIhLi4ELi3ELi3EEEJSt7dividesIhEhEEEvT_T0_DpT1_
	.p2align	8
	.type	_ZN2at6native12_GLOBAL__N_125multi_tensor_apply_kernelINS1_18TensorListMetadataILi4EEENS1_24PointwiseOpScalarFunctorIhLi4ELi3ELi3EEEJSt7dividesIhEhEEEvT_T0_DpT1_,@function
_ZN2at6native12_GLOBAL__N_125multi_tensor_apply_kernelINS1_18TensorListMetadataILi4EEENS1_24PointwiseOpScalarFunctorIhLi4ELi3ELi3EEEJSt7dividesIhEhEEEvT_T0_DpT1_: ; @_ZN2at6native12_GLOBAL__N_125multi_tensor_apply_kernelINS1_18TensorListMetadataILi4EEENS1_24PointwiseOpScalarFunctorIhLi4ELi3ELi3EEEJSt7dividesIhEhEEEvT_T0_DpT1_
; %bb.0:
	v_mov_b32_e32 v1, s6
	global_load_ubyte v1, v1, s[4:5] offset:1440
	s_add_u32 s0, s4, s6
	s_mul_hi_u32 s1, s6, 3
	s_mul_i32 s6, s6, 3
	s_addc_u32 s2, s5, 0
	s_add_u32 s0, s0, s6
	s_addc_u32 s1, s2, s1
	s_load_dword s0, s[0:1], 0x6e0
	s_mov_b32 s3, 0
	s_waitcnt lgkmcnt(0)
	s_ashr_i32 s1, s0, 31
	s_lshl_b64 s[16:17], s[0:1], 16
	s_waitcnt vmcnt(0)
	v_readfirstlane_b32 s0, v1
	s_lshl_b32 s2, s0, 3
	s_load_dwordx2 s[8:9], s[4:5], s2 offset:0x0
	s_load_dword s26, s[4:5], 0xbe8
	s_load_dwordx2 s[0:1], s[4:5], s2 offset:0x480
	s_load_dwordx2 s[10:11], s[4:5], s2 offset:0x120
	;; [unrolled: 1-line block ×4, first 2 shown]
	s_waitcnt lgkmcnt(0)
	s_add_u32 s6, s8, s16
	s_addc_u32 s7, s9, s17
	s_add_u32 s2, s10, s16
	s_and_b32 s2, s2, 3
	s_cmp_eq_u64 s[2:3], 0
	s_cselect_b64 s[18:19], -1, 0
	s_add_u32 s2, s12, s16
	s_or_b32 s2, s14, s2
	s_and_b32 s2, s2, 3
	s_cmp_eq_u32 s2, 0
	s_cselect_b64 s[20:21], -1, 0
	s_and_b64 s[20:21], s[20:21], s[18:19]
	s_sub_u32 s18, s0, s16
	s_subb_u32 s19, s1, s17
	s_or_b64 s[0:1], s[0:1], s[6:7]
	s_and_b32 s2, s0, 3
	s_cmp_eq_u64 s[2:3], 0
	s_cselect_b64 s[0:1], -1, 0
	s_and_b64 s[2:3], s[20:21], s[0:1]
	s_mov_b64 s[0:1], -1
	s_and_b64 vcc, exec, s[2:3]
	s_cbranch_vccnz .LBB44_19
; %bb.1:
	v_cmp_lt_i64_e64 s[0:1], s[18:19], 1
	s_and_b64 vcc, exec, s[0:1]
	s_cbranch_vccnz .LBB44_18
; %bb.2:
	v_mov_b32_e32 v1, 0x10000
	s_load_dword s2, s[4:5], 0xbfc
	v_mov_b32_e32 v2, 0
	v_cmp_lt_i64_e32 vcc, s[18:19], v[1:2]
	v_mov_b32_e32 v4, s15
	s_and_b64 s[0:1], vcc, exec
	v_cmp_lt_u64_e32 vcc, s[18:19], v[1:2]
	s_cselect_b32 s21, s19, 0
	s_cselect_b32 s20, s18, 0x10000
	s_waitcnt lgkmcnt(0)
	s_and_b32 s2, s2, 0xffff
	s_and_b64 s[0:1], vcc, exec
	s_cselect_b32 s23, s19, 0
	s_cselect_b32 s22, s18, 0x10000
	s_lshl_b32 s3, s2, 1
	s_mul_i32 s0, s2, 3
	s_lshl_b32 s27, s2, 2
	s_add_u32 s1, s16, s0
	s_addc_u32 s6, s17, 0
	v_mov_b32_e32 v1, s6
	v_add_co_u32_e32 v9, vcc, s1, v0
	v_addc_co_u32_e32 v10, vcc, 0, v1, vcc
	v_mov_b32_e32 v2, s15
	v_add_co_u32_e32 v1, vcc, s14, v9
	s_add_u32 s1, s16, s3
	v_addc_co_u32_e32 v2, vcc, v2, v10, vcc
	s_addc_u32 s6, s17, 0
	v_mov_b32_e32 v3, s6
	v_add_co_u32_e32 v15, vcc, s1, v0
	v_addc_co_u32_e32 v16, vcc, 0, v3, vcc
	v_add_co_u32_e32 v3, vcc, s14, v15
	v_addc_co_u32_e32 v4, vcc, v4, v16, vcc
	v_mov_b32_e32 v6, s9
	v_add_co_u32_e32 v5, vcc, s8, v9
	v_addc_co_u32_e32 v6, vcc, v6, v10, vcc
	v_mov_b32_e32 v8, s11
	;; [unrolled: 3-line block ×11, first 2 shown]
	v_add_co_u32_e32 v23, vcc, s14, v25
	v_addc_co_u32_e32 v24, vcc, v24, v26, vcc
	v_add_co_u32_e32 v31, vcc, s2, v25
	v_addc_co_u32_e32 v32, vcc, 0, v26, vcc
	v_mov_b32_e32 v26, s15
	v_add_co_u32_e32 v25, vcc, s14, v31
	v_addc_co_u32_e32 v26, vcc, v26, v32, vcc
	v_mov_b32_e32 v28, s9
	;; [unrolled: 3-line block ×4, first 2 shown]
	v_add_co_u32_e32 v31, vcc, s12, v31
	v_addc_co_u32_e32 v32, vcc, v33, v32, vcc
	v_add_co_u32_e32 v33, vcc, s0, v0
	v_addc_co_u32_e64 v34, s[0:1], 0, 0, vcc
	v_add_co_u32_e32 v35, vcc, s3, v0
	v_addc_co_u32_e64 v36, s[0:1], 0, 0, vcc
	v_add_co_u32_e32 v37, vcc, s2, v0
	s_mov_b64 s[24:25], 0
	s_lshr_b32 s28, s26, 16
	v_addc_co_u32_e64 v38, s[0:1], 0, 0, vcc
	s_branch .LBB44_4
.LBB44_3:                               ;   in Loop: Header=BB44_4 Depth=1
	s_or_b64 exec, exec, s[0:1]
	v_mov_b32_e32 v53, s25
	v_add_co_u32_e32 v50, vcc, s24, v9
	v_addc_co_u32_e32 v51, vcc, v10, v53, vcc
	global_load_ubyte v54, v[50:51], off
	s_waitcnt vmcnt(1)
	v_cvt_f32_ubyte0_e32 v55, v47
	v_rcp_iflag_f32_e32 v61, v55
	v_cvt_f32_ubyte0_e32 v57, v49
	v_cvt_f32_ubyte0_e32 v56, v46
	;; [unrolled: 1-line block ×4, first 2 shown]
	v_add_co_u32_e32 v41, vcc, s24, v23
	v_add_co_u32_e64 v46, s[0:1], s24, v25
	v_add_co_u32_e64 v48, s[2:3], s24, v3
	;; [unrolled: 1-line block ×3, first 2 shown]
	s_add_u32 s24, s24, s27
	v_mov_b32_e32 v52, s21
	v_rcp_iflag_f32_e32 v62, v57
	v_cvt_f32_ubyte0_e32 v44, v44
	v_cvt_f32_ubyte0_e32 v60, v42
	v_mov_b32_e32 v51, s20
	v_addc_co_u32_e32 v42, vcc, v24, v53, vcc
	v_addc_co_u32_e64 v47, vcc, v26, v53, s[0:1]
	v_addc_co_u32_e64 v49, vcc, v4, v53, s[2:3]
	s_addc_u32 s25, s25, 0
	v_cmp_lt_i64_e32 vcc, s[24:25], v[51:52]
	v_mul_f32_e32 v52, v44, v61
	v_rcp_iflag_f32_e32 v63, v60
	v_trunc_f32_e32 v52, v52
	v_addc_co_u32_e64 v51, s[0:1], v2, v53, s[6:7]
	v_mul_f32_e32 v53, v56, v62
	v_mad_f32 v44, -v52, v55, v44
	v_cvt_u32_f32_e32 v52, v52
	v_trunc_f32_e32 v53, v53
	v_mad_f32 v56, -v53, v57, v56
	v_cvt_u32_f32_e32 v53, v53
	v_mul_f32_e32 v61, v59, v63
	v_cmp_ge_f32_e64 s[0:1], |v44|, v55
	v_trunc_f32_e32 v61, v61
	v_addc_co_u32_e64 v44, s[0:1], 0, v52, s[0:1]
	v_mad_f32 v59, -v61, v60, v59
	v_cvt_u32_f32_e32 v61, v61
	v_cmp_ge_f32_e64 s[0:1], |v56|, v57
	v_addc_co_u32_e64 v52, s[0:1], 0, v53, s[0:1]
	v_mad_legacy_u16 v40, v44, s28, v40
	v_mad_legacy_u16 v43, v52, s28, v43
	v_cmp_ge_f32_e64 s[0:1], |v59|, v60
	v_addc_co_u32_e64 v53, s[0:1], 0, v61, s[0:1]
	v_mad_legacy_u16 v39, v53, s28, v39
	global_store_byte v[41:42], v39, off
	global_store_byte v[46:47], v40, off
	;; [unrolled: 1-line block ×3, first 2 shown]
	s_and_b64 vcc, exec, vcc
	s_waitcnt vmcnt(3)
	v_cvt_f32_ubyte0_e32 v44, v54
	v_rcp_iflag_f32_e32 v52, v44
	v_mul_f32_e32 v39, v58, v52
	v_trunc_f32_e32 v39, v39
	v_cvt_u32_f32_e32 v40, v39
	v_mad_f32 v39, -v39, v44, v58
	v_cmp_ge_f32_e64 s[0:1], |v39|, v44
	v_addc_co_u32_e64 v39, s[0:1], 0, v40, s[0:1]
	v_mad_legacy_u16 v39, v39, s28, v45
	global_store_byte v[50:51], v39, off
	s_cbranch_vccz .LBB44_18
.LBB44_4:                               ; =>This Inner Loop Header: Depth=1
	v_mov_b32_e32 v40, s25
	v_add_co_u32_e32 v39, vcc, s24, v0
	v_addc_co_u32_e32 v40, vcc, 0, v40, vcc
	v_cmp_gt_u64_e32 vcc, s[22:23], v[39:40]
	v_mov_b32_e32 v41, 0
	v_mov_b32_e32 v39, 0
	s_and_saveexec_b64 s[2:3], vcc
	s_cbranch_execz .LBB44_6
; %bb.5:                                ;   in Loop: Header=BB44_4 Depth=1
	v_mov_b32_e32 v39, s25
	v_add_co_u32_e64 v42, s[0:1], s24, v17
	v_addc_co_u32_e64 v43, s[0:1], v18, v39, s[0:1]
	v_add_co_u32_e64 v44, s[0:1], s24, v19
	v_addc_co_u32_e64 v45, s[0:1], v20, v39, s[0:1]
	global_load_ubyte v39, v[42:43], off
	global_load_ubyte v41, v[44:45], off
.LBB44_6:                               ;   in Loop: Header=BB44_4 Depth=1
	s_or_b64 exec, exec, s[2:3]
	v_mov_b32_e32 v44, 0
	v_mov_b32_e32 v42, 0
	s_and_saveexec_b64 s[0:1], vcc
	s_cbranch_execz .LBB44_8
; %bb.7:                                ;   in Loop: Header=BB44_4 Depth=1
	v_mov_b32_e32 v40, s25
	v_add_co_u32_e32 v42, vcc, s24, v21
	v_addc_co_u32_e32 v43, vcc, v22, v40, vcc
	global_load_ubyte v42, v[42:43], off
.LBB44_8:                               ;   in Loop: Header=BB44_4 Depth=1
	s_or_b64 exec, exec, s[0:1]
	v_mov_b32_e32 v40, s25
	v_add_co_u32_e32 v45, vcc, s24, v37
	v_addc_co_u32_e32 v46, vcc, v38, v40, vcc
	v_cmp_gt_u64_e32 vcc, s[22:23], v[45:46]
	v_mov_b32_e32 v40, 0
	s_and_saveexec_b64 s[2:3], vcc
	s_cbranch_execz .LBB44_10
; %bb.9:                                ;   in Loop: Header=BB44_4 Depth=1
	v_mov_b32_e32 v40, s25
	v_add_co_u32_e64 v45, s[0:1], s24, v29
	v_addc_co_u32_e64 v46, s[0:1], v30, v40, s[0:1]
	v_add_co_u32_e64 v47, s[0:1], s24, v27
	v_addc_co_u32_e64 v48, s[0:1], v28, v40, s[0:1]
	global_load_ubyte v40, v[47:48], off
	global_load_ubyte v44, v[45:46], off
.LBB44_10:                              ;   in Loop: Header=BB44_4 Depth=1
	s_or_b64 exec, exec, s[2:3]
	v_mov_b32_e32 v46, 0
	v_mov_b32_e32 v47, 0
	s_and_saveexec_b64 s[0:1], vcc
	s_cbranch_execz .LBB44_12
; %bb.11:                               ;   in Loop: Header=BB44_4 Depth=1
	v_mov_b32_e32 v43, s25
	v_add_co_u32_e32 v47, vcc, s24, v31
	v_addc_co_u32_e32 v48, vcc, v32, v43, vcc
	global_load_ubyte v47, v[47:48], off
.LBB44_12:                              ;   in Loop: Header=BB44_4 Depth=1
	s_or_b64 exec, exec, s[0:1]
	v_mov_b32_e32 v43, s25
	v_add_co_u32_e32 v48, vcc, s24, v35
	v_addc_co_u32_e32 v49, vcc, v36, v43, vcc
	v_cmp_gt_u64_e32 vcc, s[22:23], v[48:49]
	v_mov_b32_e32 v43, 0
	s_and_saveexec_b64 s[2:3], vcc
	s_cbranch_execz .LBB44_14
; %bb.13:                               ;   in Loop: Header=BB44_4 Depth=1
	v_mov_b32_e32 v43, s25
	v_add_co_u32_e64 v48, s[0:1], s24, v13
	v_addc_co_u32_e64 v49, s[0:1], v14, v43, s[0:1]
	v_add_co_u32_e64 v50, s[0:1], s24, v11
	v_addc_co_u32_e64 v51, s[0:1], v12, v43, s[0:1]
	global_load_ubyte v43, v[50:51], off
	global_load_ubyte v46, v[48:49], off
.LBB44_14:                              ;   in Loop: Header=BB44_4 Depth=1
	s_or_b64 exec, exec, s[2:3]
	v_mov_b32_e32 v48, 0
	v_mov_b32_e32 v49, 0
	s_and_saveexec_b64 s[0:1], vcc
	s_cbranch_execz .LBB44_16
; %bb.15:                               ;   in Loop: Header=BB44_4 Depth=1
	v_mov_b32_e32 v45, s25
	v_add_co_u32_e32 v49, vcc, s24, v15
	v_addc_co_u32_e32 v50, vcc, v16, v45, vcc
	global_load_ubyte v49, v[49:50], off
.LBB44_16:                              ;   in Loop: Header=BB44_4 Depth=1
	s_or_b64 exec, exec, s[0:1]
	v_mov_b32_e32 v45, s25
	v_add_co_u32_e32 v50, vcc, s24, v33
	v_addc_co_u32_e32 v51, vcc, v34, v45, vcc
	v_cmp_gt_u64_e32 vcc, s[22:23], v[50:51]
	v_mov_b32_e32 v45, 0
	s_and_saveexec_b64 s[0:1], vcc
	s_cbranch_execz .LBB44_3
; %bb.17:                               ;   in Loop: Header=BB44_4 Depth=1
	v_mov_b32_e32 v45, s25
	v_add_co_u32_e32 v50, vcc, s24, v7
	v_addc_co_u32_e32 v51, vcc, v8, v45, vcc
	v_add_co_u32_e32 v52, vcc, s24, v5
	v_addc_co_u32_e32 v53, vcc, v6, v45, vcc
	global_load_ubyte v45, v[52:53], off
	global_load_ubyte v48, v[50:51], off
	s_branch .LBB44_3
.LBB44_18:
	s_mov_b64 s[0:1], 0
.LBB44_19:
	s_andn2_b64 vcc, exec, s[0:1]
	s_cbranch_vccnz .LBB44_23
; %bb.20:
	v_mov_b32_e32 v1, 0x10000
	v_mov_b32_e32 v2, 0
	v_cmp_lt_i64_e32 vcc, s[18:19], v[1:2]
	v_mov_b32_e32 v3, 0
	s_and_b64 s[0:1], vcc, exec
	s_cselect_b32 s7, s19, 0
	s_cselect_b32 s6, s18, 0x10000
	v_lshlrev_b32_e32 v2, 2, v0
	v_cmp_gt_i64_e32 vcc, s[6:7], v[2:3]
	s_and_saveexec_b64 s[0:1], vcc
	s_cbranch_execz .LBB44_23
; %bb.21:
	s_load_dword s0, s[4:5], 0xbfc
	v_mov_b32_e32 v1, v3
	v_mov_b32_e32 v3, s17
	v_add_co_u32_e32 v2, vcc, s16, v2
	s_waitcnt lgkmcnt(0)
	s_and_b32 s18, s0, 0xffff
	v_addc_co_u32_e32 v3, vcc, 0, v3, vcc
	s_lshl_b32 s19, s18, 2
	s_mov_b64 s[16:17], 0
	s_lshr_b32 s20, s26, 16
	v_mov_b32_e32 v4, s9
	v_mov_b32_e32 v5, s11
	;; [unrolled: 1-line block ×3, first 2 shown]
	s_mov_b32 s9, 0x6050400
	v_mov_b32_e32 v7, s15
.LBB44_22:                              ; =>This Inner Loop Header: Depth=1
	v_add_co_u32_e32 v8, vcc, s8, v2
	v_addc_co_u32_e32 v9, vcc, v4, v3, vcc
	v_add_co_u32_e32 v10, vcc, s10, v2
	v_addc_co_u32_e32 v11, vcc, v5, v3, vcc
	;; [unrolled: 2-line block ×3, first 2 shown]
	global_load_dword v14, v[10:11], off
	global_load_dword v15, v[12:13], off
	;; [unrolled: 1-line block ×3, first 2 shown]
	v_add_co_u32_e32 v8, vcc, s14, v2
	v_addc_co_u32_e32 v9, vcc, v7, v3, vcc
	v_add_co_u32_e32 v0, vcc, s18, v0
	v_addc_co_u32_e32 v1, vcc, 0, v1, vcc
	v_add_co_u32_e32 v2, vcc, s19, v2
	v_lshlrev_b64 v[10:11], 2, v[0:1]
	v_addc_co_u32_e32 v3, vcc, 0, v3, vcc
	v_cmp_le_i64_e32 vcc, s[6:7], v[10:11]
	s_or_b64 s[16:17], vcc, s[16:17]
	s_waitcnt vmcnt(2)
	v_cvt_f32_ubyte1_e32 v13, v14
	s_waitcnt vmcnt(1)
	v_cvt_f32_ubyte1_e32 v17, v15
	v_cvt_f32_ubyte2_e32 v20, v15
	v_cvt_f32_ubyte0_e32 v11, v15
	v_cvt_f32_ubyte3_e32 v15, v15
	v_rcp_iflag_f32_e32 v23, v17
	v_rcp_iflag_f32_e32 v24, v20
	;; [unrolled: 1-line block ×4, first 2 shown]
	v_cvt_f32_ubyte2_e32 v19, v14
	v_cvt_f32_ubyte0_e32 v10, v14
	v_cvt_f32_ubyte3_e32 v14, v14
	v_mul_f32_e32 v23, v13, v23
	v_mul_f32_e32 v24, v19, v24
	;; [unrolled: 1-line block ×4, first 2 shown]
	v_trunc_f32_e32 v23, v23
	v_trunc_f32_e32 v24, v24
	;; [unrolled: 1-line block ×4, first 2 shown]
	v_mad_f32 v13, -v23, v17, v13
	v_cvt_u32_f32_e32 v23, v23
	v_mad_f32 v19, -v24, v20, v19
	v_cvt_u32_f32_e32 v24, v24
	;; [unrolled: 2-line block ×4, first 2 shown]
	v_cmp_ge_f32_e64 vcc, |v13|, v17
	v_cmp_ge_f32_e64 s[0:1], |v19|, v20
	s_waitcnt vmcnt(0)
	v_lshrrev_b32_e32 v12, 8, v16
	v_lshrrev_b32_e32 v18, 16, v16
	v_cmp_ge_f32_e64 s[2:3], |v14|, v15
	v_cmp_ge_f32_e64 s[4:5], |v10|, v11
	v_addc_co_u32_e32 v11, vcc, 0, v23, vcc
	v_addc_co_u32_e64 v13, vcc, 0, v24, s[0:1]
	v_lshrrev_b32_e32 v21, 24, v16
	v_addc_co_u32_e64 v10, s[4:5], 0, v22, s[4:5]
	v_addc_co_u32_e64 v14, vcc, 0, v25, s[2:3]
	v_mad_legacy_u16 v11, v11, s20, v12
	v_mad_legacy_u16 v12, v13, s20, v18
	;; [unrolled: 1-line block ×4, first 2 shown]
	v_and_b32_e32 v11, 0xff, v11
	v_and_b32_e32 v12, 0xff, v12
	v_lshlrev_b32_e32 v13, 24, v13
	v_perm_b32 v10, v11, v10, s9
	v_lshlrev_b32_e32 v11, 16, v12
	v_or3_b32 v10, v10, v11, v13
	global_store_dword v[8:9], v10, off
	s_andn2_b64 exec, exec, s[16:17]
	s_cbranch_execnz .LBB44_22
.LBB44_23:
	s_endpgm
	.section	.rodata,"a",@progbits
	.p2align	6, 0x0
	.amdhsa_kernel _ZN2at6native12_GLOBAL__N_125multi_tensor_apply_kernelINS1_18TensorListMetadataILi4EEENS1_24PointwiseOpScalarFunctorIhLi4ELi3ELi3EEEJSt7dividesIhEhEEEvT_T0_DpT1_
		.amdhsa_group_segment_fixed_size 0
		.amdhsa_private_segment_fixed_size 0
		.amdhsa_kernarg_size 3312
		.amdhsa_user_sgpr_count 6
		.amdhsa_user_sgpr_private_segment_buffer 1
		.amdhsa_user_sgpr_dispatch_ptr 0
		.amdhsa_user_sgpr_queue_ptr 0
		.amdhsa_user_sgpr_kernarg_segment_ptr 1
		.amdhsa_user_sgpr_dispatch_id 0
		.amdhsa_user_sgpr_flat_scratch_init 0
		.amdhsa_user_sgpr_private_segment_size 0
		.amdhsa_uses_dynamic_stack 0
		.amdhsa_system_sgpr_private_segment_wavefront_offset 0
		.amdhsa_system_sgpr_workgroup_id_x 1
		.amdhsa_system_sgpr_workgroup_id_y 0
		.amdhsa_system_sgpr_workgroup_id_z 0
		.amdhsa_system_sgpr_workgroup_info 0
		.amdhsa_system_vgpr_workitem_id 0
		.amdhsa_next_free_vgpr 64
		.amdhsa_next_free_sgpr 29
		.amdhsa_reserve_vcc 1
		.amdhsa_reserve_flat_scratch 0
		.amdhsa_float_round_mode_32 0
		.amdhsa_float_round_mode_16_64 0
		.amdhsa_float_denorm_mode_32 3
		.amdhsa_float_denorm_mode_16_64 3
		.amdhsa_dx10_clamp 1
		.amdhsa_ieee_mode 1
		.amdhsa_fp16_overflow 0
		.amdhsa_exception_fp_ieee_invalid_op 0
		.amdhsa_exception_fp_denorm_src 0
		.amdhsa_exception_fp_ieee_div_zero 0
		.amdhsa_exception_fp_ieee_overflow 0
		.amdhsa_exception_fp_ieee_underflow 0
		.amdhsa_exception_fp_ieee_inexact 0
		.amdhsa_exception_int_div_zero 0
	.end_amdhsa_kernel
	.section	.text._ZN2at6native12_GLOBAL__N_125multi_tensor_apply_kernelINS1_18TensorListMetadataILi4EEENS1_24PointwiseOpScalarFunctorIhLi4ELi3ELi3EEEJSt7dividesIhEhEEEvT_T0_DpT1_,"axG",@progbits,_ZN2at6native12_GLOBAL__N_125multi_tensor_apply_kernelINS1_18TensorListMetadataILi4EEENS1_24PointwiseOpScalarFunctorIhLi4ELi3ELi3EEEJSt7dividesIhEhEEEvT_T0_DpT1_,comdat
.Lfunc_end44:
	.size	_ZN2at6native12_GLOBAL__N_125multi_tensor_apply_kernelINS1_18TensorListMetadataILi4EEENS1_24PointwiseOpScalarFunctorIhLi4ELi3ELi3EEEJSt7dividesIhEhEEEvT_T0_DpT1_, .Lfunc_end44-_ZN2at6native12_GLOBAL__N_125multi_tensor_apply_kernelINS1_18TensorListMetadataILi4EEENS1_24PointwiseOpScalarFunctorIhLi4ELi3ELi3EEEJSt7dividesIhEhEEEvT_T0_DpT1_
                                        ; -- End function
	.set _ZN2at6native12_GLOBAL__N_125multi_tensor_apply_kernelINS1_18TensorListMetadataILi4EEENS1_24PointwiseOpScalarFunctorIhLi4ELi3ELi3EEEJSt7dividesIhEhEEEvT_T0_DpT1_.num_vgpr, 64
	.set _ZN2at6native12_GLOBAL__N_125multi_tensor_apply_kernelINS1_18TensorListMetadataILi4EEENS1_24PointwiseOpScalarFunctorIhLi4ELi3ELi3EEEJSt7dividesIhEhEEEvT_T0_DpT1_.num_agpr, 0
	.set _ZN2at6native12_GLOBAL__N_125multi_tensor_apply_kernelINS1_18TensorListMetadataILi4EEENS1_24PointwiseOpScalarFunctorIhLi4ELi3ELi3EEEJSt7dividesIhEhEEEvT_T0_DpT1_.numbered_sgpr, 29
	.set _ZN2at6native12_GLOBAL__N_125multi_tensor_apply_kernelINS1_18TensorListMetadataILi4EEENS1_24PointwiseOpScalarFunctorIhLi4ELi3ELi3EEEJSt7dividesIhEhEEEvT_T0_DpT1_.num_named_barrier, 0
	.set _ZN2at6native12_GLOBAL__N_125multi_tensor_apply_kernelINS1_18TensorListMetadataILi4EEENS1_24PointwiseOpScalarFunctorIhLi4ELi3ELi3EEEJSt7dividesIhEhEEEvT_T0_DpT1_.private_seg_size, 0
	.set _ZN2at6native12_GLOBAL__N_125multi_tensor_apply_kernelINS1_18TensorListMetadataILi4EEENS1_24PointwiseOpScalarFunctorIhLi4ELi3ELi3EEEJSt7dividesIhEhEEEvT_T0_DpT1_.uses_vcc, 1
	.set _ZN2at6native12_GLOBAL__N_125multi_tensor_apply_kernelINS1_18TensorListMetadataILi4EEENS1_24PointwiseOpScalarFunctorIhLi4ELi3ELi3EEEJSt7dividesIhEhEEEvT_T0_DpT1_.uses_flat_scratch, 0
	.set _ZN2at6native12_GLOBAL__N_125multi_tensor_apply_kernelINS1_18TensorListMetadataILi4EEENS1_24PointwiseOpScalarFunctorIhLi4ELi3ELi3EEEJSt7dividesIhEhEEEvT_T0_DpT1_.has_dyn_sized_stack, 0
	.set _ZN2at6native12_GLOBAL__N_125multi_tensor_apply_kernelINS1_18TensorListMetadataILi4EEENS1_24PointwiseOpScalarFunctorIhLi4ELi3ELi3EEEJSt7dividesIhEhEEEvT_T0_DpT1_.has_recursion, 0
	.set _ZN2at6native12_GLOBAL__N_125multi_tensor_apply_kernelINS1_18TensorListMetadataILi4EEENS1_24PointwiseOpScalarFunctorIhLi4ELi3ELi3EEEJSt7dividesIhEhEEEvT_T0_DpT1_.has_indirect_call, 0
	.section	.AMDGPU.csdata,"",@progbits
; Kernel info:
; codeLenInByte = 1956
; TotalNumSgprs: 33
; NumVgprs: 64
; ScratchSize: 0
; MemoryBound: 0
; FloatMode: 240
; IeeeMode: 1
; LDSByteSize: 0 bytes/workgroup (compile time only)
; SGPRBlocks: 4
; VGPRBlocks: 15
; NumSGPRsForWavesPerEU: 33
; NumVGPRsForWavesPerEU: 64
; Occupancy: 4
; WaveLimiterHint : 0
; COMPUTE_PGM_RSRC2:SCRATCH_EN: 0
; COMPUTE_PGM_RSRC2:USER_SGPR: 6
; COMPUTE_PGM_RSRC2:TRAP_HANDLER: 0
; COMPUTE_PGM_RSRC2:TGID_X_EN: 1
; COMPUTE_PGM_RSRC2:TGID_Y_EN: 0
; COMPUTE_PGM_RSRC2:TGID_Z_EN: 0
; COMPUTE_PGM_RSRC2:TIDIG_COMP_CNT: 0
	.section	.text._ZN2at6native12_GLOBAL__N_125multi_tensor_apply_kernelINS1_18TensorListMetadataILi4EEENS1_24PointwiseOpScalarFunctorIaLi4ELi3ELi3EEEJSt7dividesIaEaEEEvT_T0_DpT1_,"axG",@progbits,_ZN2at6native12_GLOBAL__N_125multi_tensor_apply_kernelINS1_18TensorListMetadataILi4EEENS1_24PointwiseOpScalarFunctorIaLi4ELi3ELi3EEEJSt7dividesIaEaEEEvT_T0_DpT1_,comdat
	.globl	_ZN2at6native12_GLOBAL__N_125multi_tensor_apply_kernelINS1_18TensorListMetadataILi4EEENS1_24PointwiseOpScalarFunctorIaLi4ELi3ELi3EEEJSt7dividesIaEaEEEvT_T0_DpT1_ ; -- Begin function _ZN2at6native12_GLOBAL__N_125multi_tensor_apply_kernelINS1_18TensorListMetadataILi4EEENS1_24PointwiseOpScalarFunctorIaLi4ELi3ELi3EEEJSt7dividesIaEaEEEvT_T0_DpT1_
	.p2align	8
	.type	_ZN2at6native12_GLOBAL__N_125multi_tensor_apply_kernelINS1_18TensorListMetadataILi4EEENS1_24PointwiseOpScalarFunctorIaLi4ELi3ELi3EEEJSt7dividesIaEaEEEvT_T0_DpT1_,@function
_ZN2at6native12_GLOBAL__N_125multi_tensor_apply_kernelINS1_18TensorListMetadataILi4EEENS1_24PointwiseOpScalarFunctorIaLi4ELi3ELi3EEEJSt7dividesIaEaEEEvT_T0_DpT1_: ; @_ZN2at6native12_GLOBAL__N_125multi_tensor_apply_kernelINS1_18TensorListMetadataILi4EEENS1_24PointwiseOpScalarFunctorIaLi4ELi3ELi3EEEJSt7dividesIaEaEEEvT_T0_DpT1_
; %bb.0:
	v_mov_b32_e32 v1, s6
	global_load_ubyte v1, v1, s[4:5] offset:1440
	s_add_u32 s0, s4, s6
	s_mul_hi_u32 s1, s6, 3
	s_mul_i32 s6, s6, 3
	s_addc_u32 s2, s5, 0
	s_add_u32 s0, s0, s6
	s_addc_u32 s1, s2, s1
	s_load_dword s0, s[0:1], 0x6e0
	s_mov_b32 s3, 0
	s_waitcnt lgkmcnt(0)
	s_ashr_i32 s1, s0, 31
	s_lshl_b64 s[22:23], s[0:1], 16
	s_waitcnt vmcnt(0)
	v_readfirstlane_b32 s0, v1
	s_lshl_b32 s2, s0, 3
	s_load_dwordx2 s[14:15], s[4:5], s2 offset:0x0
	s_load_dword s33, s[4:5], 0xbe8
	s_load_dwordx2 s[0:1], s[4:5], s2 offset:0x480
	s_load_dwordx2 s[16:17], s[4:5], s2 offset:0x120
	;; [unrolled: 1-line block ×4, first 2 shown]
	s_waitcnt lgkmcnt(0)
	s_add_u32 s6, s14, s22
	s_addc_u32 s7, s15, s23
	s_add_u32 s2, s16, s22
	s_and_b32 s2, s2, 3
	s_cmp_eq_u64 s[2:3], 0
	s_cselect_b64 s[8:9], -1, 0
	s_add_u32 s2, s18, s22
	s_or_b32 s2, s20, s2
	s_and_b32 s2, s2, 3
	s_cmp_eq_u32 s2, 0
	s_cselect_b64 s[10:11], -1, 0
	s_and_b64 s[8:9], s[10:11], s[8:9]
	s_sub_u32 s24, s0, s22
	s_subb_u32 s25, s1, s23
	s_or_b64 s[0:1], s[0:1], s[6:7]
	s_and_b32 s2, s0, 3
	s_cmp_eq_u64 s[2:3], 0
	s_cselect_b64 s[0:1], -1, 0
	s_and_b64 s[2:3], s[8:9], s[0:1]
	s_mov_b64 s[0:1], -1
	s_and_b64 vcc, exec, s[2:3]
	s_cbranch_vccnz .LBB45_45
; %bb.1:
	v_cmp_lt_i64_e64 s[0:1], s[24:25], 1
	s_and_b64 vcc, exec, s[0:1]
	s_cbranch_vccnz .LBB45_44
; %bb.2:
	v_mov_b32_e32 v1, 0x10000
	s_load_dword s2, s[4:5], 0xbfc
	v_mov_b32_e32 v2, 0
	v_cmp_lt_i64_e32 vcc, s[24:25], v[1:2]
	v_mov_b32_e32 v4, s17
	s_and_b64 s[0:1], vcc, exec
	v_cmp_lt_u64_e32 vcc, s[24:25], v[1:2]
	s_cselect_b32 s27, s25, 0
	s_cselect_b32 s26, s24, 0x10000
	s_waitcnt lgkmcnt(0)
	s_and_b32 s2, s2, 0xffff
	s_and_b64 s[0:1], vcc, exec
	s_cselect_b32 s29, s25, 0
	s_cselect_b32 s28, s24, 0x10000
	s_lshl_b32 s3, s2, 1
	s_bfe_u32 s1, s33, 0x80010
	s_cmp_lg_u32 s1, 1
	s_mul_i32 s0, s2, 3
	s_cselect_b64 s[30:31], -1, 0
	s_lshl_b32 s36, s2, 2
	s_add_u32 s1, s22, s0
	s_addc_u32 s6, s23, 0
	v_mov_b32_e32 v1, s6
	v_add_co_u32_e32 v7, vcc, s1, v0
	v_addc_co_u32_e32 v8, vcc, 0, v1, vcc
	v_mov_b32_e32 v2, s15
	v_add_co_u32_e32 v1, vcc, s14, v7
	v_addc_co_u32_e32 v2, vcc, v2, v8, vcc
	v_add_co_u32_e32 v3, vcc, s16, v7
	v_addc_co_u32_e32 v4, vcc, v4, v8, vcc
	v_mov_b32_e32 v6, s19
	v_add_co_u32_e32 v5, vcc, s18, v7
	v_addc_co_u32_e32 v6, vcc, v6, v8, vcc
	v_mov_b32_e32 v9, s21
	v_add_co_u32_e32 v7, vcc, s20, v7
	s_add_u32 s1, s22, s3
	v_addc_co_u32_e32 v8, vcc, v9, v8, vcc
	s_addc_u32 s6, s23, 0
	v_mov_b32_e32 v9, s6
	v_add_co_u32_e32 v15, vcc, s1, v0
	v_addc_co_u32_e32 v16, vcc, 0, v9, vcc
	v_mov_b32_e32 v10, s15
	v_add_co_u32_e32 v9, vcc, s14, v15
	v_addc_co_u32_e32 v10, vcc, v10, v16, vcc
	;; [unrolled: 3-line block ×10, first 2 shown]
	v_add_co_u32_e32 v31, vcc, s2, v25
	v_addc_co_u32_e32 v32, vcc, 0, v26, vcc
	v_mov_b32_e32 v26, s15
	v_add_co_u32_e32 v25, vcc, s14, v31
	v_addc_co_u32_e32 v26, vcc, v26, v32, vcc
	v_mov_b32_e32 v28, s17
	;; [unrolled: 3-line block ×4, first 2 shown]
	v_add_co_u32_e32 v31, vcc, s20, v31
	v_addc_co_u32_e32 v32, vcc, v33, v32, vcc
	v_add_co_u32_e32 v33, vcc, s0, v0
	v_addc_co_u32_e64 v34, s[0:1], 0, 0, vcc
	v_add_co_u32_e32 v35, vcc, s3, v0
	v_addc_co_u32_e64 v36, s[0:1], 0, 0, vcc
	v_add_co_u32_e32 v37, vcc, s2, v0
	s_mov_b64 s[34:35], 0
	s_lshr_b32 s37, s33, 16
	v_addc_co_u32_e64 v38, s[0:1], 0, 0, vcc
	s_branch .LBB45_4
.LBB45_3:                               ;   in Loop: Header=BB45_4 Depth=1
	s_or_b64 exec, exec, s[0:1]
	s_add_u32 s34, s34, s36
	v_mov_b32_e32 v40, s27
	s_addc_u32 s35, s35, 0
	v_mov_b32_e32 v39, s26
	v_cmp_ge_i64_e32 vcc, s[34:35], v[39:40]
	s_cbranch_vccnz .LBB45_44
.LBB45_4:                               ; =>This Inner Loop Header: Depth=1
	v_mov_b32_e32 v40, s35
	v_add_co_u32_e32 v39, vcc, s34, v0
	v_addc_co_u32_e32 v40, vcc, 0, v40, vcc
	v_cmp_gt_u64_e64 s[0:1], s[28:29], v[39:40]
	v_mov_b32_e32 v46, 0
	v_mov_b32_e32 v40, 0
	s_and_saveexec_b64 s[2:3], s[0:1]
	s_cbranch_execz .LBB45_6
; %bb.5:                                ;   in Loop: Header=BB45_4 Depth=1
	v_mov_b32_e32 v39, s35
	v_add_co_u32_e32 v41, vcc, s34, v17
	v_addc_co_u32_e32 v42, vcc, v18, v39, vcc
	v_add_co_u32_e32 v43, vcc, s34, v19
	v_addc_co_u32_e32 v44, vcc, v20, v39, vcc
	global_load_ubyte v40, v[41:42], off
	global_load_ubyte v46, v[43:44], off
.LBB45_6:                               ;   in Loop: Header=BB45_4 Depth=1
	s_or_b64 exec, exec, s[2:3]
	v_mov_b32_e32 v44, 0
	v_mov_b32_e32 v50, 0
	s_and_saveexec_b64 s[2:3], s[0:1]
	s_cbranch_execz .LBB45_8
; %bb.7:                                ;   in Loop: Header=BB45_4 Depth=1
	v_mov_b32_e32 v39, s35
	v_add_co_u32_e32 v41, vcc, s34, v21
	v_addc_co_u32_e32 v42, vcc, v22, v39, vcc
	global_load_ubyte v50, v[41:42], off
.LBB45_8:                               ;   in Loop: Header=BB45_4 Depth=1
	s_or_b64 exec, exec, s[2:3]
	v_mov_b32_e32 v39, s35
	v_add_co_u32_e32 v41, vcc, s34, v37
	v_addc_co_u32_e32 v42, vcc, v38, v39, vcc
	v_cmp_gt_u64_e64 s[2:3], s[28:29], v[41:42]
	v_mov_b32_e32 v39, 0
	s_and_saveexec_b64 s[6:7], s[2:3]
	s_cbranch_execz .LBB45_10
; %bb.9:                                ;   in Loop: Header=BB45_4 Depth=1
	v_mov_b32_e32 v39, s35
	v_add_co_u32_e32 v41, vcc, s34, v27
	v_addc_co_u32_e32 v42, vcc, v28, v39, vcc
	v_add_co_u32_e32 v47, vcc, s34, v25
	v_addc_co_u32_e32 v48, vcc, v26, v39, vcc
	global_load_ubyte v39, v[47:48], off
	global_load_ubyte v44, v[41:42], off
.LBB45_10:                              ;   in Loop: Header=BB45_4 Depth=1
	s_or_b64 exec, exec, s[6:7]
	v_mov_b32_e32 v43, 0
	v_mov_b32_e32 v48, 0
	s_and_saveexec_b64 s[6:7], s[2:3]
	s_cbranch_execz .LBB45_12
; %bb.11:                               ;   in Loop: Header=BB45_4 Depth=1
	v_mov_b32_e32 v42, s35
	v_add_co_u32_e32 v41, vcc, s34, v29
	v_addc_co_u32_e32 v42, vcc, v30, v42, vcc
	global_load_ubyte v48, v[41:42], off
.LBB45_12:                              ;   in Loop: Header=BB45_4 Depth=1
	s_or_b64 exec, exec, s[6:7]
	v_mov_b32_e32 v42, s35
	v_add_co_u32_e32 v41, vcc, s34, v35
	v_addc_co_u32_e32 v42, vcc, v36, v42, vcc
	v_cmp_gt_u64_e64 s[6:7], s[28:29], v[41:42]
	v_mov_b32_e32 v41, 0
	s_and_saveexec_b64 s[8:9], s[6:7]
	s_cbranch_execz .LBB45_14
; %bb.13:                               ;   in Loop: Header=BB45_4 Depth=1
	v_mov_b32_e32 v41, s35
	v_add_co_u32_e32 v51, vcc, s34, v11
	v_addc_co_u32_e32 v52, vcc, v12, v41, vcc
	v_add_co_u32_e32 v53, vcc, s34, v9
	v_addc_co_u32_e32 v54, vcc, v10, v41, vcc
	global_load_ubyte v41, v[53:54], off
	global_load_ubyte v43, v[51:52], off
.LBB45_14:                              ;   in Loop: Header=BB45_4 Depth=1
	s_or_b64 exec, exec, s[8:9]
	v_mov_b32_e32 v45, 0
	v_mov_b32_e32 v47, 0
	s_and_saveexec_b64 s[8:9], s[6:7]
	s_cbranch_execz .LBB45_16
; %bb.15:                               ;   in Loop: Header=BB45_4 Depth=1
	v_mov_b32_e32 v42, s35
	v_add_co_u32_e32 v51, vcc, s34, v13
	v_addc_co_u32_e32 v52, vcc, v14, v42, vcc
	global_load_ubyte v47, v[51:52], off
.LBB45_16:                              ;   in Loop: Header=BB45_4 Depth=1
	s_or_b64 exec, exec, s[8:9]
	v_mov_b32_e32 v42, s35
	v_add_co_u32_e32 v51, vcc, s34, v33
	v_addc_co_u32_e32 v52, vcc, v34, v42, vcc
	v_cmp_gt_u64_e64 s[8:9], s[28:29], v[51:52]
	v_mov_b32_e32 v42, 0
	s_and_saveexec_b64 s[10:11], s[8:9]
	s_cbranch_execz .LBB45_18
; %bb.17:                               ;   in Loop: Header=BB45_4 Depth=1
	v_mov_b32_e32 v42, s35
	v_add_co_u32_e32 v51, vcc, s34, v3
	v_addc_co_u32_e32 v52, vcc, v4, v42, vcc
	v_add_co_u32_e32 v53, vcc, s34, v1
	v_addc_co_u32_e32 v54, vcc, v2, v42, vcc
	global_load_ubyte v42, v[53:54], off
	global_load_ubyte v45, v[51:52], off
.LBB45_18:                              ;   in Loop: Header=BB45_4 Depth=1
	s_or_b64 exec, exec, s[10:11]
	v_mov_b32_e32 v49, 0
	s_and_saveexec_b64 s[10:11], s[8:9]
	s_cbranch_execz .LBB45_20
; %bb.19:                               ;   in Loop: Header=BB45_4 Depth=1
	v_mov_b32_e32 v49, s35
	v_add_co_u32_e32 v51, vcc, s34, v5
	v_addc_co_u32_e32 v52, vcc, v6, v49, vcc
	global_load_ubyte v49, v[51:52], off
.LBB45_20:                              ;   in Loop: Header=BB45_4 Depth=1
	s_or_b64 exec, exec, s[10:11]
	s_waitcnt vmcnt(0)
	v_cvt_f32_i32_sdwa v51, sext(v50) dst_sel:DWORD dst_unused:UNUSED_PAD src0_sel:BYTE_0
	v_cvt_f32_i32_sdwa v52, sext(v46) dst_sel:DWORD dst_unused:UNUSED_PAD src0_sel:BYTE_0
	v_xor_b32_sdwa v50, sext(v46), sext(v50) dst_sel:DWORD dst_unused:UNUSED_PAD src0_sel:BYTE_0 src1_sel:BYTE_0
	v_ashrrev_i32_e32 v50, 30, v50
	v_rcp_iflag_f32_e32 v53, v51
	v_or_b32_e32 v50, 1, v50
	s_mov_b64 s[12:13], -1
	s_and_b64 vcc, exec, s[30:31]
	v_mul_f32_e32 v53, v52, v53
	v_trunc_f32_e32 v53, v53
	v_cvt_i32_f32_e32 v54, v53
	v_mad_f32 v52, -v53, v51, v52
	v_cmp_ge_f32_e64 s[10:11], |v52|, |v51|
	v_cndmask_b32_e64 v50, 0, v50, s[10:11]
	v_add_u32_e32 v50, v54, v50
	v_bfe_i32 v50, v50, 0, 8
                                        ; implicit-def: $vgpr46
	s_cbranch_vccz .LBB45_22
; %bb.21:                               ;   in Loop: Header=BB45_4 Depth=1
	v_mad_legacy_u16 v46, s37, v50, v40
	s_mov_b64 s[12:13], 0
.LBB45_22:                              ;   in Loop: Header=BB45_4 Depth=1
	s_andn2_b64 vcc, exec, s[12:13]
	s_cbranch_vccnz .LBB45_24
; %bb.23:                               ;   in Loop: Header=BB45_4 Depth=1
	v_add_u16_e32 v46, v40, v50
.LBB45_24:                              ;   in Loop: Header=BB45_4 Depth=1
	v_cvt_f32_i32_sdwa v40, sext(v48) dst_sel:DWORD dst_unused:UNUSED_PAD src0_sel:BYTE_0
	v_xor_b32_sdwa v48, sext(v44), sext(v48) dst_sel:DWORD dst_unused:UNUSED_PAD src0_sel:BYTE_0 src1_sel:BYTE_0
	v_cvt_f32_i32_sdwa v44, sext(v44) dst_sel:DWORD dst_unused:UNUSED_PAD src0_sel:BYTE_0
	v_cndmask_b32_e64 v50, 0, 1, s[30:31]
	v_rcp_iflag_f32_e32 v51, v40
	v_cmp_ne_u32_e64 s[10:11], 1, v50
	v_ashrrev_i32_e32 v48, 30, v48
	v_or_b32_e32 v48, 1, v48
	v_mul_f32_e32 v50, v44, v51
	v_trunc_f32_e32 v50, v50
	v_cvt_i32_f32_e32 v51, v50
	v_mad_f32 v44, -v50, v40, v44
	v_cmp_ge_f32_e64 vcc, |v44|, |v40|
	v_cndmask_b32_e32 v40, 0, v48, vcc
	v_add_u32_e32 v40, v51, v40
	v_bfe_i32 v44, v40, 0, 8
	s_andn2_b64 vcc, exec, s[30:31]
	s_mov_b64 s[12:13], -1
                                        ; implicit-def: $vgpr40
	s_cbranch_vccnz .LBB45_26
; %bb.25:                               ;   in Loop: Header=BB45_4 Depth=1
	v_mad_legacy_u16 v40, s37, v44, v39
	s_mov_b64 s[12:13], 0
.LBB45_26:                              ;   in Loop: Header=BB45_4 Depth=1
	s_andn2_b64 vcc, exec, s[12:13]
	s_cbranch_vccnz .LBB45_28
; %bb.27:                               ;   in Loop: Header=BB45_4 Depth=1
	v_add_u16_e32 v40, v39, v44
.LBB45_28:                              ;   in Loop: Header=BB45_4 Depth=1
	v_cvt_f32_i32_sdwa v39, sext(v47) dst_sel:DWORD dst_unused:UNUSED_PAD src0_sel:BYTE_0
	v_xor_b32_sdwa v44, sext(v43), sext(v47) dst_sel:DWORD dst_unused:UNUSED_PAD src0_sel:BYTE_0 src1_sel:BYTE_0
	v_cvt_f32_i32_sdwa v43, sext(v43) dst_sel:DWORD dst_unused:UNUSED_PAD src0_sel:BYTE_0
	v_ashrrev_i32_e32 v44, 30, v44
	v_rcp_iflag_f32_e32 v47, v39
	v_or_b32_e32 v44, 1, v44
	s_and_b64 vcc, exec, s[10:11]
	v_mul_f32_e32 v47, v43, v47
	v_trunc_f32_e32 v47, v47
	v_cvt_i32_f32_e32 v48, v47
	v_mad_f32 v43, -v47, v39, v43
	v_cmp_ge_f32_e64 s[12:13], |v43|, |v39|
	v_cndmask_b32_e64 v39, 0, v44, s[12:13]
	v_add_u32_e32 v39, v48, v39
	v_bfe_i32 v43, v39, 0, 8
	s_mov_b64 s[12:13], -1
                                        ; implicit-def: $vgpr39
	s_cbranch_vccnz .LBB45_30
; %bb.29:                               ;   in Loop: Header=BB45_4 Depth=1
	v_mad_legacy_u16 v39, s37, v43, v41
	s_mov_b64 s[12:13], 0
.LBB45_30:                              ;   in Loop: Header=BB45_4 Depth=1
	s_andn2_b64 vcc, exec, s[12:13]
	s_cbranch_vccnz .LBB45_32
; %bb.31:                               ;   in Loop: Header=BB45_4 Depth=1
	v_add_u16_e32 v39, v41, v43
.LBB45_32:                              ;   in Loop: Header=BB45_4 Depth=1
	v_cvt_f32_i32_sdwa v41, sext(v49) dst_sel:DWORD dst_unused:UNUSED_PAD src0_sel:BYTE_0
	v_xor_b32_sdwa v43, sext(v45), sext(v49) dst_sel:DWORD dst_unused:UNUSED_PAD src0_sel:BYTE_0 src1_sel:BYTE_0
	v_cvt_f32_i32_sdwa v44, sext(v45) dst_sel:DWORD dst_unused:UNUSED_PAD src0_sel:BYTE_0
	v_ashrrev_i32_e32 v43, 30, v43
	v_rcp_iflag_f32_e32 v45, v41
	s_and_b64 vcc, exec, s[10:11]
	v_or_b32_e32 v43, 1, v43
	v_mul_f32_e32 v45, v44, v45
	v_trunc_f32_e32 v45, v45
	v_cvt_i32_f32_e32 v47, v45
	v_mad_f32 v44, -v45, v41, v44
	v_cmp_ge_f32_e64 s[10:11], |v44|, |v41|
	v_cndmask_b32_e64 v41, 0, v43, s[10:11]
	v_add_u32_e32 v41, v47, v41
	v_bfe_i32 v43, v41, 0, 8
	s_mov_b64 s[10:11], -1
                                        ; implicit-def: $vgpr41
	s_cbranch_vccz .LBB45_38
; %bb.33:                               ;   in Loop: Header=BB45_4 Depth=1
	s_andn2_b64 vcc, exec, s[10:11]
	s_cbranch_vccz .LBB45_39
.LBB45_34:                              ;   in Loop: Header=BB45_4 Depth=1
	s_and_saveexec_b64 s[10:11], s[0:1]
	s_xor_b64 s[0:1], exec, s[10:11]
	s_cbranch_execnz .LBB45_40
.LBB45_35:                              ;   in Loop: Header=BB45_4 Depth=1
	s_or_b64 exec, exec, s[0:1]
	s_and_saveexec_b64 s[0:1], s[2:3]
	s_cbranch_execnz .LBB45_41
.LBB45_36:                              ;   in Loop: Header=BB45_4 Depth=1
	s_or_b64 exec, exec, s[0:1]
	s_and_saveexec_b64 s[0:1], s[6:7]
	s_cbranch_execnz .LBB45_42
.LBB45_37:                              ;   in Loop: Header=BB45_4 Depth=1
	s_or_b64 exec, exec, s[0:1]
	s_and_saveexec_b64 s[0:1], s[8:9]
	s_cbranch_execz .LBB45_3
	s_branch .LBB45_43
.LBB45_38:                              ;   in Loop: Header=BB45_4 Depth=1
	v_mad_legacy_u16 v41, s37, v43, v42
	s_cbranch_execnz .LBB45_34
.LBB45_39:                              ;   in Loop: Header=BB45_4 Depth=1
	v_add_u16_e32 v41, v42, v43
	s_and_saveexec_b64 s[10:11], s[0:1]
	s_xor_b64 s[0:1], exec, s[10:11]
	s_cbranch_execz .LBB45_35
.LBB45_40:                              ;   in Loop: Header=BB45_4 Depth=1
	v_mov_b32_e32 v43, s35
	v_add_co_u32_e32 v42, vcc, s34, v23
	v_addc_co_u32_e32 v43, vcc, v24, v43, vcc
	global_store_byte v[42:43], v46, off
	s_or_b64 exec, exec, s[0:1]
	s_and_saveexec_b64 s[0:1], s[2:3]
	s_cbranch_execz .LBB45_36
.LBB45_41:                              ;   in Loop: Header=BB45_4 Depth=1
	v_mov_b32_e32 v43, s35
	v_add_co_u32_e32 v42, vcc, s34, v31
	v_addc_co_u32_e32 v43, vcc, v32, v43, vcc
	global_store_byte v[42:43], v40, off
	s_or_b64 exec, exec, s[0:1]
	s_and_saveexec_b64 s[0:1], s[6:7]
	s_cbranch_execz .LBB45_37
.LBB45_42:                              ;   in Loop: Header=BB45_4 Depth=1
	v_mov_b32_e32 v40, s35
	v_add_co_u32_e32 v42, vcc, s34, v15
	v_addc_co_u32_e32 v43, vcc, v16, v40, vcc
	global_store_byte v[42:43], v39, off
	s_or_b64 exec, exec, s[0:1]
	s_and_saveexec_b64 s[0:1], s[8:9]
	s_cbranch_execz .LBB45_3
.LBB45_43:                              ;   in Loop: Header=BB45_4 Depth=1
	v_mov_b32_e32 v40, s35
	v_add_co_u32_e32 v39, vcc, s34, v7
	v_addc_co_u32_e32 v40, vcc, v8, v40, vcc
	global_store_byte v[39:40], v41, off
	s_branch .LBB45_3
.LBB45_44:
	s_mov_b64 s[0:1], 0
.LBB45_45:
	s_andn2_b64 vcc, exec, s[0:1]
	s_cbranch_vccnz .LBB45_49
; %bb.46:
	v_mov_b32_e32 v1, 0x10000
	v_mov_b32_e32 v2, 0
	v_cmp_lt_i64_e32 vcc, s[24:25], v[1:2]
	v_mov_b32_e32 v3, 0
	s_and_b64 s[0:1], vcc, exec
	s_cselect_b32 s1, s25, 0
	s_cselect_b32 s0, s24, 0x10000
	v_lshlrev_b32_e32 v2, 2, v0
	v_cmp_gt_i64_e32 vcc, s[0:1], v[2:3]
	s_and_saveexec_b64 s[2:3], vcc
	s_cbranch_execz .LBB45_49
; %bb.47:
	s_load_dword s2, s[4:5], 0xbfc
	v_mov_b32_e32 v1, v3
	v_mov_b32_e32 v3, s23
	v_add_co_u32_e32 v2, vcc, s22, v2
	s_waitcnt lgkmcnt(0)
	s_and_b32 s4, s2, 0xffff
	v_addc_co_u32_e32 v3, vcc, 0, v3, vcc
	s_lshl_b32 s5, s4, 2
	s_mov_b64 s[2:3], 0
	s_lshr_b32 s6, s33, 16
	v_mov_b32_e32 v4, s15
	v_mov_b32_e32 v5, s17
	v_mov_b32_e32 v6, s19
	s_mov_b32 s7, 0x6050400
	v_mov_b32_e32 v7, s21
.LBB45_48:                              ; =>This Inner Loop Header: Depth=1
	v_add_co_u32_e32 v8, vcc, s14, v2
	v_addc_co_u32_e32 v9, vcc, v4, v3, vcc
	v_add_co_u32_e32 v10, vcc, s16, v2
	v_addc_co_u32_e32 v11, vcc, v5, v3, vcc
	v_add_co_u32_e32 v12, vcc, s18, v2
	v_addc_co_u32_e32 v13, vcc, v6, v3, vcc
	global_load_dword v14, v[10:11], off
	global_load_dword v15, v[12:13], off
	;; [unrolled: 1-line block ×3, first 2 shown]
	v_add_co_u32_e32 v8, vcc, s20, v2
	v_addc_co_u32_e32 v9, vcc, v7, v3, vcc
	v_add_co_u32_e32 v0, vcc, s4, v0
	v_addc_co_u32_e32 v1, vcc, 0, v1, vcc
	v_add_co_u32_e32 v2, vcc, s5, v2
	v_lshlrev_b64 v[10:11], 2, v[0:1]
	v_addc_co_u32_e32 v3, vcc, 0, v3, vcc
	v_cmp_le_i64_e32 vcc, s[0:1], v[10:11]
	s_or_b64 s[2:3], vcc, s[2:3]
	s_waitcnt vmcnt(2)
	v_cvt_f32_i32_sdwa v11, sext(v14) dst_sel:DWORD dst_unused:UNUSED_PAD src0_sel:BYTE_0
	s_waitcnt vmcnt(1)
	v_cvt_f32_i32_sdwa v12, sext(v15) dst_sel:DWORD dst_unused:UNUSED_PAD src0_sel:BYTE_0
	v_cvt_f32_i32_sdwa v21, sext(v15) dst_sel:DWORD dst_unused:UNUSED_PAD src0_sel:BYTE_1
	v_cvt_f32_i32_sdwa v24, sext(v15) dst_sel:DWORD dst_unused:UNUSED_PAD src0_sel:BYTE_2
	v_xor_b32_sdwa v10, sext(v14), sext(v15) dst_sel:DWORD dst_unused:UNUSED_PAD src0_sel:BYTE_0 src1_sel:BYTE_0
	v_xor_b32_sdwa v19, sext(v14), sext(v15) dst_sel:DWORD dst_unused:UNUSED_PAD src0_sel:BYTE_1 src1_sel:BYTE_1
	v_xor_b32_sdwa v22, sext(v14), sext(v15) dst_sel:DWORD dst_unused:UNUSED_PAD src0_sel:BYTE_2 src1_sel:BYTE_2
	v_xor_b32_sdwa v25, sext(v14), sext(v15) dst_sel:DWORD dst_unused:UNUSED_PAD src0_sel:BYTE_3 src1_sel:BYTE_3
	v_cvt_f32_i32_sdwa v15, sext(v15) dst_sel:DWORD dst_unused:UNUSED_PAD src0_sel:BYTE_3
	v_cvt_f32_i32_sdwa v20, sext(v14) dst_sel:DWORD dst_unused:UNUSED_PAD src0_sel:BYTE_1
	v_rcp_iflag_f32_e32 v26, v12
	v_rcp_iflag_f32_e32 v27, v21
	v_cvt_f32_i32_sdwa v23, sext(v14) dst_sel:DWORD dst_unused:UNUSED_PAD src0_sel:BYTE_2
	v_rcp_iflag_f32_e32 v28, v24
	v_cvt_f32_i32_sdwa v14, sext(v14) dst_sel:DWORD dst_unused:UNUSED_PAD src0_sel:BYTE_3
	v_rcp_iflag_f32_e32 v29, v15
	v_mul_f32_e32 v26, v11, v26
	v_mul_f32_e32 v27, v20, v27
	v_mul_f32_e32 v28, v23, v28
	v_trunc_f32_e32 v26, v26
	v_trunc_f32_e32 v27, v27
	v_ashrrev_i32_e32 v10, 30, v10
	v_trunc_f32_e32 v28, v28
	v_mad_f32 v11, -v26, v12, v11
	v_mad_f32 v20, -v27, v21, v20
	v_cvt_i32_f32_e32 v27, v27
	v_ashrrev_i32_e32 v19, 30, v19
	v_or_b32_e32 v10, 1, v10
	v_mul_f32_e32 v29, v14, v29
	v_cvt_i32_f32_e32 v26, v26
	v_mad_f32 v23, -v28, v24, v23
	v_cvt_i32_f32_e32 v28, v28
	v_cmp_ge_f32_e64 vcc, |v11|, |v12|
	v_ashrrev_i32_e32 v22, 30, v22
	v_or_b32_e32 v19, 1, v19
	v_trunc_f32_e32 v29, v29
	v_cndmask_b32_e32 v10, 0, v10, vcc
	v_cmp_ge_f32_e64 vcc, |v20|, |v21|
	v_or_b32_e32 v22, 1, v22
	v_mad_f32 v14, -v29, v15, v14
	v_cvt_i32_f32_e32 v29, v29
	v_cndmask_b32_e32 v11, 0, v19, vcc
	v_cmp_ge_f32_e64 vcc, |v23|, |v24|
	s_waitcnt vmcnt(0)
	v_lshrrev_b32_e32 v13, 8, v16
	v_ashrrev_i32_e32 v25, 30, v25
	v_cndmask_b32_e32 v12, 0, v22, vcc
	v_add_u32_e32 v11, v27, v11
	v_lshrrev_b32_e32 v17, 16, v16
	v_or_b32_e32 v25, 1, v25
	v_cmp_ge_f32_e64 vcc, |v14|, |v15|
	v_add_u32_e32 v10, v26, v10
	v_add_u32_e32 v12, v28, v12
	v_mad_legacy_u16 v11, s6, v11, v13
	v_cndmask_b32_e32 v14, 0, v25, vcc
	v_mad_legacy_u16 v10, s6, v10, v16
	v_mad_legacy_u16 v12, s6, v12, v17
	v_and_b32_e32 v11, 0xff, v11
	v_lshrrev_b32_e32 v18, 24, v16
	v_add_u32_e32 v14, v29, v14
	v_and_b32_e32 v12, 0xff, v12
	v_perm_b32 v10, v11, v10, s7
	v_mad_legacy_u16 v13, s6, v14, v18
	v_lshl_or_b32 v10, v12, 16, v10
	v_lshl_or_b32 v10, v13, 24, v10
	global_store_dword v[8:9], v10, off
	s_andn2_b64 exec, exec, s[2:3]
	s_cbranch_execnz .LBB45_48
.LBB45_49:
	s_endpgm
	.section	.rodata,"a",@progbits
	.p2align	6, 0x0
	.amdhsa_kernel _ZN2at6native12_GLOBAL__N_125multi_tensor_apply_kernelINS1_18TensorListMetadataILi4EEENS1_24PointwiseOpScalarFunctorIaLi4ELi3ELi3EEEJSt7dividesIaEaEEEvT_T0_DpT1_
		.amdhsa_group_segment_fixed_size 0
		.amdhsa_private_segment_fixed_size 0
		.amdhsa_kernarg_size 3312
		.amdhsa_user_sgpr_count 6
		.amdhsa_user_sgpr_private_segment_buffer 1
		.amdhsa_user_sgpr_dispatch_ptr 0
		.amdhsa_user_sgpr_queue_ptr 0
		.amdhsa_user_sgpr_kernarg_segment_ptr 1
		.amdhsa_user_sgpr_dispatch_id 0
		.amdhsa_user_sgpr_flat_scratch_init 0
		.amdhsa_user_sgpr_private_segment_size 0
		.amdhsa_uses_dynamic_stack 0
		.amdhsa_system_sgpr_private_segment_wavefront_offset 0
		.amdhsa_system_sgpr_workgroup_id_x 1
		.amdhsa_system_sgpr_workgroup_id_y 0
		.amdhsa_system_sgpr_workgroup_id_z 0
		.amdhsa_system_sgpr_workgroup_info 0
		.amdhsa_system_vgpr_workitem_id 0
		.amdhsa_next_free_vgpr 55
		.amdhsa_next_free_sgpr 38
		.amdhsa_reserve_vcc 1
		.amdhsa_reserve_flat_scratch 0
		.amdhsa_float_round_mode_32 0
		.amdhsa_float_round_mode_16_64 0
		.amdhsa_float_denorm_mode_32 3
		.amdhsa_float_denorm_mode_16_64 3
		.amdhsa_dx10_clamp 1
		.amdhsa_ieee_mode 1
		.amdhsa_fp16_overflow 0
		.amdhsa_exception_fp_ieee_invalid_op 0
		.amdhsa_exception_fp_denorm_src 0
		.amdhsa_exception_fp_ieee_div_zero 0
		.amdhsa_exception_fp_ieee_overflow 0
		.amdhsa_exception_fp_ieee_underflow 0
		.amdhsa_exception_fp_ieee_inexact 0
		.amdhsa_exception_int_div_zero 0
	.end_amdhsa_kernel
	.section	.text._ZN2at6native12_GLOBAL__N_125multi_tensor_apply_kernelINS1_18TensorListMetadataILi4EEENS1_24PointwiseOpScalarFunctorIaLi4ELi3ELi3EEEJSt7dividesIaEaEEEvT_T0_DpT1_,"axG",@progbits,_ZN2at6native12_GLOBAL__N_125multi_tensor_apply_kernelINS1_18TensorListMetadataILi4EEENS1_24PointwiseOpScalarFunctorIaLi4ELi3ELi3EEEJSt7dividesIaEaEEEvT_T0_DpT1_,comdat
.Lfunc_end45:
	.size	_ZN2at6native12_GLOBAL__N_125multi_tensor_apply_kernelINS1_18TensorListMetadataILi4EEENS1_24PointwiseOpScalarFunctorIaLi4ELi3ELi3EEEJSt7dividesIaEaEEEvT_T0_DpT1_, .Lfunc_end45-_ZN2at6native12_GLOBAL__N_125multi_tensor_apply_kernelINS1_18TensorListMetadataILi4EEENS1_24PointwiseOpScalarFunctorIaLi4ELi3ELi3EEEJSt7dividesIaEaEEEvT_T0_DpT1_
                                        ; -- End function
	.set _ZN2at6native12_GLOBAL__N_125multi_tensor_apply_kernelINS1_18TensorListMetadataILi4EEENS1_24PointwiseOpScalarFunctorIaLi4ELi3ELi3EEEJSt7dividesIaEaEEEvT_T0_DpT1_.num_vgpr, 55
	.set _ZN2at6native12_GLOBAL__N_125multi_tensor_apply_kernelINS1_18TensorListMetadataILi4EEENS1_24PointwiseOpScalarFunctorIaLi4ELi3ELi3EEEJSt7dividesIaEaEEEvT_T0_DpT1_.num_agpr, 0
	.set _ZN2at6native12_GLOBAL__N_125multi_tensor_apply_kernelINS1_18TensorListMetadataILi4EEENS1_24PointwiseOpScalarFunctorIaLi4ELi3ELi3EEEJSt7dividesIaEaEEEvT_T0_DpT1_.numbered_sgpr, 38
	.set _ZN2at6native12_GLOBAL__N_125multi_tensor_apply_kernelINS1_18TensorListMetadataILi4EEENS1_24PointwiseOpScalarFunctorIaLi4ELi3ELi3EEEJSt7dividesIaEaEEEvT_T0_DpT1_.num_named_barrier, 0
	.set _ZN2at6native12_GLOBAL__N_125multi_tensor_apply_kernelINS1_18TensorListMetadataILi4EEENS1_24PointwiseOpScalarFunctorIaLi4ELi3ELi3EEEJSt7dividesIaEaEEEvT_T0_DpT1_.private_seg_size, 0
	.set _ZN2at6native12_GLOBAL__N_125multi_tensor_apply_kernelINS1_18TensorListMetadataILi4EEENS1_24PointwiseOpScalarFunctorIaLi4ELi3ELi3EEEJSt7dividesIaEaEEEvT_T0_DpT1_.uses_vcc, 1
	.set _ZN2at6native12_GLOBAL__N_125multi_tensor_apply_kernelINS1_18TensorListMetadataILi4EEENS1_24PointwiseOpScalarFunctorIaLi4ELi3ELi3EEEJSt7dividesIaEaEEEvT_T0_DpT1_.uses_flat_scratch, 0
	.set _ZN2at6native12_GLOBAL__N_125multi_tensor_apply_kernelINS1_18TensorListMetadataILi4EEENS1_24PointwiseOpScalarFunctorIaLi4ELi3ELi3EEEJSt7dividesIaEaEEEvT_T0_DpT1_.has_dyn_sized_stack, 0
	.set _ZN2at6native12_GLOBAL__N_125multi_tensor_apply_kernelINS1_18TensorListMetadataILi4EEENS1_24PointwiseOpScalarFunctorIaLi4ELi3ELi3EEEJSt7dividesIaEaEEEvT_T0_DpT1_.has_recursion, 0
	.set _ZN2at6native12_GLOBAL__N_125multi_tensor_apply_kernelINS1_18TensorListMetadataILi4EEENS1_24PointwiseOpScalarFunctorIaLi4ELi3ELi3EEEJSt7dividesIaEaEEEvT_T0_DpT1_.has_indirect_call, 0
	.section	.AMDGPU.csdata,"",@progbits
; Kernel info:
; codeLenInByte = 2412
; TotalNumSgprs: 42
; NumVgprs: 55
; ScratchSize: 0
; MemoryBound: 0
; FloatMode: 240
; IeeeMode: 1
; LDSByteSize: 0 bytes/workgroup (compile time only)
; SGPRBlocks: 5
; VGPRBlocks: 13
; NumSGPRsForWavesPerEU: 42
; NumVGPRsForWavesPerEU: 55
; Occupancy: 4
; WaveLimiterHint : 0
; COMPUTE_PGM_RSRC2:SCRATCH_EN: 0
; COMPUTE_PGM_RSRC2:USER_SGPR: 6
; COMPUTE_PGM_RSRC2:TRAP_HANDLER: 0
; COMPUTE_PGM_RSRC2:TGID_X_EN: 1
; COMPUTE_PGM_RSRC2:TGID_Y_EN: 0
; COMPUTE_PGM_RSRC2:TGID_Z_EN: 0
; COMPUTE_PGM_RSRC2:TIDIG_COMP_CNT: 0
	.section	.text._ZN2at6native12_GLOBAL__N_125multi_tensor_apply_kernelINS1_18TensorListMetadataILi4EEENS1_24PointwiseOpScalarFunctorIiLi4ELi3ELi3EEEJSt7dividesIiEiEEEvT_T0_DpT1_,"axG",@progbits,_ZN2at6native12_GLOBAL__N_125multi_tensor_apply_kernelINS1_18TensorListMetadataILi4EEENS1_24PointwiseOpScalarFunctorIiLi4ELi3ELi3EEEJSt7dividesIiEiEEEvT_T0_DpT1_,comdat
	.globl	_ZN2at6native12_GLOBAL__N_125multi_tensor_apply_kernelINS1_18TensorListMetadataILi4EEENS1_24PointwiseOpScalarFunctorIiLi4ELi3ELi3EEEJSt7dividesIiEiEEEvT_T0_DpT1_ ; -- Begin function _ZN2at6native12_GLOBAL__N_125multi_tensor_apply_kernelINS1_18TensorListMetadataILi4EEENS1_24PointwiseOpScalarFunctorIiLi4ELi3ELi3EEEJSt7dividesIiEiEEEvT_T0_DpT1_
	.p2align	8
	.type	_ZN2at6native12_GLOBAL__N_125multi_tensor_apply_kernelINS1_18TensorListMetadataILi4EEENS1_24PointwiseOpScalarFunctorIiLi4ELi3ELi3EEEJSt7dividesIiEiEEEvT_T0_DpT1_,@function
_ZN2at6native12_GLOBAL__N_125multi_tensor_apply_kernelINS1_18TensorListMetadataILi4EEENS1_24PointwiseOpScalarFunctorIiLi4ELi3ELi3EEEJSt7dividesIiEiEEEvT_T0_DpT1_: ; @_ZN2at6native12_GLOBAL__N_125multi_tensor_apply_kernelINS1_18TensorListMetadataILi4EEENS1_24PointwiseOpScalarFunctorIiLi4ELi3ELi3EEEJSt7dividesIiEiEEEvT_T0_DpT1_
; %bb.0:
	v_mov_b32_e32 v1, s6
	global_load_ubyte v1, v1, s[4:5] offset:1440
	s_add_u32 s0, s4, s6
	s_mul_hi_u32 s1, s6, 3
	s_mul_i32 s6, s6, 3
	s_addc_u32 s2, s5, 0
	s_add_u32 s0, s0, s6
	s_addc_u32 s1, s2, s1
	s_load_dword s8, s[0:1], 0x6e0
	s_mov_b32 s11, 0
	s_mov_b32 s13, s11
	;; [unrolled: 1-line block ×3, first 2 shown]
	s_waitcnt lgkmcnt(0)
	s_ashr_i32 s9, s8, 31
	s_lshl_b64 s[6:7], s[8:9], 18
	s_waitcnt vmcnt(0)
	v_readfirstlane_b32 s0, v1
	s_lshl_b32 s10, s0, 3
	s_load_dwordx2 s[14:15], s[4:5], s10 offset:0x0
	s_load_dword s18, s[4:5], 0xbec
	s_load_dwordx2 s[30:31], s[4:5], s10 offset:0x480
	s_load_dwordx2 s[2:3], s[4:5], s10 offset:0x120
	;; [unrolled: 1-line block ×4, first 2 shown]
	s_waitcnt lgkmcnt(0)
	s_add_u32 s19, s14, s6
	s_addc_u32 s20, s15, s7
	s_and_b32 s10, s19, 15
	s_add_u32 s21, s2, s6
	s_addc_u32 s22, s3, s7
	s_and_b32 s12, s21, 15
	s_cmp_eq_u64 s[12:13], 0
	s_cselect_b64 s[12:13], -1, 0
	s_add_u32 s23, s0, s6
	s_addc_u32 s24, s1, s7
	s_add_u32 s25, s16, s6
	s_addc_u32 s26, s17, s7
	s_or_b32 s27, s25, s23
	s_and_b32 s27, s27, 15
	s_cmp_eq_u32 s27, 0
	s_cselect_b64 s[34:35], -1, 0
	s_lshl_b64 s[8:9], s[8:9], 16
	s_and_b64 s[12:13], s[34:35], s[12:13]
	s_sub_u32 s8, s30, s8
	s_subb_u32 s9, s31, s9
	s_and_b32 s28, s30, 3
	s_or_b64 s[10:11], s[10:11], s[28:29]
	s_cmp_eq_u64 s[10:11], 0
	s_cselect_b64 s[10:11], -1, 0
	s_and_b64 s[12:13], s[12:13], s[10:11]
	s_mov_b64 s[10:11], -1
	s_and_b64 vcc, exec, s[12:13]
	s_cbranch_vccnz .LBB46_19
; %bb.1:
	v_cmp_lt_i64_e64 s[10:11], s[8:9], 1
	s_and_b64 vcc, exec, s[10:11]
	s_cbranch_vccnz .LBB46_18
; %bb.2:
	v_mov_b32_e32 v1, 0x10000
	s_load_dword s12, s[4:5], 0xbfc
	v_mov_b32_e32 v2, 0
	v_cmp_lt_i64_e32 vcc, s[8:9], v[1:2]
	v_mov_b32_e32 v3, 0
	s_and_b64 s[10:11], vcc, exec
	s_cselect_b32 s11, s9, 0
	s_cselect_b32 s10, s8, 0x10000
	v_cmp_lt_u64_e32 vcc, s[8:9], v[1:2]
	s_waitcnt lgkmcnt(0)
	s_and_b32 s29, s12, 0xffff
	v_lshlrev_b32_e32 v2, 2, v0
	v_mad_u64_u32 v[3:4], s[30:31], s29, 12, v[2:3]
	s_and_b64 s[12:13], vcc, exec
	v_mov_b32_e32 v6, s17
	v_add_co_u32_e32 v5, vcc, s16, v3
	v_addc_co_u32_e32 v6, vcc, v6, v4, vcc
	v_mov_b32_e32 v8, s15
	v_add_co_u32_e32 v7, vcc, s14, v3
	v_addc_co_u32_e32 v8, vcc, v8, v4, vcc
	;; [unrolled: 3-line block ×3, first 2 shown]
	s_cselect_b32 s13, s9, 0
	s_cselect_b32 s12, s8, 0x10000
	s_lshl_b32 s33, s29, 1
	s_lshl_b32 s27, s29, 2
	s_lshl_b32 s28, s29, 4
	s_lshl_b32 s30, s29, 3
	v_mov_b32_e32 v12, s1
	v_add_co_u32_e32 v11, vcc, s0, v3
	s_add_u32 s34, s16, s27
	v_addc_co_u32_e32 v12, vcc, v12, v4, vcc
	s_addc_u32 s31, s17, 0
	v_add_co_u32_e32 v19, vcc, s30, v2
	v_mov_b32_e32 v3, s31
	v_addc_co_u32_e64 v20, s[30:31], 0, 0, vcc
	v_mov_b32_e32 v14, s17
	v_add_co_u32_e32 v13, vcc, s16, v19
	v_addc_co_u32_e32 v14, vcc, v14, v20, vcc
	v_mov_b32_e32 v16, s15
	v_add_co_u32_e32 v15, vcc, s14, v19
	v_addc_co_u32_e32 v16, vcc, v16, v20, vcc
	v_mov_b32_e32 v18, s3
	v_add_co_u32_e32 v17, vcc, s2, v19
	v_addc_co_u32_e32 v18, vcc, v18, v20, vcc
	v_mov_b32_e32 v21, s1
	v_add_co_u32_e32 v19, vcc, s0, v19
	v_addc_co_u32_e32 v20, vcc, v21, v20, vcc
	v_mov_b32_e32 v1, s15
	v_add_co_u32_e32 v21, vcc, s14, v2
	v_addc_co_u32_e32 v22, vcc, 0, v1, vcc
	v_mov_b32_e32 v24, s3
	v_add_co_u32_e32 v23, vcc, s2, v2
	v_addc_co_u32_e32 v24, vcc, 0, v24, vcc
	v_mov_b32_e32 v26, s1
	v_add_co_u32_e32 v25, vcc, s0, v2
	v_addc_co_u32_e32 v26, vcc, 0, v26, vcc
	v_add_co_u32_e32 v27, vcc, s34, v2
	v_addc_co_u32_e32 v28, vcc, 0, v3, vcc
	v_mov_b32_e32 v4, s17
	v_add_co_u32_e32 v29, vcc, s16, v2
	v_addc_co_u32_e32 v30, vcc, 0, v4, vcc
	v_add_co_u32_e32 v31, vcc, s29, v0
	v_lshlrev_b32_e32 v1, 2, v31
	v_addc_co_u32_e64 v32, s[16:17], 0, 0, vcc
	v_mov_b32_e32 v2, s15
	v_add_co_u32_e32 v33, vcc, s14, v1
	v_addc_co_u32_e32 v34, vcc, 0, v2, vcc
	v_mov_b32_e32 v2, s3
	v_add_co_u32_e32 v35, vcc, s2, v1
	v_addc_co_u32_e32 v36, vcc, 0, v2, vcc
	v_mov_b32_e32 v2, s1
	v_add_co_u32_e32 v37, vcc, s0, v1
	s_mul_i32 s30, s29, 3
	v_addc_co_u32_e32 v38, vcc, 0, v2, vcc
	v_add_co_u32_e32 v39, vcc, s30, v0
	v_addc_co_u32_e64 v40, s[0:1], 0, 0, vcc
	v_add_co_u32_e32 v41, vcc, s33, v0
	s_mov_b64 s[14:15], 0
	v_addc_co_u32_e64 v42, s[0:1], 0, 0, vcc
	s_branch .LBB46_4
.LBB46_3:                               ;   in Loop: Header=BB46_4 Depth=1
	s_or_b64 exec, exec, s[0:1]
	v_mov_b32_e32 v52, s7
	v_add_co_u32_e32 v50, vcc, s6, v11
	v_addc_co_u32_e32 v51, vcc, v12, v52, vcc
	global_load_dword v50, v[50:51], off
	s_waitcnt vmcnt(1)
	v_sub_u32_e32 v57, 0, v49
	v_sub_u32_e32 v54, 0, v47
	v_xor_b32_e32 v55, v48, v49
	v_max_i32_e32 v49, v49, v57
	v_xor_b32_e32 v51, v45, v47
	v_sub_u32_e32 v56, 0, v48
	v_sub_u32_e32 v61, 0, v44
	v_max_i32_e32 v47, v47, v54
	v_cvt_f32_u32_e32 v57, v49
	v_sub_u32_e32 v53, 0, v45
	v_xor_b32_e32 v59, v43, v44
	v_max_i32_e32 v48, v48, v56
	v_max_i32_e32 v44, v44, v61
	v_cvt_f32_u32_e32 v56, v47
	v_max_i32_e32 v45, v45, v53
	v_ashrrev_i32_e32 v53, 31, v55
	v_ashrrev_i32_e32 v55, 31, v59
	v_cvt_f32_u32_e32 v59, v44
	v_rcp_iflag_f32_e32 v57, v57
	v_rcp_iflag_f32_e32 v56, v56
	v_sub_u32_e32 v58, 0, v46
	v_rcp_iflag_f32_e32 v59, v59
	v_mul_f32_e32 v57, 0x4f7ffffe, v57
	v_mul_f32_e32 v56, 0x4f7ffffe, v56
	v_cvt_u32_f32_e32 v57, v57
	v_cvt_u32_f32_e32 v56, v56
	v_mul_f32_e32 v59, 0x4f7ffffe, v59
	v_cvt_u32_f32_e32 v59, v59
	v_sub_u32_e32 v61, 0, v49
	v_max_i32_e32 v54, v46, v58
	v_sub_u32_e32 v58, 0, v47
	v_mul_lo_u32 v61, v61, v57
	v_mul_lo_u32 v58, v58, v56
	v_sub_u32_e32 v62, 0, v44
	v_mul_lo_u32 v62, v62, v59
	v_mul_hi_u32 v61, v57, v61
	v_sub_u32_e32 v60, 0, v43
	v_mul_hi_u32 v58, v56, v58
	v_max_i32_e32 v43, v43, v60
	v_mul_hi_u32 v60, v59, v62
	v_add_u32_e32 v57, v57, v61
	v_add_u32_e32 v56, v56, v58
	v_mul_hi_u32 v57, v48, v57
	v_mul_hi_u32 v56, v45, v56
	v_add_u32_e32 v58, v59, v60
	v_mul_hi_u32 v58, v43, v58
	v_mul_lo_u32 v61, v57, v49
	v_mul_lo_u32 v59, v56, v47
	v_add_u32_e32 v60, 1, v56
	v_mul_lo_u32 v62, v58, v44
	v_sub_u32_e32 v48, v48, v61
	v_sub_u32_e32 v45, v45, v59
	v_add_u32_e32 v59, 1, v57
	v_cmp_ge_u32_e64 s[0:1], v48, v49
	v_sub_u32_e32 v43, v43, v62
	v_cndmask_b32_e64 v57, v57, v59, s[0:1]
	v_sub_u32_e32 v59, v48, v49
	v_add_u32_e32 v61, 1, v58
	v_cmp_ge_u32_e64 s[2:3], v43, v44
	v_cndmask_b32_e64 v48, v48, v59, s[0:1]
	v_cndmask_b32_e64 v58, v58, v61, s[2:3]
	v_sub_u32_e32 v61, v43, v44
	v_cndmask_b32_e64 v43, v43, v61, s[2:3]
	v_cmp_ge_u32_e32 vcc, v45, v47
	v_cndmask_b32_e32 v56, v56, v60, vcc
	v_sub_u32_e32 v60, v45, v47
	v_cndmask_b32_e32 v45, v45, v60, vcc
	v_cmp_ge_u32_e32 vcc, v45, v47
	v_add_u32_e32 v60, 1, v56
	v_add_u32_e32 v62, 1, v57
	v_cndmask_b32_e32 v56, v56, v60, vcc
	v_cmp_ge_u32_e32 vcc, v48, v49
	v_cndmask_b32_e32 v48, v57, v62, vcc
	v_cmp_ge_u32_e32 vcc, v43, v44
	v_add_u32_e32 v45, 1, v58
	v_cndmask_b32_e32 v43, v58, v45, vcc
	v_xor_b32_e32 v43, v43, v55
	v_sub_u32_e32 v49, v43, v55
	v_ashrrev_i32_e32 v51, 31, v51
	s_waitcnt vmcnt(0)
	v_sub_u32_e32 v59, 0, v50
	v_max_i32_e32 v59, v50, v59
	v_cvt_f32_u32_e32 v61, v59
	v_sub_u32_e32 v44, 0, v59
	v_xor_b32_e32 v45, v56, v51
	v_xor_b32_e32 v48, v48, v53
	v_rcp_iflag_f32_e32 v47, v61
	v_sub_u32_e32 v45, v45, v51
	v_sub_u32_e32 v48, v48, v53
	s_add_u32 s14, s14, s27
	v_mul_f32_e32 v47, 0x4f7ffffe, v47
	v_cvt_u32_f32_e32 v47, v47
	s_addc_u32 s15, s15, 0
	v_mul_lo_u32 v44, v44, v47
	v_mul_hi_u32 v44, v47, v44
	v_add_u32_e32 v43, v47, v44
	v_mul_hi_u32 v47, v54, v43
	v_mad_u64_u32 v[43:44], s[0:1], v45, s18, v[2:3]
	v_mad_u64_u32 v[2:3], s[0:1], v48, s18, v[3:4]
	v_mul_lo_u32 v3, v47, v59
	v_xor_b32_e32 v44, v46, v50
	v_add_u32_e32 v45, 1, v47
	v_ashrrev_i32_e32 v44, 31, v44
	v_sub_u32_e32 v3, v54, v3
	v_cmp_ge_u32_e32 vcc, v3, v59
	v_sub_u32_e32 v46, v3, v59
	v_cndmask_b32_e32 v45, v47, v45, vcc
	v_cndmask_b32_e32 v3, v3, v46, vcc
	v_add_u32_e32 v46, 1, v45
	v_cmp_ge_u32_e32 vcc, v3, v59
	v_cndmask_b32_e32 v3, v45, v46, vcc
	v_xor_b32_e32 v3, v3, v44
	v_sub_u32_e32 v3, v3, v44
	v_mad_u64_u32 v[44:45], s[0:1], v49, s18, v[1:2]
	v_add_co_u32_e32 v45, vcc, s6, v29
	v_addc_co_u32_e32 v46, vcc, v30, v52, vcc
	global_store_dword v[45:46], v44, off
	v_add_co_u32_e32 v44, vcc, s6, v27
	v_addc_co_u32_e32 v45, vcc, v28, v52, vcc
	global_store_dword v[44:45], v43, off
	v_add_co_u32_e32 v43, vcc, s6, v13
	v_addc_co_u32_e32 v44, vcc, v14, v52, vcc
	v_add_co_u32_e32 v1, vcc, s6, v5
	global_store_dword v[43:44], v2, off
	v_addc_co_u32_e32 v2, vcc, v6, v52, vcc
	v_add_co_u32_e32 v21, vcc, s28, v21
	v_addc_co_u32_e32 v22, vcc, 0, v22, vcc
	v_add_co_u32_e32 v23, vcc, s28, v23
	;; [unrolled: 2-line block ×3, first 2 shown]
	v_addc_co_u32_e32 v26, vcc, 0, v26, vcc
	v_mad_u64_u32 v[3:4], s[0:1], v3, s18, v[4:5]
	v_add_co_u32_e32 v5, vcc, s28, v5
	v_addc_co_u32_e32 v6, vcc, 0, v6, vcc
	v_add_co_u32_e32 v13, vcc, s28, v13
	v_addc_co_u32_e32 v14, vcc, 0, v14, vcc
	v_add_co_u32_e32 v27, vcc, s28, v27
	v_addc_co_u32_e32 v28, vcc, 0, v28, vcc
	v_add_co_u32_e32 v29, vcc, s28, v29
	v_addc_co_u32_e32 v30, vcc, 0, v30, vcc
	v_add_co_u32_e32 v7, vcc, s28, v7
	v_addc_co_u32_e32 v8, vcc, 0, v8, vcc
	v_add_co_u32_e32 v9, vcc, s28, v9
	v_addc_co_u32_e32 v10, vcc, 0, v10, vcc
	v_add_co_u32_e32 v11, vcc, s28, v11
	v_addc_co_u32_e32 v12, vcc, 0, v12, vcc
	v_add_co_u32_e32 v15, vcc, s28, v15
	v_addc_co_u32_e32 v16, vcc, 0, v16, vcc
	v_add_co_u32_e32 v17, vcc, s28, v17
	v_addc_co_u32_e32 v18, vcc, 0, v18, vcc
	v_add_co_u32_e32 v19, vcc, s28, v19
	v_addc_co_u32_e32 v20, vcc, 0, v20, vcc
	v_add_co_u32_e32 v33, vcc, s28, v33
	v_addc_co_u32_e32 v34, vcc, 0, v34, vcc
	global_store_dword v[1:2], v3, off
	v_add_co_u32_e32 v35, vcc, s28, v35
	v_mov_b32_e32 v1, s10
	v_addc_co_u32_e32 v36, vcc, 0, v36, vcc
	v_mov_b32_e32 v2, s11
	v_cmp_lt_i64_e32 vcc, s[14:15], v[1:2]
	v_add_co_u32_e64 v37, s[0:1], s28, v37
	v_addc_co_u32_e64 v38, s[0:1], 0, v38, s[0:1]
	s_cbranch_vccz .LBB46_18
.LBB46_4:                               ; =>This Inner Loop Header: Depth=1
	v_mov_b32_e32 v2, s15
	v_add_co_u32_e32 v1, vcc, s14, v0
	v_addc_co_u32_e32 v2, vcc, 0, v2, vcc
	v_cmp_gt_u64_e32 vcc, s[12:13], v[1:2]
	v_mov_b32_e32 v43, 0
	v_mov_b32_e32 v1, 0
	s_and_saveexec_b64 s[2:3], vcc
	s_cbranch_execz .LBB46_6
; %bb.5:                                ;   in Loop: Header=BB46_4 Depth=1
	v_mov_b32_e32 v1, s7
	v_add_co_u32_e64 v2, s[0:1], s6, v21
	v_addc_co_u32_e64 v3, s[0:1], v22, v1, s[0:1]
	v_add_co_u32_e64 v44, s[0:1], s6, v23
	v_addc_co_u32_e64 v45, s[0:1], v24, v1, s[0:1]
	global_load_dword v1, v[2:3], off
	global_load_dword v43, v[44:45], off
.LBB46_6:                               ;   in Loop: Header=BB46_4 Depth=1
	s_or_b64 exec, exec, s[2:3]
	v_mov_b32_e32 v45, 0
	v_mov_b32_e32 v44, 0
	s_and_saveexec_b64 s[0:1], vcc
	s_cbranch_execz .LBB46_8
; %bb.7:                                ;   in Loop: Header=BB46_4 Depth=1
	v_mov_b32_e32 v3, s7
	v_add_co_u32_e32 v2, vcc, s6, v25
	v_addc_co_u32_e32 v3, vcc, v26, v3, vcc
	global_load_dword v44, v[2:3], off
.LBB46_8:                               ;   in Loop: Header=BB46_4 Depth=1
	s_or_b64 exec, exec, s[0:1]
	v_mov_b32_e32 v3, s15
	v_add_co_u32_e32 v2, vcc, s14, v31
	v_addc_co_u32_e32 v3, vcc, v32, v3, vcc
	v_cmp_gt_u64_e32 vcc, s[12:13], v[2:3]
	v_mov_b32_e32 v2, 0
	s_and_saveexec_b64 s[2:3], vcc
	s_cbranch_execz .LBB46_10
; %bb.9:                                ;   in Loop: Header=BB46_4 Depth=1
	v_mov_b32_e32 v2, s7
	v_add_co_u32_e64 v3, s[0:1], s6, v33
	v_addc_co_u32_e64 v4, s[0:1], v34, v2, s[0:1]
	v_add_co_u32_e64 v46, s[0:1], s6, v35
	v_addc_co_u32_e64 v47, s[0:1], v36, v2, s[0:1]
	global_load_dword v2, v[3:4], off
	global_load_dword v45, v[46:47], off
.LBB46_10:                              ;   in Loop: Header=BB46_4 Depth=1
	s_or_b64 exec, exec, s[2:3]
	v_mov_b32_e32 v48, 0
	v_mov_b32_e32 v47, 0
	s_and_saveexec_b64 s[0:1], vcc
	s_cbranch_execz .LBB46_12
; %bb.11:                               ;   in Loop: Header=BB46_4 Depth=1
	v_mov_b32_e32 v4, s7
	v_add_co_u32_e32 v3, vcc, s6, v37
	v_addc_co_u32_e32 v4, vcc, v38, v4, vcc
	global_load_dword v47, v[3:4], off
.LBB46_12:                              ;   in Loop: Header=BB46_4 Depth=1
	s_or_b64 exec, exec, s[0:1]
	v_mov_b32_e32 v4, s15
	v_add_co_u32_e32 v3, vcc, s14, v41
	v_addc_co_u32_e32 v4, vcc, v42, v4, vcc
	v_cmp_gt_u64_e32 vcc, s[12:13], v[3:4]
	v_mov_b32_e32 v3, 0
	s_and_saveexec_b64 s[2:3], vcc
	s_cbranch_execz .LBB46_14
; %bb.13:                               ;   in Loop: Header=BB46_4 Depth=1
	v_mov_b32_e32 v3, s7
	v_add_co_u32_e64 v49, s[0:1], s6, v15
	v_addc_co_u32_e64 v50, s[0:1], v16, v3, s[0:1]
	v_add_co_u32_e64 v51, s[0:1], s6, v17
	v_addc_co_u32_e64 v52, s[0:1], v18, v3, s[0:1]
	global_load_dword v3, v[49:50], off
	global_load_dword v48, v[51:52], off
.LBB46_14:                              ;   in Loop: Header=BB46_4 Depth=1
	s_or_b64 exec, exec, s[2:3]
	v_mov_b32_e32 v46, 0
	v_mov_b32_e32 v49, 0
	s_and_saveexec_b64 s[0:1], vcc
	s_cbranch_execz .LBB46_16
; %bb.15:                               ;   in Loop: Header=BB46_4 Depth=1
	v_mov_b32_e32 v4, s7
	v_add_co_u32_e32 v49, vcc, s6, v19
	v_addc_co_u32_e32 v50, vcc, v20, v4, vcc
	global_load_dword v49, v[49:50], off
.LBB46_16:                              ;   in Loop: Header=BB46_4 Depth=1
	s_or_b64 exec, exec, s[0:1]
	v_mov_b32_e32 v4, s15
	v_add_co_u32_e32 v50, vcc, s14, v39
	v_addc_co_u32_e32 v51, vcc, v40, v4, vcc
	v_cmp_gt_u64_e32 vcc, s[12:13], v[50:51]
	v_mov_b32_e32 v4, 0
	s_and_saveexec_b64 s[0:1], vcc
	s_cbranch_execz .LBB46_3
; %bb.17:                               ;   in Loop: Header=BB46_4 Depth=1
	v_mov_b32_e32 v4, s7
	v_add_co_u32_e32 v50, vcc, s6, v7
	v_addc_co_u32_e32 v51, vcc, v8, v4, vcc
	v_add_co_u32_e32 v52, vcc, s6, v9
	v_addc_co_u32_e32 v53, vcc, v10, v4, vcc
	global_load_dword v4, v[50:51], off
	global_load_dword v46, v[52:53], off
	s_branch .LBB46_3
.LBB46_18:
	s_mov_b64 s[10:11], 0
.LBB46_19:
	s_andn2_b64 vcc, exec, s[10:11]
	s_cbranch_vccnz .LBB46_23
; %bb.20:
	v_mov_b32_e32 v1, 0x10000
	v_mov_b32_e32 v2, 0
	v_cmp_lt_i64_e32 vcc, s[8:9], v[1:2]
	v_mov_b32_e32 v2, 0
	s_and_b64 s[0:1], vcc, exec
	s_cselect_b32 s9, s9, 0
	s_cselect_b32 s8, s8, 0x10000
	v_lshlrev_b32_e32 v1, 2, v0
	v_cmp_gt_i64_e32 vcc, s[8:9], v[1:2]
	s_and_saveexec_b64 s[0:1], vcc
	s_cbranch_execz .LBB46_23
; %bb.21:
	s_load_dword s0, s[4:5], 0xbfc
	v_mov_b32_e32 v1, v2
	v_lshlrev_b32_e32 v2, 4, v0
	s_mov_b64 s[10:11], 0
	s_waitcnt lgkmcnt(0)
	s_and_b32 s12, s0, 0xffff
	s_lshl_b32 s13, s12, 4
.LBB46_22:                              ; =>This Inner Loop Header: Depth=1
	v_add_co_u32_e64 v0, s[4:5], s12, v0
	v_mov_b32_e32 v4, s22
	v_add_co_u32_e32 v15, vcc, s21, v2
	v_addc_co_u32_e64 v1, s[4:5], 0, v1, s[4:5]
	v_mov_b32_e32 v3, s20
	v_mov_b32_e32 v5, s24
	v_add_co_u32_e64 v17, s[0:1], s23, v2
	v_mov_b32_e32 v6, s26
	v_add_co_u32_e64 v19, s[2:3], s25, v2
	v_add_co_u32_e64 v21, s[4:5], s19, v2
	v_addc_co_u32_e32 v16, vcc, 0, v4, vcc
	v_addc_co_u32_e64 v22, s[4:5], 0, v3, s[4:5]
	v_addc_co_u32_e64 v18, vcc, 0, v5, s[0:1]
	v_addc_co_u32_e64 v20, vcc, 0, v6, s[2:3]
	global_load_dwordx4 v[3:6], v[15:16], off
	global_load_dwordx4 v[7:10], v[17:18], off
	;; [unrolled: 1-line block ×3, first 2 shown]
	v_lshlrev_b64 v[23:24], 2, v[0:1]
	s_add_u32 s25, s25, s13
	v_cmp_le_i64_e32 vcc, s[8:9], v[23:24]
	s_addc_u32 s26, s26, 0
	s_add_u32 s19, s19, s13
	s_addc_u32 s20, s20, 0
	s_add_u32 s23, s23, s13
	;; [unrolled: 2-line block ×3, first 2 shown]
	s_addc_u32 s22, s22, 0
	s_or_b64 s[10:11], vcc, s[10:11]
	s_waitcnt vmcnt(2)
	v_sub_u32_e32 v22, 0, v4
	s_waitcnt vmcnt(1)
	v_sub_u32_e32 v18, 0, v7
	v_xor_b32_e32 v16, v3, v7
	v_sub_u32_e32 v23, 0, v8
	v_max_i32_e32 v7, v7, v18
	v_xor_b32_e32 v21, v4, v8
	v_xor_b32_e32 v24, v5, v9
	v_sub_u32_e32 v26, 0, v9
	v_max_i32_e32 v4, v4, v22
	v_max_i32_e32 v8, v8, v23
	v_cvt_f32_u32_e32 v22, v7
	v_sub_u32_e32 v29, 0, v10
	v_ashrrev_i32_e32 v18, 31, v24
	v_max_i32_e32 v9, v9, v26
	v_cvt_f32_u32_e32 v24, v8
	v_xor_b32_e32 v27, v6, v10
	v_sub_u32_e32 v28, 0, v6
	v_max_i32_e32 v10, v10, v29
	v_cvt_f32_u32_e32 v26, v9
	v_max_i32_e32 v6, v6, v28
	v_cvt_f32_u32_e32 v28, v10
	v_rcp_iflag_f32_e32 v22, v22
	v_rcp_iflag_f32_e32 v24, v24
	;; [unrolled: 1-line block ×4, first 2 shown]
	v_mul_f32_e32 v22, 0x4f7ffffe, v22
	v_mul_f32_e32 v24, 0x4f7ffffe, v24
	v_cvt_u32_f32_e32 v22, v22
	v_mul_f32_e32 v26, 0x4f7ffffe, v26
	v_cvt_u32_f32_e32 v24, v24
	;; [unrolled: 2-line block ×3, first 2 shown]
	v_sub_u32_e32 v25, 0, v5
	v_sub_u32_e32 v23, 0, v7
	v_cvt_u32_f32_e32 v28, v28
	v_sub_u32_e32 v17, 0, v3
	v_max_i32_e32 v5, v5, v25
	v_sub_u32_e32 v25, 0, v8
	v_mul_lo_u32 v23, v23, v22
	v_max_i32_e32 v3, v3, v17
	v_ashrrev_i32_e32 v17, 31, v21
	v_ashrrev_i32_e32 v21, 31, v27
	v_sub_u32_e32 v27, 0, v9
	v_mul_lo_u32 v25, v25, v24
	v_sub_u32_e32 v29, 0, v10
	v_mul_lo_u32 v27, v27, v26
	v_mul_lo_u32 v29, v29, v28
	v_mul_hi_u32 v23, v22, v23
	v_mul_hi_u32 v25, v24, v25
	;; [unrolled: 1-line block ×4, first 2 shown]
	v_add_u32_e32 v22, v22, v23
	v_add_u32_e32 v23, v24, v25
	v_mul_hi_u32 v22, v3, v22
	v_add_u32_e32 v24, v26, v27
	v_mul_hi_u32 v23, v4, v23
	;; [unrolled: 2-line block ×3, first 2 shown]
	v_mul_hi_u32 v25, v6, v25
	v_mul_lo_u32 v26, v22, v7
	v_mul_lo_u32 v28, v23, v8
	;; [unrolled: 1-line block ×4, first 2 shown]
	v_sub_u32_e32 v3, v3, v26
	v_add_u32_e32 v27, 1, v22
	v_sub_u32_e32 v4, v4, v28
	v_cmp_ge_u32_e64 s[0:1], v3, v7
	v_sub_u32_e32 v26, v3, v7
	v_add_u32_e32 v29, 1, v23
	v_sub_u32_e32 v5, v5, v30
	v_cndmask_b32_e64 v22, v22, v27, s[0:1]
	v_cmp_ge_u32_e64 s[2:3], v4, v8
	v_sub_u32_e32 v27, v4, v8
	v_cndmask_b32_e64 v3, v3, v26, s[0:1]
	v_add_u32_e32 v31, 1, v24
	v_sub_u32_e32 v6, v6, v32
	v_cndmask_b32_e64 v23, v23, v29, s[2:3]
	v_cmp_ge_u32_e64 s[4:5], v5, v9
	v_sub_u32_e32 v28, v5, v9
	v_add_u32_e32 v26, 1, v22
	v_cndmask_b32_e64 v4, v4, v27, s[2:3]
	v_cmp_ge_u32_e64 s[0:1], v3, v7
	v_add_u32_e32 v33, 1, v25
	v_cndmask_b32_e64 v24, v24, v31, s[4:5]
	v_cmp_ge_u32_e64 s[6:7], v6, v10
	v_sub_u32_e32 v29, v6, v10
	v_add_u32_e32 v27, 1, v23
	v_cndmask_b32_e64 v5, v5, v28, s[4:5]
	v_cndmask_b32_e64 v3, v22, v26, s[0:1]
	v_cmp_ge_u32_e64 s[0:1], v4, v8
	v_cndmask_b32_e64 v25, v25, v33, s[6:7]
	v_add_u32_e32 v28, 1, v24
	v_cndmask_b32_e64 v6, v6, v29, s[6:7]
	v_cndmask_b32_e64 v4, v23, v27, s[0:1]
	v_cmp_ge_u32_e64 s[0:1], v5, v9
	v_ashrrev_i32_e32 v16, 31, v16
	v_add_u32_e32 v29, 1, v25
	v_cndmask_b32_e64 v5, v24, v28, s[0:1]
	v_cmp_ge_u32_e64 s[0:1], v6, v10
	v_cndmask_b32_e64 v6, v25, v29, s[0:1]
	v_xor_b32_e32 v3, v3, v16
	v_xor_b32_e32 v4, v4, v17
	;; [unrolled: 1-line block ×4, first 2 shown]
	v_sub_u32_e32 v3, v3, v16
	s_waitcnt vmcnt(0)
	v_mov_b32_e32 v15, v14
	v_sub_u32_e32 v9, v4, v17
	v_sub_u32_e32 v10, v5, v18
	;; [unrolled: 1-line block ×3, first 2 shown]
	v_mad_u64_u32 v[3:4], s[0:1], v3, s18, v[11:12]
	v_mad_u64_u32 v[7:8], s[0:1], v5, s18, v[15:16]
	;; [unrolled: 1-line block ×4, first 2 shown]
	v_mov_b32_e32 v6, v7
	global_store_dwordx4 v[19:20], v[3:6], off
	s_andn2_b64 exec, exec, s[10:11]
	s_cbranch_execnz .LBB46_22
.LBB46_23:
	s_endpgm
	.section	.rodata,"a",@progbits
	.p2align	6, 0x0
	.amdhsa_kernel _ZN2at6native12_GLOBAL__N_125multi_tensor_apply_kernelINS1_18TensorListMetadataILi4EEENS1_24PointwiseOpScalarFunctorIiLi4ELi3ELi3EEEJSt7dividesIiEiEEEvT_T0_DpT1_
		.amdhsa_group_segment_fixed_size 0
		.amdhsa_private_segment_fixed_size 0
		.amdhsa_kernarg_size 3312
		.amdhsa_user_sgpr_count 6
		.amdhsa_user_sgpr_private_segment_buffer 1
		.amdhsa_user_sgpr_dispatch_ptr 0
		.amdhsa_user_sgpr_queue_ptr 0
		.amdhsa_user_sgpr_kernarg_segment_ptr 1
		.amdhsa_user_sgpr_dispatch_id 0
		.amdhsa_user_sgpr_flat_scratch_init 0
		.amdhsa_user_sgpr_private_segment_size 0
		.amdhsa_uses_dynamic_stack 0
		.amdhsa_system_sgpr_private_segment_wavefront_offset 0
		.amdhsa_system_sgpr_workgroup_id_x 1
		.amdhsa_system_sgpr_workgroup_id_y 0
		.amdhsa_system_sgpr_workgroup_id_z 0
		.amdhsa_system_sgpr_workgroup_info 0
		.amdhsa_system_vgpr_workitem_id 0
		.amdhsa_next_free_vgpr 63
		.amdhsa_next_free_sgpr 36
		.amdhsa_reserve_vcc 1
		.amdhsa_reserve_flat_scratch 0
		.amdhsa_float_round_mode_32 0
		.amdhsa_float_round_mode_16_64 0
		.amdhsa_float_denorm_mode_32 3
		.amdhsa_float_denorm_mode_16_64 3
		.amdhsa_dx10_clamp 1
		.amdhsa_ieee_mode 1
		.amdhsa_fp16_overflow 0
		.amdhsa_exception_fp_ieee_invalid_op 0
		.amdhsa_exception_fp_denorm_src 0
		.amdhsa_exception_fp_ieee_div_zero 0
		.amdhsa_exception_fp_ieee_overflow 0
		.amdhsa_exception_fp_ieee_underflow 0
		.amdhsa_exception_fp_ieee_inexact 0
		.amdhsa_exception_int_div_zero 0
	.end_amdhsa_kernel
	.section	.text._ZN2at6native12_GLOBAL__N_125multi_tensor_apply_kernelINS1_18TensorListMetadataILi4EEENS1_24PointwiseOpScalarFunctorIiLi4ELi3ELi3EEEJSt7dividesIiEiEEEvT_T0_DpT1_,"axG",@progbits,_ZN2at6native12_GLOBAL__N_125multi_tensor_apply_kernelINS1_18TensorListMetadataILi4EEENS1_24PointwiseOpScalarFunctorIiLi4ELi3ELi3EEEJSt7dividesIiEiEEEvT_T0_DpT1_,comdat
.Lfunc_end46:
	.size	_ZN2at6native12_GLOBAL__N_125multi_tensor_apply_kernelINS1_18TensorListMetadataILi4EEENS1_24PointwiseOpScalarFunctorIiLi4ELi3ELi3EEEJSt7dividesIiEiEEEvT_T0_DpT1_, .Lfunc_end46-_ZN2at6native12_GLOBAL__N_125multi_tensor_apply_kernelINS1_18TensorListMetadataILi4EEENS1_24PointwiseOpScalarFunctorIiLi4ELi3ELi3EEEJSt7dividesIiEiEEEvT_T0_DpT1_
                                        ; -- End function
	.set _ZN2at6native12_GLOBAL__N_125multi_tensor_apply_kernelINS1_18TensorListMetadataILi4EEENS1_24PointwiseOpScalarFunctorIiLi4ELi3ELi3EEEJSt7dividesIiEiEEEvT_T0_DpT1_.num_vgpr, 63
	.set _ZN2at6native12_GLOBAL__N_125multi_tensor_apply_kernelINS1_18TensorListMetadataILi4EEENS1_24PointwiseOpScalarFunctorIiLi4ELi3ELi3EEEJSt7dividesIiEiEEEvT_T0_DpT1_.num_agpr, 0
	.set _ZN2at6native12_GLOBAL__N_125multi_tensor_apply_kernelINS1_18TensorListMetadataILi4EEENS1_24PointwiseOpScalarFunctorIiLi4ELi3ELi3EEEJSt7dividesIiEiEEEvT_T0_DpT1_.numbered_sgpr, 36
	.set _ZN2at6native12_GLOBAL__N_125multi_tensor_apply_kernelINS1_18TensorListMetadataILi4EEENS1_24PointwiseOpScalarFunctorIiLi4ELi3ELi3EEEJSt7dividesIiEiEEEvT_T0_DpT1_.num_named_barrier, 0
	.set _ZN2at6native12_GLOBAL__N_125multi_tensor_apply_kernelINS1_18TensorListMetadataILi4EEENS1_24PointwiseOpScalarFunctorIiLi4ELi3ELi3EEEJSt7dividesIiEiEEEvT_T0_DpT1_.private_seg_size, 0
	.set _ZN2at6native12_GLOBAL__N_125multi_tensor_apply_kernelINS1_18TensorListMetadataILi4EEENS1_24PointwiseOpScalarFunctorIiLi4ELi3ELi3EEEJSt7dividesIiEiEEEvT_T0_DpT1_.uses_vcc, 1
	.set _ZN2at6native12_GLOBAL__N_125multi_tensor_apply_kernelINS1_18TensorListMetadataILi4EEENS1_24PointwiseOpScalarFunctorIiLi4ELi3ELi3EEEJSt7dividesIiEiEEEvT_T0_DpT1_.uses_flat_scratch, 0
	.set _ZN2at6native12_GLOBAL__N_125multi_tensor_apply_kernelINS1_18TensorListMetadataILi4EEENS1_24PointwiseOpScalarFunctorIiLi4ELi3ELi3EEEJSt7dividesIiEiEEEvT_T0_DpT1_.has_dyn_sized_stack, 0
	.set _ZN2at6native12_GLOBAL__N_125multi_tensor_apply_kernelINS1_18TensorListMetadataILi4EEENS1_24PointwiseOpScalarFunctorIiLi4ELi3ELi3EEEJSt7dividesIiEiEEEvT_T0_DpT1_.has_recursion, 0
	.set _ZN2at6native12_GLOBAL__N_125multi_tensor_apply_kernelINS1_18TensorListMetadataILi4EEENS1_24PointwiseOpScalarFunctorIiLi4ELi3ELi3EEEJSt7dividesIiEiEEEvT_T0_DpT1_.has_indirect_call, 0
	.section	.AMDGPU.csdata,"",@progbits
; Kernel info:
; codeLenInByte = 2820
; TotalNumSgprs: 40
; NumVgprs: 63
; ScratchSize: 0
; MemoryBound: 0
; FloatMode: 240
; IeeeMode: 1
; LDSByteSize: 0 bytes/workgroup (compile time only)
; SGPRBlocks: 4
; VGPRBlocks: 15
; NumSGPRsForWavesPerEU: 40
; NumVGPRsForWavesPerEU: 63
; Occupancy: 4
; WaveLimiterHint : 0
; COMPUTE_PGM_RSRC2:SCRATCH_EN: 0
; COMPUTE_PGM_RSRC2:USER_SGPR: 6
; COMPUTE_PGM_RSRC2:TRAP_HANDLER: 0
; COMPUTE_PGM_RSRC2:TGID_X_EN: 1
; COMPUTE_PGM_RSRC2:TGID_Y_EN: 0
; COMPUTE_PGM_RSRC2:TGID_Z_EN: 0
; COMPUTE_PGM_RSRC2:TIDIG_COMP_CNT: 0
	.section	.text._ZN2at6native12_GLOBAL__N_125multi_tensor_apply_kernelINS1_18TensorListMetadataILi4EEENS1_24PointwiseOpScalarFunctorIlLi4ELi3ELi3EEEJSt7dividesIlElEEEvT_T0_DpT1_,"axG",@progbits,_ZN2at6native12_GLOBAL__N_125multi_tensor_apply_kernelINS1_18TensorListMetadataILi4EEENS1_24PointwiseOpScalarFunctorIlLi4ELi3ELi3EEEJSt7dividesIlElEEEvT_T0_DpT1_,comdat
	.globl	_ZN2at6native12_GLOBAL__N_125multi_tensor_apply_kernelINS1_18TensorListMetadataILi4EEENS1_24PointwiseOpScalarFunctorIlLi4ELi3ELi3EEEJSt7dividesIlElEEEvT_T0_DpT1_ ; -- Begin function _ZN2at6native12_GLOBAL__N_125multi_tensor_apply_kernelINS1_18TensorListMetadataILi4EEENS1_24PointwiseOpScalarFunctorIlLi4ELi3ELi3EEEJSt7dividesIlElEEEvT_T0_DpT1_
	.p2align	8
	.type	_ZN2at6native12_GLOBAL__N_125multi_tensor_apply_kernelINS1_18TensorListMetadataILi4EEENS1_24PointwiseOpScalarFunctorIlLi4ELi3ELi3EEEJSt7dividesIlElEEEvT_T0_DpT1_,@function
_ZN2at6native12_GLOBAL__N_125multi_tensor_apply_kernelINS1_18TensorListMetadataILi4EEENS1_24PointwiseOpScalarFunctorIlLi4ELi3ELi3EEEJSt7dividesIlElEEEvT_T0_DpT1_: ; @_ZN2at6native12_GLOBAL__N_125multi_tensor_apply_kernelINS1_18TensorListMetadataILi4EEENS1_24PointwiseOpScalarFunctorIlLi4ELi3ELi3EEEJSt7dividesIlElEEEvT_T0_DpT1_
; %bb.0:
	v_mov_b32_e32 v1, s6
	global_load_ubyte v1, v1, s[4:5] offset:1440
	s_add_u32 s0, s4, s6
	s_mul_hi_u32 s1, s6, 3
	s_mul_i32 s6, s6, 3
	s_addc_u32 s2, s5, 0
	s_add_u32 s0, s0, s6
	s_addc_u32 s1, s2, s1
	s_load_dword s8, s[0:1], 0x6e0
	s_mov_b32 s11, 0
	s_mov_b32 s13, s11
	;; [unrolled: 1-line block ×3, first 2 shown]
	s_waitcnt lgkmcnt(0)
	s_ashr_i32 s9, s8, 31
	s_lshl_b64 s[6:7], s[8:9], 19
	s_waitcnt vmcnt(0)
	v_readfirstlane_b32 s0, v1
	s_lshl_b32 s10, s0, 3
	s_load_dwordx2 s[16:17], s[4:5], s10 offset:0x0
	s_load_dwordx2 s[2:3], s[4:5], 0xbf0
	s_load_dwordx2 s[30:31], s[4:5], s10 offset:0x480
	s_load_dwordx2 s[14:15], s[4:5], s10 offset:0x120
	;; [unrolled: 1-line block ×4, first 2 shown]
	s_waitcnt lgkmcnt(0)
	s_add_u32 s20, s16, s6
	s_addc_u32 s21, s17, s7
	s_and_b32 s10, s20, 31
	s_add_u32 s22, s14, s6
	s_addc_u32 s23, s15, s7
	s_and_b32 s12, s22, 31
	s_cmp_eq_u64 s[12:13], 0
	s_cselect_b64 s[12:13], -1, 0
	s_add_u32 s24, s0, s6
	s_addc_u32 s25, s1, s7
	s_add_u32 s26, s18, s6
	s_addc_u32 s27, s19, s7
	s_or_b32 s28, s26, s24
	s_and_b32 s28, s28, 31
	s_cmp_eq_u32 s28, 0
	s_cselect_b64 s[34:35], -1, 0
	s_lshl_b64 s[8:9], s[8:9], 16
	s_and_b64 s[12:13], s[34:35], s[12:13]
	s_sub_u32 s8, s30, s8
	s_subb_u32 s9, s31, s9
	s_and_b32 s28, s30, 3
	s_or_b64 s[10:11], s[10:11], s[28:29]
	s_cmp_eq_u64 s[10:11], 0
	s_cselect_b64 s[10:11], -1, 0
	s_and_b64 s[12:13], s[12:13], s[10:11]
	s_mov_b64 s[10:11], -1
	s_and_b64 vcc, exec, s[12:13]
	s_cbranch_vccnz .LBB47_35
; %bb.1:
	v_cmp_lt_i64_e64 s[10:11], s[8:9], 1
	s_and_b64 vcc, exec, s[10:11]
	s_cbranch_vccnz .LBB47_34
; %bb.2:
	v_mov_b32_e32 v2, 0x10000
	s_load_dword s12, s[4:5], 0xc04
	v_mov_b32_e32 v3, 0
	v_cmp_lt_i64_e32 vcc, s[8:9], v[2:3]
	v_mov_b32_e32 v1, 0
	s_and_b64 s[10:11], vcc, exec
	s_cselect_b32 s11, s9, 0
	s_cselect_b32 s10, s8, 0x10000
	v_cmp_lt_u64_e32 vcc, s[8:9], v[2:3]
	s_waitcnt lgkmcnt(0)
	s_and_b32 s33, s12, 0xffff
	v_lshlrev_b32_e32 v2, 3, v0
	v_mov_b32_e32 v3, v1
	v_mad_u64_u32 v[3:4], s[30:31], s33, 24, v[2:3]
	s_and_b64 s[12:13], vcc, exec
	v_mov_b32_e32 v7, s19
	v_add_co_u32_e32 v29, vcc, s18, v3
	v_addc_co_u32_e32 v30, vcc, v7, v4, vcc
	v_mov_b32_e32 v7, s17
	v_add_co_u32_e32 v31, vcc, s16, v3
	v_addc_co_u32_e32 v32, vcc, v7, v4, vcc
	;; [unrolled: 3-line block ×3, first 2 shown]
	s_cselect_b32 s13, s9, 0
	s_cselect_b32 s12, s8, 0x10000
	s_lshl_b32 s34, s33, 1
	s_lshl_b32 s28, s33, 2
	;; [unrolled: 1-line block ×3, first 2 shown]
	v_mov_b32_e32 v7, s1
	v_add_co_u32_e32 v35, vcc, s0, v3
	s_lshl_b32 s30, s33, 4
	s_lshl_b32 s31, s33, 3
	v_addc_co_u32_e32 v36, vcc, v7, v4, vcc
	s_add_u32 s35, s18, s31
	s_addc_u32 s31, s19, 0
	v_add_co_u32_e32 v8, vcc, s30, v2
	v_mov_b32_e32 v4, s31
	v_addc_co_u32_e64 v9, s[30:31], 0, 0, vcc
	v_mov_b32_e32 v10, s19
	v_add_co_u32_e32 v37, vcc, s18, v8
	v_addc_co_u32_e32 v38, vcc, v10, v9, vcc
	v_mov_b32_e32 v10, s17
	v_add_co_u32_e32 v39, vcc, s16, v8
	v_addc_co_u32_e32 v40, vcc, v10, v9, vcc
	;; [unrolled: 3-line block ×7, first 2 shown]
	v_add_co_u32_e32 v51, vcc, s35, v2
	v_addc_co_u32_e32 v52, vcc, 0, v4, vcc
	v_mov_b32_e32 v7, s19
	v_add_co_u32_e32 v53, vcc, s18, v2
	v_addc_co_u32_e32 v54, vcc, 0, v7, vcc
	v_add_co_u32_e32 v55, vcc, s33, v0
	v_lshlrev_b32_e32 v2, 3, v55
	v_addc_co_u32_e64 v56, s[18:19], 0, 0, vcc
	v_mov_b32_e32 v3, s17
	v_add_co_u32_e32 v57, vcc, s16, v2
	v_addc_co_u32_e32 v58, vcc, 0, v3, vcc
	v_mov_b32_e32 v3, s15
	v_add_co_u32_e32 v59, vcc, s14, v2
	v_addc_co_u32_e32 v60, vcc, 0, v3, vcc
	v_mov_b32_e32 v3, s1
	v_add_co_u32_e32 v61, vcc, s0, v2
	s_mul_i32 s30, s33, 3
	v_addc_co_u32_e32 v62, vcc, 0, v3, vcc
	v_add_co_u32_e32 v63, vcc, s30, v0
	v_addc_co_u32_e64 v64, s[0:1], 0, 0, vcc
	v_add_co_u32_e32 v65, vcc, s34, v0
	s_mov_b64 s[14:15], 0
	v_addc_co_u32_e64 v66, s[0:1], 0, 0, vcc
	s_branch .LBB47_4
.LBB47_3:                               ;   in Loop: Header=BB47_4 Depth=1
	s_or_b64 exec, exec, s[0:1]
	v_mad_u64_u32 v[7:8], s[0:1], v23, s2, v[13:14]
	v_mul_lo_u32 v2, v23, s3
	v_mul_lo_u32 v11, v24, s2
	v_mad_u64_u32 v[5:6], s[0:1], v15, s2, v[5:6]
	v_mul_lo_u32 v15, v15, s3
	v_add3_u32 v8, v11, v8, v2
	v_mad_u64_u32 v[2:3], s[0:1], v17, s2, v[3:4]
	v_mul_lo_u32 v4, v17, s3
	v_mul_lo_u32 v17, v18, s2
	v_mul_lo_u32 v16, v16, s2
	v_mov_b32_e32 v13, s7
	v_add_co_u32_e32 v11, vcc, s6, v53
	v_mad_u64_u32 v[9:10], s[0:1], v21, s2, v[9:10]
	v_mul_lo_u32 v14, v21, s3
	v_mul_lo_u32 v19, v22, s2
	v_addc_co_u32_e32 v12, vcc, v54, v13, vcc
	v_add3_u32 v3, v17, v3, v4
	global_store_dwordx2 v[11:12], v[2:3], off
	v_add_co_u32_e32 v2, vcc, s6, v51
	v_add3_u32 v6, v16, v6, v15
	v_addc_co_u32_e32 v3, vcc, v52, v13, vcc
	global_store_dwordx2 v[2:3], v[5:6], off
	v_add_co_u32_e32 v2, vcc, s6, v37
	v_add3_u32 v10, v19, v10, v14
	v_addc_co_u32_e32 v3, vcc, v38, v13, vcc
	global_store_dwordx2 v[2:3], v[9:10], off
	v_add_co_u32_e32 v2, vcc, s6, v29
	v_addc_co_u32_e32 v3, vcc, v30, v13, vcc
	v_add_co_u32_e32 v45, vcc, s29, v45
	v_addc_co_u32_e32 v46, vcc, 0, v46, vcc
	;; [unrolled: 2-line block ×15, first 2 shown]
	global_store_dwordx2 v[2:3], v[7:8], off
	s_add_u32 s14, s14, s28
	v_add_co_u32_e32 v59, vcc, s29, v59
	v_mov_b32_e32 v2, s10
	s_addc_u32 s15, s15, 0
	v_addc_co_u32_e32 v60, vcc, 0, v60, vcc
	v_mov_b32_e32 v3, s11
	v_cmp_lt_i64_e32 vcc, s[14:15], v[2:3]
	v_add_co_u32_e64 v61, s[0:1], s29, v61
	v_addc_co_u32_e64 v62, s[0:1], 0, v62, s[0:1]
	s_cbranch_vccz .LBB47_34
.LBB47_4:                               ; =>This Inner Loop Header: Depth=1
	v_mov_b32_e32 v3, s15
	v_add_co_u32_e32 v2, vcc, s14, v0
	v_addc_co_u32_e32 v3, vcc, 0, v3, vcc
	v_cmp_gt_u64_e32 vcc, s[12:13], v[2:3]
	v_mov_b32_e32 v11, 0
	v_mov_b32_e32 v7, 0
	;; [unrolled: 1-line block ×6, first 2 shown]
	s_and_saveexec_b64 s[16:17], vcc
	s_cbranch_execz .LBB47_6
; %bb.5:                                ;   in Loop: Header=BB47_4 Depth=1
	v_mov_b32_e32 v2, s7
	v_add_co_u32_e64 v5, s[0:1], s6, v45
	v_addc_co_u32_e64 v6, s[0:1], v46, v2, s[0:1]
	v_add_co_u32_e64 v9, s[0:1], s6, v47
	v_addc_co_u32_e64 v10, s[0:1], v48, v2, s[0:1]
	global_load_dwordx2 v[3:4], v[5:6], off
	global_load_dwordx2 v[7:8], v[9:10], off
.LBB47_6:                               ;   in Loop: Header=BB47_4 Depth=1
	s_or_b64 exec, exec, s[16:17]
	s_and_saveexec_b64 s[0:1], vcc
	s_cbranch_execz .LBB47_8
; %bb.7:                                ;   in Loop: Header=BB47_4 Depth=1
	v_mov_b32_e32 v2, s7
	v_add_co_u32_e32 v5, vcc, s6, v49
	v_addc_co_u32_e32 v6, vcc, v50, v2, vcc
	global_load_dwordx2 v[11:12], v[5:6], off
.LBB47_8:                               ;   in Loop: Header=BB47_4 Depth=1
	s_or_b64 exec, exec, s[0:1]
	v_mov_b32_e32 v2, s15
	v_add_co_u32_e32 v5, vcc, s14, v55
	v_addc_co_u32_e32 v6, vcc, v56, v2, vcc
	v_cmp_gt_u64_e32 vcc, s[12:13], v[5:6]
	v_mov_b32_e32 v27, 0
	v_mov_b32_e32 v21, 0
	;; [unrolled: 1-line block ×6, first 2 shown]
	s_and_saveexec_b64 s[16:17], vcc
	s_cbranch_execz .LBB47_10
; %bb.9:                                ;   in Loop: Header=BB47_4 Depth=1
	v_mov_b32_e32 v2, s7
	v_add_co_u32_e64 v9, s[0:1], s6, v57
	v_addc_co_u32_e64 v10, s[0:1], v58, v2, s[0:1]
	v_add_co_u32_e64 v13, s[0:1], s6, v59
	v_addc_co_u32_e64 v14, s[0:1], v60, v2, s[0:1]
	global_load_dwordx2 v[5:6], v[9:10], off
	global_load_dwordx2 v[21:22], v[13:14], off
.LBB47_10:                              ;   in Loop: Header=BB47_4 Depth=1
	s_or_b64 exec, exec, s[16:17]
	s_and_saveexec_b64 s[0:1], vcc
	s_cbranch_execz .LBB47_12
; %bb.11:                               ;   in Loop: Header=BB47_4 Depth=1
	v_mov_b32_e32 v2, s7
	v_add_co_u32_e32 v9, vcc, s6, v61
	v_addc_co_u32_e32 v10, vcc, v62, v2, vcc
	global_load_dwordx2 v[27:28], v[9:10], off
.LBB47_12:                              ;   in Loop: Header=BB47_4 Depth=1
	s_or_b64 exec, exec, s[0:1]
	v_mov_b32_e32 v2, s15
	v_add_co_u32_e32 v9, vcc, s14, v65
	v_addc_co_u32_e32 v10, vcc, v66, v2, vcc
	v_cmp_gt_u64_e32 vcc, s[12:13], v[9:10]
	v_mov_b32_e32 v25, 0
	v_mov_b32_e32 v23, 0
	;; [unrolled: 1-line block ×6, first 2 shown]
	s_and_saveexec_b64 s[16:17], vcc
	s_cbranch_execz .LBB47_14
; %bb.13:                               ;   in Loop: Header=BB47_4 Depth=1
	v_mov_b32_e32 v2, s7
	v_add_co_u32_e64 v13, s[0:1], s6, v39
	v_addc_co_u32_e64 v14, s[0:1], v40, v2, s[0:1]
	v_add_co_u32_e64 v15, s[0:1], s6, v41
	v_addc_co_u32_e64 v16, s[0:1], v42, v2, s[0:1]
	global_load_dwordx2 v[9:10], v[13:14], off
	global_load_dwordx2 v[23:24], v[15:16], off
.LBB47_14:                              ;   in Loop: Header=BB47_4 Depth=1
	s_or_b64 exec, exec, s[16:17]
	s_and_saveexec_b64 s[0:1], vcc
	s_cbranch_execz .LBB47_16
; %bb.15:                               ;   in Loop: Header=BB47_4 Depth=1
	v_mov_b32_e32 v2, s7
	v_add_co_u32_e32 v13, vcc, s6, v43
	v_addc_co_u32_e32 v14, vcc, v44, v2, vcc
	global_load_dwordx2 v[25:26], v[13:14], off
.LBB47_16:                              ;   in Loop: Header=BB47_4 Depth=1
	s_or_b64 exec, exec, s[0:1]
	v_mov_b32_e32 v2, s15
	v_add_co_u32_e32 v13, vcc, s14, v63
	v_addc_co_u32_e32 v14, vcc, v64, v2, vcc
	v_cmp_gt_u64_e32 vcc, s[12:13], v[13:14]
	v_mov_b32_e32 v17, 0
	v_mov_b32_e32 v13, 0
	;; [unrolled: 1-line block ×4, first 2 shown]
	s_and_saveexec_b64 s[0:1], vcc
	s_cbranch_execz .LBB47_18
; %bb.17:                               ;   in Loop: Header=BB47_4 Depth=1
	v_mov_b32_e32 v2, s7
	v_add_co_u32_e32 v13, vcc, s6, v31
	v_addc_co_u32_e32 v14, vcc, v32, v2, vcc
	v_add_co_u32_e32 v15, vcc, s6, v33
	v_addc_co_u32_e32 v16, vcc, v34, v2, vcc
	global_load_dwordx2 v[13:14], v[13:14], off
	s_nop 0
	global_load_dwordx2 v[17:18], v[15:16], off
.LBB47_18:                              ;   in Loop: Header=BB47_4 Depth=1
	s_or_b64 exec, exec, s[0:1]
	v_mov_b32_e32 v2, s7
	v_add_co_u32_e32 v15, vcc, s6, v35
	v_addc_co_u32_e32 v16, vcc, v36, v2, vcc
	global_load_dwordx2 v[19:20], v[15:16], off
	s_waitcnt vmcnt(1)
	v_or_b32_e32 v2, v22, v28
	v_cmp_ne_u64_e32 vcc, 0, v[1:2]
                                        ; implicit-def: $vgpr15_vgpr16
	s_and_saveexec_b64 s[0:1], vcc
	s_xor_b64 s[16:17], exec, s[0:1]
	s_cbranch_execz .LBB47_20
; %bb.19:                               ;   in Loop: Header=BB47_4 Depth=1
	v_ashrrev_i32_e32 v2, 31, v28
	v_add_co_u32_e32 v15, vcc, v27, v2
	v_addc_co_u32_e32 v16, vcc, v28, v2, vcc
	v_xor_b32_e32 v69, v16, v2
	v_xor_b32_e32 v70, v15, v2
	v_cvt_f32_u32_e32 v15, v70
	v_cvt_f32_u32_e32 v16, v69
	v_sub_co_u32_e32 v68, vcc, 0, v70
	v_subb_co_u32_e32 v71, vcc, 0, v69, vcc
	v_mac_f32_e32 v15, 0x4f800000, v16
	v_rcp_f32_e32 v15, v15
	v_mul_f32_e32 v15, 0x5f7ffffc, v15
	v_mul_f32_e32 v16, 0x2f800000, v15
	v_trunc_f32_e32 v16, v16
	v_mac_f32_e32 v15, 0xcf800000, v16
	v_cvt_u32_f32_e32 v67, v15
	v_cvt_u32_f32_e32 v72, v16
	v_mul_lo_u32 v27, v71, v67
	v_mad_u64_u32 v[15:16], s[0:1], v68, v67, 0
	v_mul_lo_u32 v28, v68, v72
	v_add3_u32 v73, v16, v28, v27
	v_mad_u64_u32 v[27:28], s[0:1], v67, v73, 0
	v_mul_hi_u32 v16, v67, v15
	v_add_co_u32_e32 v74, vcc, v16, v27
	v_mad_u64_u32 v[15:16], s[0:1], v72, v15, 0
	v_addc_co_u32_e32 v75, vcc, 0, v28, vcc
	v_mad_u64_u32 v[27:28], s[0:1], v72, v73, 0
	v_add_co_u32_e32 v15, vcc, v74, v15
	v_addc_co_u32_e32 v15, vcc, v75, v16, vcc
	v_addc_co_u32_e32 v16, vcc, 0, v28, vcc
	v_add_co_u32_e32 v15, vcc, v15, v27
	v_addc_co_u32_e32 v16, vcc, 0, v16, vcc
	v_add_co_u32_e32 v73, vcc, v67, v15
	v_addc_co_u32_e32 v72, vcc, v72, v16, vcc
	v_mul_lo_u32 v27, v68, v72
	v_mul_lo_u32 v28, v71, v73
	v_mad_u64_u32 v[15:16], s[0:1], v68, v73, 0
	v_add3_u32 v16, v16, v27, v28
	v_mad_u64_u32 v[67:68], s[0:1], v73, v16, 0
	v_mul_hi_u32 v71, v73, v15
	v_mad_u64_u32 v[27:28], s[0:1], v72, v16, 0
	v_mad_u64_u32 v[15:16], s[0:1], v72, v15, 0
	v_add_co_u32_e32 v67, vcc, v71, v67
	v_addc_co_u32_e32 v68, vcc, 0, v68, vcc
	v_add_co_u32_e32 v15, vcc, v67, v15
	v_addc_co_u32_e32 v15, vcc, v68, v16, vcc
	v_addc_co_u32_e32 v16, vcc, 0, v28, vcc
	v_add_co_u32_e32 v15, vcc, v15, v27
	v_addc_co_u32_e32 v16, vcc, 0, v16, vcc
	v_add_co_u32_e32 v27, vcc, v73, v15
	v_addc_co_u32_e32 v28, vcc, v72, v16, vcc
	v_ashrrev_i32_e32 v67, 31, v22
	v_add_co_u32_e32 v15, vcc, v21, v67
	v_xor_b32_e32 v68, v15, v67
	v_addc_co_u32_e32 v21, vcc, v22, v67, vcc
	v_mad_u64_u32 v[15:16], s[0:1], v68, v28, 0
	v_mul_hi_u32 v22, v68, v27
	v_xor_b32_e32 v71, v21, v67
	v_xor_b32_e32 v2, v67, v2
	v_add_co_u32_e32 v72, vcc, v22, v15
	v_addc_co_u32_e32 v73, vcc, 0, v16, vcc
	v_mad_u64_u32 v[15:16], s[0:1], v71, v27, 0
	v_mad_u64_u32 v[21:22], s[0:1], v71, v28, 0
	v_add_co_u32_e32 v15, vcc, v72, v15
	v_addc_co_u32_e32 v15, vcc, v73, v16, vcc
	v_addc_co_u32_e32 v16, vcc, 0, v22, vcc
	v_add_co_u32_e32 v21, vcc, v15, v21
	v_addc_co_u32_e32 v22, vcc, 0, v16, vcc
	v_mul_lo_u32 v27, v69, v21
	v_mul_lo_u32 v28, v70, v22
	v_mad_u64_u32 v[15:16], s[0:1], v70, v21, 0
	v_add3_u32 v16, v16, v28, v27
	v_sub_u32_e32 v27, v71, v16
	v_sub_co_u32_e32 v15, vcc, v68, v15
	v_subb_co_u32_e64 v27, s[0:1], v27, v69, vcc
	v_sub_co_u32_e64 v28, s[0:1], v15, v70
	v_subbrev_co_u32_e64 v27, s[0:1], 0, v27, s[0:1]
	v_cmp_ge_u32_e64 s[0:1], v27, v69
	v_cndmask_b32_e64 v68, 0, -1, s[0:1]
	v_cmp_ge_u32_e64 s[0:1], v28, v70
	v_cndmask_b32_e64 v28, 0, -1, s[0:1]
	v_cmp_eq_u32_e64 s[0:1], v27, v69
	v_cndmask_b32_e64 v27, v68, v28, s[0:1]
	v_add_co_u32_e64 v28, s[0:1], 2, v21
	v_addc_co_u32_e64 v68, s[0:1], 0, v22, s[0:1]
	v_add_co_u32_e64 v72, s[0:1], 1, v21
	v_addc_co_u32_e64 v73, s[0:1], 0, v22, s[0:1]
	v_subb_co_u32_e32 v16, vcc, v71, v16, vcc
	v_cmp_ne_u32_e64 s[0:1], 0, v27
	v_cmp_ge_u32_e32 vcc, v16, v69
	v_cndmask_b32_e64 v27, v73, v68, s[0:1]
	v_cndmask_b32_e64 v68, 0, -1, vcc
	v_cmp_ge_u32_e32 vcc, v15, v70
	v_cndmask_b32_e64 v15, 0, -1, vcc
	v_cmp_eq_u32_e32 vcc, v16, v69
	v_cndmask_b32_e32 v15, v68, v15, vcc
	v_cmp_ne_u32_e32 vcc, 0, v15
	v_cndmask_b32_e64 v16, v72, v28, s[0:1]
	v_cndmask_b32_e32 v15, v22, v27, vcc
	v_cndmask_b32_e32 v16, v21, v16, vcc
	v_xor_b32_e32 v21, v15, v2
	v_xor_b32_e32 v15, v16, v2
	v_sub_co_u32_e32 v15, vcc, v15, v2
	v_subb_co_u32_e32 v16, vcc, v21, v2, vcc
                                        ; implicit-def: $vgpr27_vgpr28
                                        ; implicit-def: $vgpr21_vgpr22
.LBB47_20:                              ;   in Loop: Header=BB47_4 Depth=1
	s_andn2_saveexec_b64 s[0:1], s[16:17]
	s_cbranch_execz .LBB47_22
; %bb.21:                               ;   in Loop: Header=BB47_4 Depth=1
	v_cvt_f32_u32_e32 v2, v27
	v_sub_u32_e32 v15, 0, v27
	v_rcp_iflag_f32_e32 v2, v2
	v_mul_f32_e32 v2, 0x4f7ffffe, v2
	v_cvt_u32_f32_e32 v2, v2
	v_mul_lo_u32 v15, v15, v2
	v_mul_hi_u32 v15, v2, v15
	v_add_u32_e32 v2, v2, v15
	v_mul_hi_u32 v2, v21, v2
	v_mul_lo_u32 v15, v2, v27
	v_add_u32_e32 v16, 1, v2
	v_sub_u32_e32 v15, v21, v15
	v_sub_u32_e32 v21, v15, v27
	v_cmp_ge_u32_e32 vcc, v15, v27
	v_cndmask_b32_e32 v15, v15, v21, vcc
	v_cndmask_b32_e32 v2, v2, v16, vcc
	v_add_u32_e32 v16, 1, v2
	v_cmp_ge_u32_e32 vcc, v15, v27
	v_cndmask_b32_e32 v15, v2, v16, vcc
	v_mov_b32_e32 v16, v1
.LBB47_22:                              ;   in Loop: Header=BB47_4 Depth=1
	s_or_b64 exec, exec, s[0:1]
	v_or_b32_e32 v2, v24, v26
	v_cmp_ne_u64_e32 vcc, 0, v[1:2]
                                        ; implicit-def: $vgpr21_vgpr22
	s_and_saveexec_b64 s[0:1], vcc
	s_xor_b64 s[16:17], exec, s[0:1]
	s_cbranch_execz .LBB47_24
; %bb.23:                               ;   in Loop: Header=BB47_4 Depth=1
	v_ashrrev_i32_e32 v2, 31, v26
	v_add_co_u32_e32 v21, vcc, v25, v2
	v_addc_co_u32_e32 v22, vcc, v26, v2, vcc
	v_xor_b32_e32 v67, v22, v2
	v_xor_b32_e32 v68, v21, v2
	v_cvt_f32_u32_e32 v21, v68
	v_cvt_f32_u32_e32 v22, v67
	v_sub_co_u32_e32 v28, vcc, 0, v68
	v_subb_co_u32_e32 v69, vcc, 0, v67, vcc
	v_mac_f32_e32 v21, 0x4f800000, v22
	v_rcp_f32_e32 v21, v21
	v_mul_f32_e32 v21, 0x5f7ffffc, v21
	v_mul_f32_e32 v22, 0x2f800000, v21
	v_trunc_f32_e32 v22, v22
	v_mac_f32_e32 v21, 0xcf800000, v22
	v_cvt_u32_f32_e32 v27, v21
	v_cvt_u32_f32_e32 v70, v22
	v_mul_lo_u32 v25, v69, v27
	v_mad_u64_u32 v[21:22], s[0:1], v28, v27, 0
	v_mul_lo_u32 v26, v28, v70
	v_add3_u32 v71, v22, v26, v25
	v_mad_u64_u32 v[25:26], s[0:1], v27, v71, 0
	v_mul_hi_u32 v22, v27, v21
	v_add_co_u32_e32 v72, vcc, v22, v25
	v_mad_u64_u32 v[21:22], s[0:1], v70, v21, 0
	v_addc_co_u32_e32 v73, vcc, 0, v26, vcc
	v_mad_u64_u32 v[25:26], s[0:1], v70, v71, 0
	v_add_co_u32_e32 v21, vcc, v72, v21
	v_addc_co_u32_e32 v21, vcc, v73, v22, vcc
	v_addc_co_u32_e32 v22, vcc, 0, v26, vcc
	v_add_co_u32_e32 v21, vcc, v21, v25
	v_addc_co_u32_e32 v22, vcc, 0, v22, vcc
	v_add_co_u32_e32 v71, vcc, v27, v21
	v_addc_co_u32_e32 v70, vcc, v70, v22, vcc
	v_mul_lo_u32 v25, v28, v70
	v_mul_lo_u32 v26, v69, v71
	v_mad_u64_u32 v[21:22], s[0:1], v28, v71, 0
	v_add3_u32 v22, v22, v25, v26
	v_mad_u64_u32 v[27:28], s[0:1], v71, v22, 0
	v_mul_hi_u32 v69, v71, v21
	v_mad_u64_u32 v[25:26], s[0:1], v70, v22, 0
	v_mad_u64_u32 v[21:22], s[0:1], v70, v21, 0
	v_add_co_u32_e32 v27, vcc, v69, v27
	v_addc_co_u32_e32 v28, vcc, 0, v28, vcc
	v_add_co_u32_e32 v21, vcc, v27, v21
	v_addc_co_u32_e32 v21, vcc, v28, v22, vcc
	v_addc_co_u32_e32 v22, vcc, 0, v26, vcc
	v_add_co_u32_e32 v21, vcc, v21, v25
	v_addc_co_u32_e32 v22, vcc, 0, v22, vcc
	v_add_co_u32_e32 v25, vcc, v71, v21
	v_addc_co_u32_e32 v26, vcc, v70, v22, vcc
	v_ashrrev_i32_e32 v27, 31, v24
	v_add_co_u32_e32 v21, vcc, v23, v27
	v_xor_b32_e32 v28, v21, v27
	v_addc_co_u32_e32 v23, vcc, v24, v27, vcc
	v_mad_u64_u32 v[21:22], s[0:1], v28, v26, 0
	v_mul_hi_u32 v24, v28, v25
	v_xor_b32_e32 v69, v23, v27
	v_xor_b32_e32 v2, v27, v2
	v_add_co_u32_e32 v70, vcc, v24, v21
	v_addc_co_u32_e32 v71, vcc, 0, v22, vcc
	v_mad_u64_u32 v[21:22], s[0:1], v69, v25, 0
	v_mad_u64_u32 v[23:24], s[0:1], v69, v26, 0
	v_add_co_u32_e32 v21, vcc, v70, v21
	v_addc_co_u32_e32 v21, vcc, v71, v22, vcc
	v_addc_co_u32_e32 v22, vcc, 0, v24, vcc
	v_add_co_u32_e32 v23, vcc, v21, v23
	v_addc_co_u32_e32 v24, vcc, 0, v22, vcc
	v_mul_lo_u32 v25, v67, v23
	v_mul_lo_u32 v26, v68, v24
	v_mad_u64_u32 v[21:22], s[0:1], v68, v23, 0
	v_add3_u32 v22, v22, v26, v25
	v_sub_u32_e32 v25, v69, v22
	v_sub_co_u32_e32 v21, vcc, v28, v21
	v_subb_co_u32_e64 v25, s[0:1], v25, v67, vcc
	v_sub_co_u32_e64 v26, s[0:1], v21, v68
	v_subbrev_co_u32_e64 v25, s[0:1], 0, v25, s[0:1]
	v_cmp_ge_u32_e64 s[0:1], v25, v67
	v_cndmask_b32_e64 v28, 0, -1, s[0:1]
	v_cmp_ge_u32_e64 s[0:1], v26, v68
	v_cndmask_b32_e64 v26, 0, -1, s[0:1]
	v_cmp_eq_u32_e64 s[0:1], v25, v67
	v_cndmask_b32_e64 v25, v28, v26, s[0:1]
	v_add_co_u32_e64 v26, s[0:1], 2, v23
	v_addc_co_u32_e64 v28, s[0:1], 0, v24, s[0:1]
	v_add_co_u32_e64 v70, s[0:1], 1, v23
	v_addc_co_u32_e64 v71, s[0:1], 0, v24, s[0:1]
	v_subb_co_u32_e32 v22, vcc, v69, v22, vcc
	v_cmp_ne_u32_e64 s[0:1], 0, v25
	v_cmp_ge_u32_e32 vcc, v22, v67
	v_cndmask_b32_e64 v25, v71, v28, s[0:1]
	v_cndmask_b32_e64 v28, 0, -1, vcc
	v_cmp_ge_u32_e32 vcc, v21, v68
	v_cndmask_b32_e64 v21, 0, -1, vcc
	v_cmp_eq_u32_e32 vcc, v22, v67
	v_cndmask_b32_e32 v21, v28, v21, vcc
	v_cmp_ne_u32_e32 vcc, 0, v21
	v_cndmask_b32_e64 v22, v70, v26, s[0:1]
	v_cndmask_b32_e32 v21, v24, v25, vcc
	v_cndmask_b32_e32 v22, v23, v22, vcc
	v_xor_b32_e32 v23, v21, v2
	v_xor_b32_e32 v21, v22, v2
	v_sub_co_u32_e32 v21, vcc, v21, v2
	v_subb_co_u32_e32 v22, vcc, v23, v2, vcc
                                        ; implicit-def: $vgpr25_vgpr26
                                        ; implicit-def: $vgpr23_vgpr24
.LBB47_24:                              ;   in Loop: Header=BB47_4 Depth=1
	s_andn2_saveexec_b64 s[0:1], s[16:17]
	s_cbranch_execz .LBB47_26
; %bb.25:                               ;   in Loop: Header=BB47_4 Depth=1
	v_cvt_f32_u32_e32 v2, v25
	v_sub_u32_e32 v21, 0, v25
	v_rcp_iflag_f32_e32 v2, v2
	v_mul_f32_e32 v2, 0x4f7ffffe, v2
	v_cvt_u32_f32_e32 v2, v2
	v_mul_lo_u32 v21, v21, v2
	v_mul_hi_u32 v21, v2, v21
	v_add_u32_e32 v2, v2, v21
	v_mul_hi_u32 v2, v23, v2
	v_mul_lo_u32 v21, v2, v25
	v_add_u32_e32 v22, 1, v2
	v_sub_u32_e32 v21, v23, v21
	v_sub_u32_e32 v23, v21, v25
	v_cmp_ge_u32_e32 vcc, v21, v25
	v_cndmask_b32_e32 v21, v21, v23, vcc
	v_cndmask_b32_e32 v2, v2, v22, vcc
	v_add_u32_e32 v22, 1, v2
	v_cmp_ge_u32_e32 vcc, v21, v25
	v_cndmask_b32_e32 v21, v2, v22, vcc
	v_mov_b32_e32 v22, v1
.LBB47_26:                              ;   in Loop: Header=BB47_4 Depth=1
	s_or_b64 exec, exec, s[0:1]
	s_waitcnt vmcnt(0)
	v_or_b32_e32 v2, v18, v20
	v_cmp_ne_u64_e32 vcc, 0, v[1:2]
                                        ; implicit-def: $vgpr23_vgpr24
	s_and_saveexec_b64 s[0:1], vcc
	s_xor_b64 s[16:17], exec, s[0:1]
	s_cbranch_execz .LBB47_28
; %bb.27:                               ;   in Loop: Header=BB47_4 Depth=1
	v_ashrrev_i32_e32 v2, 31, v20
	v_add_co_u32_e32 v19, vcc, v19, v2
	v_addc_co_u32_e32 v20, vcc, v20, v2, vcc
	v_xor_b32_e32 v27, v20, v2
	v_xor_b32_e32 v28, v19, v2
	v_cvt_f32_u32_e32 v19, v28
	v_cvt_f32_u32_e32 v20, v27
	v_sub_co_u32_e32 v26, vcc, 0, v28
	v_subb_co_u32_e32 v67, vcc, 0, v27, vcc
	v_mac_f32_e32 v19, 0x4f800000, v20
	v_rcp_f32_e32 v19, v19
	v_mul_f32_e32 v19, 0x5f7ffffc, v19
	v_mul_f32_e32 v20, 0x2f800000, v19
	v_trunc_f32_e32 v20, v20
	v_mac_f32_e32 v19, 0xcf800000, v20
	v_cvt_u32_f32_e32 v25, v19
	v_cvt_u32_f32_e32 v68, v20
	v_mul_lo_u32 v23, v67, v25
	v_mad_u64_u32 v[19:20], s[0:1], v26, v25, 0
	v_mul_lo_u32 v24, v26, v68
	v_add3_u32 v69, v20, v24, v23
	v_mad_u64_u32 v[23:24], s[0:1], v25, v69, 0
	v_mul_hi_u32 v20, v25, v19
	v_add_co_u32_e32 v70, vcc, v20, v23
	v_mad_u64_u32 v[19:20], s[0:1], v68, v19, 0
	v_addc_co_u32_e32 v71, vcc, 0, v24, vcc
	v_mad_u64_u32 v[23:24], s[0:1], v68, v69, 0
	v_add_co_u32_e32 v19, vcc, v70, v19
	v_addc_co_u32_e32 v19, vcc, v71, v20, vcc
	v_addc_co_u32_e32 v20, vcc, 0, v24, vcc
	v_add_co_u32_e32 v19, vcc, v19, v23
	v_addc_co_u32_e32 v20, vcc, 0, v20, vcc
	v_add_co_u32_e32 v69, vcc, v25, v19
	v_addc_co_u32_e32 v68, vcc, v68, v20, vcc
	v_mul_lo_u32 v23, v26, v68
	v_mul_lo_u32 v24, v67, v69
	v_mad_u64_u32 v[19:20], s[0:1], v26, v69, 0
	v_add3_u32 v20, v20, v23, v24
	v_mad_u64_u32 v[25:26], s[0:1], v69, v20, 0
	v_mul_hi_u32 v67, v69, v19
	v_mad_u64_u32 v[23:24], s[0:1], v68, v20, 0
	v_mad_u64_u32 v[19:20], s[0:1], v68, v19, 0
	v_add_co_u32_e32 v25, vcc, v67, v25
	v_addc_co_u32_e32 v26, vcc, 0, v26, vcc
	v_add_co_u32_e32 v19, vcc, v25, v19
	v_addc_co_u32_e32 v19, vcc, v26, v20, vcc
	v_addc_co_u32_e32 v20, vcc, 0, v24, vcc
	v_add_co_u32_e32 v19, vcc, v19, v23
	v_addc_co_u32_e32 v20, vcc, 0, v20, vcc
	v_add_co_u32_e32 v19, vcc, v69, v19
	v_addc_co_u32_e32 v20, vcc, v68, v20, vcc
	v_ashrrev_i32_e32 v23, 31, v18
	v_add_co_u32_e32 v17, vcc, v17, v23
	v_xor_b32_e32 v25, v17, v23
	v_addc_co_u32_e32 v24, vcc, v18, v23, vcc
	v_mad_u64_u32 v[17:18], s[0:1], v25, v20, 0
	v_mul_hi_u32 v26, v25, v19
	v_xor_b32_e32 v24, v24, v23
	v_xor_b32_e32 v2, v23, v2
	v_add_co_u32_e32 v26, vcc, v26, v17
	v_addc_co_u32_e32 v67, vcc, 0, v18, vcc
	v_mad_u64_u32 v[17:18], s[0:1], v24, v19, 0
	v_mad_u64_u32 v[19:20], s[0:1], v24, v20, 0
	v_add_co_u32_e32 v17, vcc, v26, v17
	v_addc_co_u32_e32 v17, vcc, v67, v18, vcc
	v_addc_co_u32_e32 v18, vcc, 0, v20, vcc
	v_add_co_u32_e32 v19, vcc, v17, v19
	v_addc_co_u32_e32 v20, vcc, 0, v18, vcc
	v_mul_lo_u32 v26, v27, v19
	v_mul_lo_u32 v67, v28, v20
	v_mad_u64_u32 v[17:18], s[0:1], v28, v19, 0
	v_add3_u32 v18, v18, v67, v26
	v_sub_u32_e32 v26, v24, v18
	v_sub_co_u32_e32 v17, vcc, v25, v17
	v_subb_co_u32_e64 v25, s[0:1], v26, v27, vcc
	v_sub_co_u32_e64 v26, s[0:1], v17, v28
	v_subbrev_co_u32_e64 v25, s[0:1], 0, v25, s[0:1]
	v_cmp_ge_u32_e64 s[0:1], v25, v27
	v_cndmask_b32_e64 v67, 0, -1, s[0:1]
	v_cmp_ge_u32_e64 s[0:1], v26, v28
	v_cndmask_b32_e64 v26, 0, -1, s[0:1]
	v_cmp_eq_u32_e64 s[0:1], v25, v27
	v_cndmask_b32_e64 v25, v67, v26, s[0:1]
	v_add_co_u32_e64 v26, s[0:1], 2, v19
	v_subb_co_u32_e32 v18, vcc, v24, v18, vcc
	v_addc_co_u32_e64 v67, s[0:1], 0, v20, s[0:1]
	v_cmp_ge_u32_e32 vcc, v18, v27
	v_add_co_u32_e64 v68, s[0:1], 1, v19
	v_cndmask_b32_e64 v24, 0, -1, vcc
	v_cmp_ge_u32_e32 vcc, v17, v28
	v_addc_co_u32_e64 v69, s[0:1], 0, v20, s[0:1]
	v_cndmask_b32_e64 v17, 0, -1, vcc
	v_cmp_eq_u32_e32 vcc, v18, v27
	v_cmp_ne_u32_e64 s[0:1], 0, v25
	v_cndmask_b32_e32 v17, v24, v17, vcc
	v_cmp_ne_u32_e32 vcc, 0, v17
	v_cndmask_b32_e64 v18, v68, v26, s[0:1]
	v_cndmask_b32_e64 v25, v69, v67, s[0:1]
	v_cndmask_b32_e32 v18, v19, v18, vcc
	v_cndmask_b32_e32 v17, v20, v25, vcc
	v_xor_b32_e32 v18, v18, v2
	v_xor_b32_e32 v17, v17, v2
	v_sub_co_u32_e32 v23, vcc, v18, v2
	v_subb_co_u32_e32 v24, vcc, v17, v2, vcc
                                        ; implicit-def: $vgpr19_vgpr20
                                        ; implicit-def: $vgpr17_vgpr18
.LBB47_28:                              ;   in Loop: Header=BB47_4 Depth=1
	s_andn2_saveexec_b64 s[0:1], s[16:17]
	s_cbranch_execz .LBB47_30
; %bb.29:                               ;   in Loop: Header=BB47_4 Depth=1
	v_cvt_f32_u32_e32 v2, v19
	v_sub_u32_e32 v18, 0, v19
	v_mov_b32_e32 v24, v1
	v_rcp_iflag_f32_e32 v2, v2
	v_mul_f32_e32 v2, 0x4f7ffffe, v2
	v_cvt_u32_f32_e32 v2, v2
	v_mul_lo_u32 v18, v18, v2
	v_mul_hi_u32 v18, v2, v18
	v_add_u32_e32 v2, v2, v18
	v_mul_hi_u32 v2, v17, v2
	v_mul_lo_u32 v18, v2, v19
	v_add_u32_e32 v20, 1, v2
	v_sub_u32_e32 v17, v17, v18
	v_sub_u32_e32 v18, v17, v19
	v_cmp_ge_u32_e32 vcc, v17, v19
	v_cndmask_b32_e32 v17, v17, v18, vcc
	v_cndmask_b32_e32 v2, v2, v20, vcc
	v_add_u32_e32 v18, 1, v2
	v_cmp_ge_u32_e32 vcc, v17, v19
	v_cndmask_b32_e32 v23, v2, v18, vcc
.LBB47_30:                              ;   in Loop: Header=BB47_4 Depth=1
	s_or_b64 exec, exec, s[0:1]
	v_or_b32_e32 v2, v8, v12
	v_cmp_ne_u64_e32 vcc, 0, v[1:2]
                                        ; implicit-def: $vgpr17_vgpr18
	s_and_saveexec_b64 s[0:1], vcc
	s_xor_b64 s[16:17], exec, s[0:1]
	s_cbranch_execz .LBB47_32
; %bb.31:                               ;   in Loop: Header=BB47_4 Depth=1
	v_ashrrev_i32_e32 v2, 31, v12
	v_add_co_u32_e32 v11, vcc, v11, v2
	v_addc_co_u32_e32 v12, vcc, v12, v2, vcc
	v_xor_b32_e32 v25, v12, v2
	v_xor_b32_e32 v26, v11, v2
	v_cvt_f32_u32_e32 v11, v26
	v_cvt_f32_u32_e32 v12, v25
	v_sub_co_u32_e32 v20, vcc, 0, v26
	v_subb_co_u32_e32 v27, vcc, 0, v25, vcc
	v_mac_f32_e32 v11, 0x4f800000, v12
	v_rcp_f32_e32 v11, v11
	v_mul_f32_e32 v11, 0x5f7ffffc, v11
	v_mul_f32_e32 v12, 0x2f800000, v11
	v_trunc_f32_e32 v12, v12
	v_mac_f32_e32 v11, 0xcf800000, v12
	v_cvt_u32_f32_e32 v19, v11
	v_cvt_u32_f32_e32 v28, v12
	v_mul_lo_u32 v17, v27, v19
	v_mad_u64_u32 v[11:12], s[0:1], v20, v19, 0
	v_mul_lo_u32 v18, v20, v28
	v_add3_u32 v67, v12, v18, v17
	v_mad_u64_u32 v[17:18], s[0:1], v19, v67, 0
	v_mul_hi_u32 v12, v19, v11
	v_add_co_u32_e32 v68, vcc, v12, v17
	v_mad_u64_u32 v[11:12], s[0:1], v28, v11, 0
	v_addc_co_u32_e32 v69, vcc, 0, v18, vcc
	v_mad_u64_u32 v[17:18], s[0:1], v28, v67, 0
	v_add_co_u32_e32 v11, vcc, v68, v11
	v_addc_co_u32_e32 v11, vcc, v69, v12, vcc
	v_addc_co_u32_e32 v12, vcc, 0, v18, vcc
	v_add_co_u32_e32 v11, vcc, v11, v17
	v_addc_co_u32_e32 v12, vcc, 0, v12, vcc
	v_add_co_u32_e32 v67, vcc, v19, v11
	v_addc_co_u32_e32 v28, vcc, v28, v12, vcc
	v_mul_lo_u32 v17, v20, v28
	v_mul_lo_u32 v18, v27, v67
	v_mad_u64_u32 v[11:12], s[0:1], v20, v67, 0
	v_add3_u32 v12, v12, v17, v18
	v_mad_u64_u32 v[19:20], s[0:1], v67, v12, 0
	v_mul_hi_u32 v27, v67, v11
	v_mad_u64_u32 v[17:18], s[0:1], v28, v12, 0
	v_mad_u64_u32 v[11:12], s[0:1], v28, v11, 0
	v_add_co_u32_e32 v19, vcc, v27, v19
	v_addc_co_u32_e32 v20, vcc, 0, v20, vcc
	v_add_co_u32_e32 v11, vcc, v19, v11
	v_addc_co_u32_e32 v11, vcc, v20, v12, vcc
	v_addc_co_u32_e32 v12, vcc, 0, v18, vcc
	v_add_co_u32_e32 v11, vcc, v11, v17
	v_addc_co_u32_e32 v12, vcc, 0, v12, vcc
	v_add_co_u32_e32 v11, vcc, v67, v11
	v_addc_co_u32_e32 v12, vcc, v28, v12, vcc
	v_ashrrev_i32_e32 v17, 31, v8
	v_add_co_u32_e32 v7, vcc, v7, v17
	v_xor_b32_e32 v19, v7, v17
	v_addc_co_u32_e32 v18, vcc, v8, v17, vcc
	v_mad_u64_u32 v[7:8], s[0:1], v19, v12, 0
	v_mul_hi_u32 v20, v19, v11
	v_xor_b32_e32 v18, v18, v17
	v_xor_b32_e32 v2, v17, v2
	v_add_co_u32_e32 v20, vcc, v20, v7
	v_addc_co_u32_e32 v27, vcc, 0, v8, vcc
	v_mad_u64_u32 v[7:8], s[0:1], v18, v11, 0
	v_mad_u64_u32 v[11:12], s[0:1], v18, v12, 0
	v_add_co_u32_e32 v7, vcc, v20, v7
	v_addc_co_u32_e32 v7, vcc, v27, v8, vcc
	v_addc_co_u32_e32 v8, vcc, 0, v12, vcc
	v_add_co_u32_e32 v11, vcc, v7, v11
	v_addc_co_u32_e32 v12, vcc, 0, v8, vcc
	v_mul_lo_u32 v20, v25, v11
	v_mul_lo_u32 v27, v26, v12
	v_mad_u64_u32 v[7:8], s[0:1], v26, v11, 0
	v_add3_u32 v8, v8, v27, v20
	v_sub_u32_e32 v20, v18, v8
	v_sub_co_u32_e32 v7, vcc, v19, v7
	v_subb_co_u32_e64 v19, s[0:1], v20, v25, vcc
	v_sub_co_u32_e64 v20, s[0:1], v7, v26
	v_subbrev_co_u32_e64 v19, s[0:1], 0, v19, s[0:1]
	v_cmp_ge_u32_e64 s[0:1], v19, v25
	v_cndmask_b32_e64 v27, 0, -1, s[0:1]
	v_cmp_ge_u32_e64 s[0:1], v20, v26
	v_cndmask_b32_e64 v20, 0, -1, s[0:1]
	v_cmp_eq_u32_e64 s[0:1], v19, v25
	v_cndmask_b32_e64 v19, v27, v20, s[0:1]
	v_add_co_u32_e64 v20, s[0:1], 2, v11
	v_subb_co_u32_e32 v8, vcc, v18, v8, vcc
	v_addc_co_u32_e64 v27, s[0:1], 0, v12, s[0:1]
	v_cmp_ge_u32_e32 vcc, v8, v25
	v_add_co_u32_e64 v28, s[0:1], 1, v11
	v_cndmask_b32_e64 v18, 0, -1, vcc
	v_cmp_ge_u32_e32 vcc, v7, v26
	v_addc_co_u32_e64 v67, s[0:1], 0, v12, s[0:1]
	v_cndmask_b32_e64 v7, 0, -1, vcc
	v_cmp_eq_u32_e32 vcc, v8, v25
	v_cmp_ne_u32_e64 s[0:1], 0, v19
	v_cndmask_b32_e32 v7, v18, v7, vcc
	v_cmp_ne_u32_e32 vcc, 0, v7
	v_cndmask_b32_e64 v8, v28, v20, s[0:1]
	v_cndmask_b32_e64 v19, v67, v27, s[0:1]
	v_cndmask_b32_e32 v8, v11, v8, vcc
	v_cndmask_b32_e32 v7, v12, v19, vcc
	v_xor_b32_e32 v8, v8, v2
	v_xor_b32_e32 v7, v7, v2
	v_sub_co_u32_e32 v17, vcc, v8, v2
	v_subb_co_u32_e32 v18, vcc, v7, v2, vcc
                                        ; implicit-def: $vgpr11_vgpr12
                                        ; implicit-def: $vgpr7_vgpr8
.LBB47_32:                              ;   in Loop: Header=BB47_4 Depth=1
	s_andn2_saveexec_b64 s[0:1], s[16:17]
	s_cbranch_execz .LBB47_3
; %bb.33:                               ;   in Loop: Header=BB47_4 Depth=1
	v_cvt_f32_u32_e32 v2, v11
	v_sub_u32_e32 v8, 0, v11
	v_mov_b32_e32 v18, v1
	v_rcp_iflag_f32_e32 v2, v2
	v_mul_f32_e32 v2, 0x4f7ffffe, v2
	v_cvt_u32_f32_e32 v2, v2
	v_mul_lo_u32 v8, v8, v2
	v_mul_hi_u32 v8, v2, v8
	v_add_u32_e32 v2, v2, v8
	v_mul_hi_u32 v2, v7, v2
	v_mul_lo_u32 v8, v2, v11
	v_add_u32_e32 v12, 1, v2
	v_sub_u32_e32 v7, v7, v8
	v_sub_u32_e32 v8, v7, v11
	v_cmp_ge_u32_e32 vcc, v7, v11
	v_cndmask_b32_e32 v7, v7, v8, vcc
	v_cndmask_b32_e32 v2, v2, v12, vcc
	v_add_u32_e32 v8, 1, v2
	v_cmp_ge_u32_e32 vcc, v7, v11
	v_cndmask_b32_e32 v17, v2, v8, vcc
	s_branch .LBB47_3
.LBB47_34:
	s_mov_b64 s[10:11], 0
.LBB47_35:
	s_andn2_b64 vcc, exec, s[10:11]
	s_cbranch_vccnz .LBB47_55
; %bb.36:
	v_mov_b32_e32 v1, 0x10000
	v_mov_b32_e32 v2, 0
	v_cmp_lt_i64_e32 vcc, s[8:9], v[1:2]
	v_mov_b32_e32 v26, 0
	s_and_b64 s[0:1], vcc, exec
	s_cselect_b32 s7, s9, 0
	s_cselect_b32 s6, s8, 0x10000
	v_lshlrev_b32_e32 v1, 2, v0
	v_mov_b32_e32 v2, v26
	v_cmp_gt_i64_e32 vcc, s[6:7], v[1:2]
	s_and_saveexec_b64 s[0:1], vcc
	s_cbranch_execz .LBB47_55
; %bb.37:
	s_load_dword s0, s[4:5], 0xc04
	v_mov_b32_e32 v1, v26
	v_lshlrev_b32_e32 v30, 5, v0
	s_mov_b64 s[4:5], 0
	s_waitcnt lgkmcnt(0)
	s_and_b32 s10, s0, 0xffff
	s_lshl_b32 s11, s10, 5
	s_branch .LBB47_39
.LBB47_38:                              ;   in Loop: Header=BB47_39 Depth=1
	s_or_b64 exec, exec, s[0:1]
	v_mul_lo_u32 v14, v18, s3
	s_waitcnt vmcnt(0)
	v_mad_u64_u32 v[8:9], s[0:1], v18, s2, v[8:9]
	v_mul_lo_u32 v18, v10, s3
	v_mul_lo_u32 v11, v11, s2
	v_mad_u64_u32 v[4:5], s[0:1], v10, s2, v[4:5]
	v_mul_lo_u32 v15, v19, s2
	v_mul_lo_u32 v16, v28, s3
	;; [unrolled: 1-line block ×3, first 2 shown]
	v_mad_u64_u32 v[6:7], s[0:1], v28, s2, v[6:7]
	v_add3_u32 v5, v11, v5, v18
	v_mov_b32_e32 v11, s27
	v_add_co_u32_e32 v10, vcc, s26, v30
	s_add_u32 s26, s26, s11
	v_addc_co_u32_e32 v11, vcc, 0, v11, vcc
	s_addc_u32 s27, s27, 0
	v_add_co_u32_e32 v0, vcc, s10, v0
	s_add_u32 s20, s20, s11
	v_add3_u32 v9, v15, v9, v14
	v_add3_u32 v7, v17, v7, v16
	v_addc_co_u32_e32 v1, vcc, 0, v1, vcc
	s_addc_u32 s21, s21, 0
	v_mul_lo_u32 v12, v20, s3
	v_mul_lo_u32 v13, v21, s2
	v_mad_u64_u32 v[2:3], s[0:1], v20, s2, v[2:3]
	global_store_dwordx4 v[10:11], v[6:9], off
	s_add_u32 s24, s24, s11
	v_lshlrev_b64 v[6:7], 2, v[0:1]
	s_addc_u32 s25, s25, 0
	s_add_u32 s22, s22, s11
	v_cmp_le_i64_e32 vcc, s[6:7], v[6:7]
	s_addc_u32 s23, s23, 0
	v_add3_u32 v3, v13, v3, v12
	s_or_b64 s[4:5], vcc, s[4:5]
	global_store_dwordx4 v[10:11], v[2:5], off offset:16
	s_andn2_b64 exec, exec, s[4:5]
	s_cbranch_execz .LBB47_55
.LBB47_39:                              ; =>This Inner Loop Header: Depth=1
	v_mov_b32_e32 v3, s23
	v_add_co_u32_e32 v2, vcc, s22, v30
	v_addc_co_u32_e32 v3, vcc, 0, v3, vcc
	global_load_dwordx4 v[10:13], v[2:3], off offset:16
	global_load_dwordx4 v[18:21], v[2:3], off
	v_mov_b32_e32 v3, s25
	v_add_co_u32_e32 v2, vcc, s24, v30
	v_addc_co_u32_e32 v3, vcc, 0, v3, vcc
	global_load_dwordx4 v[14:17], v[2:3], off offset:16
	global_load_dwordx4 v[22:25], v[2:3], off
	;; [unrolled: 5-line block ×3, first 2 shown]
                                        ; implicit-def: $vgpr28_vgpr29
	s_waitcnt vmcnt(2)
	v_or_b32_e32 v27, v19, v23
	v_cmp_ne_u64_e32 vcc, 0, v[26:27]
	s_and_saveexec_b64 s[0:1], vcc
	s_xor_b64 s[8:9], exec, s[0:1]
	s_cbranch_execz .LBB47_41
; %bb.40:                               ;   in Loop: Header=BB47_39 Depth=1
	v_ashrrev_i32_e32 v35, 31, v23
	v_add_co_u32_e32 v27, vcc, v22, v35
	v_addc_co_u32_e32 v23, vcc, v23, v35, vcc
	v_xor_b32_e32 v23, v23, v35
	v_xor_b32_e32 v36, v27, v35
	v_cvt_f32_u32_e32 v27, v36
	v_cvt_f32_u32_e32 v28, v23
	v_sub_co_u32_e32 v34, vcc, 0, v36
	v_subb_co_u32_e32 v37, vcc, 0, v23, vcc
	v_mac_f32_e32 v27, 0x4f800000, v28
	v_rcp_f32_e32 v27, v27
	v_mul_f32_e32 v27, 0x5f7ffffc, v27
	v_mul_f32_e32 v28, 0x2f800000, v27
	v_trunc_f32_e32 v28, v28
	v_mac_f32_e32 v27, 0xcf800000, v28
	v_cvt_u32_f32_e32 v33, v27
	v_cvt_u32_f32_e32 v38, v28
	v_mul_lo_u32 v29, v37, v33
	v_mad_u64_u32 v[27:28], s[0:1], v34, v33, 0
	v_mul_lo_u32 v31, v34, v38
	v_mul_hi_u32 v32, v33, v27
	v_add3_u32 v31, v28, v31, v29
	v_mad_u64_u32 v[28:29], s[0:1], v33, v31, 0
	v_add_co_u32_e32 v39, vcc, v32, v28
	v_mad_u64_u32 v[27:28], s[0:1], v38, v27, 0
	v_mad_u64_u32 v[31:32], s[0:1], v38, v31, 0
	v_addc_co_u32_e32 v29, vcc, 0, v29, vcc
	v_add_co_u32_e32 v27, vcc, v39, v27
	v_addc_co_u32_e32 v27, vcc, v29, v28, vcc
	v_addc_co_u32_e32 v28, vcc, 0, v32, vcc
	v_add_co_u32_e32 v27, vcc, v27, v31
	v_addc_co_u32_e32 v28, vcc, 0, v28, vcc
	v_add_co_u32_e32 v39, vcc, v33, v27
	v_addc_co_u32_e32 v38, vcc, v38, v28, vcc
	v_mul_lo_u32 v29, v34, v38
	v_mul_lo_u32 v31, v37, v39
	v_mad_u64_u32 v[27:28], s[0:1], v34, v39, 0
	v_add3_u32 v31, v28, v29, v31
	v_mad_u64_u32 v[28:29], s[0:1], v38, v31, 0
	v_mad_u64_u32 v[31:32], s[0:1], v39, v31, 0
	v_mul_hi_u32 v37, v39, v27
	v_mad_u64_u32 v[33:34], s[0:1], v38, v27, 0
	v_add_co_u32_e32 v27, vcc, v37, v31
	v_addc_co_u32_e32 v31, vcc, 0, v32, vcc
	v_add_co_u32_e32 v27, vcc, v27, v33
	v_addc_co_u32_e32 v27, vcc, v31, v34, vcc
	v_addc_co_u32_e32 v29, vcc, 0, v29, vcc
	v_add_co_u32_e32 v27, vcc, v27, v28
	v_addc_co_u32_e32 v28, vcc, 0, v29, vcc
	v_add_co_u32_e32 v29, vcc, v39, v27
	v_addc_co_u32_e32 v31, vcc, v38, v28, vcc
	v_ashrrev_i32_e32 v33, 31, v19
	v_add_co_u32_e32 v27, vcc, v18, v33
	v_xor_b32_e32 v34, v27, v33
	v_mad_u64_u32 v[27:28], s[0:1], v34, v31, 0
	v_mul_hi_u32 v32, v34, v29
	v_addc_co_u32_e32 v19, vcc, v19, v33, vcc
	v_xor_b32_e32 v19, v19, v33
	v_add_co_u32_e32 v37, vcc, v32, v27
	v_addc_co_u32_e32 v38, vcc, 0, v28, vcc
	v_mad_u64_u32 v[27:28], s[0:1], v19, v29, 0
	v_mad_u64_u32 v[31:32], s[0:1], v19, v31, 0
	v_add_co_u32_e32 v27, vcc, v37, v27
	v_addc_co_u32_e32 v27, vcc, v38, v28, vcc
	v_addc_co_u32_e32 v28, vcc, 0, v32, vcc
	v_add_co_u32_e32 v29, vcc, v27, v31
	v_addc_co_u32_e32 v31, vcc, 0, v28, vcc
	v_mul_lo_u32 v32, v23, v29
	v_mul_lo_u32 v37, v36, v31
	v_mad_u64_u32 v[27:28], s[0:1], v36, v29, 0
	v_add3_u32 v28, v28, v37, v32
	v_sub_u32_e32 v32, v19, v28
	v_sub_co_u32_e32 v27, vcc, v34, v27
	v_subb_co_u32_e64 v32, s[0:1], v32, v23, vcc
	v_sub_co_u32_e64 v34, s[0:1], v27, v36
	v_subbrev_co_u32_e64 v32, s[0:1], 0, v32, s[0:1]
	v_cmp_ge_u32_e64 s[0:1], v32, v23
	v_cndmask_b32_e64 v37, 0, -1, s[0:1]
	v_cmp_ge_u32_e64 s[0:1], v34, v36
	v_cndmask_b32_e64 v34, 0, -1, s[0:1]
	v_cmp_eq_u32_e64 s[0:1], v32, v23
	v_cndmask_b32_e64 v32, v37, v34, s[0:1]
	v_add_co_u32_e64 v34, s[0:1], 2, v29
	v_subb_co_u32_e32 v19, vcc, v19, v28, vcc
	v_addc_co_u32_e64 v37, s[0:1], 0, v31, s[0:1]
	v_cmp_ge_u32_e32 vcc, v19, v23
	v_add_co_u32_e64 v38, s[0:1], 1, v29
	v_cndmask_b32_e64 v28, 0, -1, vcc
	v_cmp_ge_u32_e32 vcc, v27, v36
	v_addc_co_u32_e64 v39, s[0:1], 0, v31, s[0:1]
	v_cndmask_b32_e64 v27, 0, -1, vcc
	v_cmp_eq_u32_e32 vcc, v19, v23
	v_cmp_ne_u32_e64 s[0:1], 0, v32
	v_cndmask_b32_e32 v19, v28, v27, vcc
	v_cmp_ne_u32_e32 vcc, 0, v19
	v_cndmask_b32_e64 v23, v38, v34, s[0:1]
	v_cndmask_b32_e64 v32, v39, v37, s[0:1]
	v_cndmask_b32_e32 v23, v29, v23, vcc
	v_xor_b32_e32 v27, v33, v35
	v_cndmask_b32_e32 v19, v31, v32, vcc
	v_xor_b32_e32 v23, v23, v27
	v_xor_b32_e32 v19, v19, v27
	v_sub_co_u32_e32 v28, vcc, v23, v27
	v_subb_co_u32_e32 v29, vcc, v19, v27, vcc
.LBB47_41:                              ;   in Loop: Header=BB47_39 Depth=1
	s_andn2_saveexec_b64 s[0:1], s[8:9]
	s_cbranch_execz .LBB47_43
; %bb.42:                               ;   in Loop: Header=BB47_39 Depth=1
	v_cvt_f32_u32_e32 v19, v22
	v_sub_u32_e32 v23, 0, v22
	v_mov_b32_e32 v29, v26
	v_rcp_iflag_f32_e32 v19, v19
	v_mul_f32_e32 v19, 0x4f7ffffe, v19
	v_cvt_u32_f32_e32 v19, v19
	v_mul_lo_u32 v23, v23, v19
	v_mul_hi_u32 v23, v19, v23
	v_add_u32_e32 v19, v19, v23
	v_mul_hi_u32 v19, v18, v19
	v_mul_lo_u32 v23, v19, v22
	v_add_u32_e32 v27, 1, v19
	v_sub_u32_e32 v18, v18, v23
	v_sub_u32_e32 v23, v18, v22
	v_cmp_ge_u32_e32 vcc, v18, v22
	v_cndmask_b32_e32 v18, v18, v23, vcc
	v_cndmask_b32_e32 v19, v19, v27, vcc
	v_add_u32_e32 v23, 1, v19
	v_cmp_ge_u32_e32 vcc, v18, v22
	v_cndmask_b32_e32 v28, v19, v23, vcc
.LBB47_43:                              ;   in Loop: Header=BB47_39 Depth=1
	s_or_b64 exec, exec, s[0:1]
	v_or_b32_e32 v27, v21, v25
	v_cmp_ne_u64_e32 vcc, 0, v[26:27]
                                        ; implicit-def: $vgpr18_vgpr19
	s_and_saveexec_b64 s[0:1], vcc
	s_xor_b64 s[8:9], exec, s[0:1]
	s_cbranch_execz .LBB47_45
; %bb.44:                               ;   in Loop: Header=BB47_39 Depth=1
	v_ashrrev_i32_e32 v27, 31, v25
	v_add_co_u32_e32 v18, vcc, v24, v27
	v_addc_co_u32_e32 v19, vcc, v25, v27, vcc
	v_xor_b32_e32 v31, v19, v27
	v_xor_b32_e32 v32, v18, v27
	v_cvt_f32_u32_e32 v18, v32
	v_cvt_f32_u32_e32 v19, v31
	v_sub_co_u32_e32 v25, vcc, 0, v32
	v_subb_co_u32_e32 v33, vcc, 0, v31, vcc
	v_mac_f32_e32 v18, 0x4f800000, v19
	v_rcp_f32_e32 v18, v18
	v_mul_f32_e32 v18, 0x5f7ffffc, v18
	v_mul_f32_e32 v19, 0x2f800000, v18
	v_trunc_f32_e32 v19, v19
	v_mac_f32_e32 v18, 0xcf800000, v19
	v_cvt_u32_f32_e32 v24, v18
	v_cvt_u32_f32_e32 v34, v19
	v_mul_lo_u32 v22, v33, v24
	v_mad_u64_u32 v[18:19], s[0:1], v25, v24, 0
	v_mul_lo_u32 v23, v25, v34
	v_add3_u32 v35, v19, v23, v22
	v_mad_u64_u32 v[22:23], s[0:1], v24, v35, 0
	v_mul_hi_u32 v19, v24, v18
	v_add_co_u32_e32 v36, vcc, v19, v22
	v_mad_u64_u32 v[18:19], s[0:1], v34, v18, 0
	v_addc_co_u32_e32 v37, vcc, 0, v23, vcc
	v_mad_u64_u32 v[22:23], s[0:1], v34, v35, 0
	v_add_co_u32_e32 v18, vcc, v36, v18
	v_addc_co_u32_e32 v18, vcc, v37, v19, vcc
	v_addc_co_u32_e32 v19, vcc, 0, v23, vcc
	v_add_co_u32_e32 v18, vcc, v18, v22
	v_addc_co_u32_e32 v19, vcc, 0, v19, vcc
	v_add_co_u32_e32 v35, vcc, v24, v18
	v_addc_co_u32_e32 v34, vcc, v34, v19, vcc
	v_mul_lo_u32 v22, v25, v34
	v_mul_lo_u32 v23, v33, v35
	v_mad_u64_u32 v[18:19], s[0:1], v25, v35, 0
	v_add3_u32 v19, v19, v22, v23
	v_mad_u64_u32 v[24:25], s[0:1], v35, v19, 0
	v_mul_hi_u32 v33, v35, v18
	v_mad_u64_u32 v[22:23], s[0:1], v34, v19, 0
	v_mad_u64_u32 v[18:19], s[0:1], v34, v18, 0
	v_add_co_u32_e32 v24, vcc, v33, v24
	v_addc_co_u32_e32 v25, vcc, 0, v25, vcc
	v_add_co_u32_e32 v18, vcc, v24, v18
	v_addc_co_u32_e32 v18, vcc, v25, v19, vcc
	v_addc_co_u32_e32 v19, vcc, 0, v23, vcc
	v_add_co_u32_e32 v18, vcc, v18, v22
	v_addc_co_u32_e32 v19, vcc, 0, v19, vcc
	v_add_co_u32_e32 v22, vcc, v35, v18
	v_addc_co_u32_e32 v23, vcc, v34, v19, vcc
	v_ashrrev_i32_e32 v24, 31, v21
	v_add_co_u32_e32 v18, vcc, v20, v24
	v_xor_b32_e32 v25, v18, v24
	v_addc_co_u32_e32 v20, vcc, v21, v24, vcc
	v_mad_u64_u32 v[18:19], s[0:1], v25, v23, 0
	v_mul_hi_u32 v21, v25, v22
	v_xor_b32_e32 v33, v20, v24
	v_add_co_u32_e32 v34, vcc, v21, v18
	v_addc_co_u32_e32 v35, vcc, 0, v19, vcc
	v_mad_u64_u32 v[18:19], s[0:1], v33, v22, 0
	v_mad_u64_u32 v[20:21], s[0:1], v33, v23, 0
	v_add_co_u32_e32 v18, vcc, v34, v18
	v_addc_co_u32_e32 v18, vcc, v35, v19, vcc
	v_addc_co_u32_e32 v19, vcc, 0, v21, vcc
	v_add_co_u32_e32 v20, vcc, v18, v20
	v_addc_co_u32_e32 v21, vcc, 0, v19, vcc
	v_mul_lo_u32 v22, v31, v20
	v_mul_lo_u32 v23, v32, v21
	v_mad_u64_u32 v[18:19], s[0:1], v32, v20, 0
	v_add3_u32 v19, v19, v23, v22
	v_sub_u32_e32 v22, v33, v19
	v_sub_co_u32_e32 v18, vcc, v25, v18
	v_subb_co_u32_e64 v22, s[0:1], v22, v31, vcc
	v_sub_co_u32_e64 v23, s[0:1], v18, v32
	v_subbrev_co_u32_e64 v22, s[0:1], 0, v22, s[0:1]
	v_cmp_ge_u32_e64 s[0:1], v22, v31
	v_cndmask_b32_e64 v25, 0, -1, s[0:1]
	v_cmp_ge_u32_e64 s[0:1], v23, v32
	v_cndmask_b32_e64 v23, 0, -1, s[0:1]
	v_cmp_eq_u32_e64 s[0:1], v22, v31
	v_cndmask_b32_e64 v22, v25, v23, s[0:1]
	v_add_co_u32_e64 v23, s[0:1], 2, v20
	v_addc_co_u32_e64 v25, s[0:1], 0, v21, s[0:1]
	v_add_co_u32_e64 v34, s[0:1], 1, v20
	v_addc_co_u32_e64 v35, s[0:1], 0, v21, s[0:1]
	v_subb_co_u32_e32 v19, vcc, v33, v19, vcc
	v_cmp_ne_u32_e64 s[0:1], 0, v22
	v_cmp_ge_u32_e32 vcc, v19, v31
	v_cndmask_b32_e64 v22, v35, v25, s[0:1]
	v_cndmask_b32_e64 v25, 0, -1, vcc
	v_cmp_ge_u32_e32 vcc, v18, v32
	v_cndmask_b32_e64 v18, 0, -1, vcc
	v_cmp_eq_u32_e32 vcc, v19, v31
	v_cndmask_b32_e32 v18, v25, v18, vcc
	v_cmp_ne_u32_e32 vcc, 0, v18
	v_cndmask_b32_e64 v19, v34, v23, s[0:1]
	v_cndmask_b32_e32 v18, v21, v22, vcc
	v_cndmask_b32_e32 v19, v20, v19, vcc
	v_xor_b32_e32 v20, v24, v27
	v_xor_b32_e32 v21, v18, v20
	;; [unrolled: 1-line block ×3, first 2 shown]
	v_sub_co_u32_e32 v18, vcc, v18, v20
	v_subb_co_u32_e32 v19, vcc, v21, v20, vcc
                                        ; implicit-def: $vgpr24_vgpr25
                                        ; implicit-def: $vgpr20_vgpr21
.LBB47_45:                              ;   in Loop: Header=BB47_39 Depth=1
	s_andn2_saveexec_b64 s[0:1], s[8:9]
	s_cbranch_execz .LBB47_47
; %bb.46:                               ;   in Loop: Header=BB47_39 Depth=1
	v_cvt_f32_u32_e32 v18, v24
	v_sub_u32_e32 v19, 0, v24
	v_rcp_iflag_f32_e32 v18, v18
	v_mul_f32_e32 v18, 0x4f7ffffe, v18
	v_cvt_u32_f32_e32 v18, v18
	v_mul_lo_u32 v19, v19, v18
	v_mul_hi_u32 v19, v18, v19
	v_add_u32_e32 v18, v18, v19
	v_mul_hi_u32 v18, v20, v18
	v_mul_lo_u32 v19, v18, v24
	v_add_u32_e32 v21, 1, v18
	v_sub_u32_e32 v19, v20, v19
	v_sub_u32_e32 v20, v19, v24
	v_cmp_ge_u32_e32 vcc, v19, v24
	v_cndmask_b32_e32 v19, v19, v20, vcc
	v_cndmask_b32_e32 v18, v18, v21, vcc
	v_add_u32_e32 v20, 1, v18
	v_cmp_ge_u32_e32 vcc, v19, v24
	v_cndmask_b32_e32 v18, v18, v20, vcc
	v_mov_b32_e32 v19, v26
.LBB47_47:                              ;   in Loop: Header=BB47_39 Depth=1
	s_or_b64 exec, exec, s[0:1]
	v_or_b32_e32 v27, v11, v15
	v_cmp_ne_u64_e32 vcc, 0, v[26:27]
                                        ; implicit-def: $vgpr20_vgpr21
	s_and_saveexec_b64 s[0:1], vcc
	s_xor_b64 s[8:9], exec, s[0:1]
	s_cbranch_execz .LBB47_49
; %bb.48:                               ;   in Loop: Header=BB47_39 Depth=1
	v_ashrrev_i32_e32 v25, 31, v15
	v_add_co_u32_e32 v20, vcc, v14, v25
	v_addc_co_u32_e32 v15, vcc, v15, v25, vcc
	v_xor_b32_e32 v15, v15, v25
	v_xor_b32_e32 v27, v20, v25
	v_cvt_f32_u32_e32 v20, v27
	v_cvt_f32_u32_e32 v21, v15
	v_sub_co_u32_e32 v31, vcc, 0, v27
	v_subb_co_u32_e32 v32, vcc, 0, v15, vcc
	v_mac_f32_e32 v20, 0x4f800000, v21
	v_rcp_f32_e32 v20, v20
	v_mul_f32_e32 v20, 0x5f7ffffc, v20
	v_mul_f32_e32 v21, 0x2f800000, v20
	v_trunc_f32_e32 v21, v21
	v_mac_f32_e32 v20, 0xcf800000, v21
	v_cvt_u32_f32_e32 v24, v20
	v_cvt_u32_f32_e32 v33, v21
	v_mul_lo_u32 v22, v32, v24
	v_mad_u64_u32 v[20:21], s[0:1], v31, v24, 0
	v_mul_lo_u32 v23, v31, v33
	v_mul_hi_u32 v34, v24, v20
	v_add3_u32 v23, v21, v23, v22
	v_mad_u64_u32 v[21:22], s[0:1], v24, v23, 0
	v_add_co_u32_e32 v34, vcc, v34, v21
	v_mad_u64_u32 v[20:21], s[0:1], v33, v20, 0
	v_addc_co_u32_e32 v35, vcc, 0, v22, vcc
	v_mad_u64_u32 v[22:23], s[0:1], v33, v23, 0
	v_add_co_u32_e32 v20, vcc, v34, v20
	v_addc_co_u32_e32 v20, vcc, v35, v21, vcc
	v_addc_co_u32_e32 v21, vcc, 0, v23, vcc
	v_add_co_u32_e32 v20, vcc, v20, v22
	v_addc_co_u32_e32 v21, vcc, 0, v21, vcc
	v_add_co_u32_e32 v34, vcc, v24, v20
	v_addc_co_u32_e32 v33, vcc, v33, v21, vcc
	v_mul_lo_u32 v22, v31, v33
	v_mul_lo_u32 v23, v32, v34
	v_mad_u64_u32 v[20:21], s[0:1], v31, v34, 0
	v_add3_u32 v23, v21, v22, v23
	v_mad_u64_u32 v[21:22], s[0:1], v33, v23, 0
	v_mad_u64_u32 v[23:24], s[0:1], v34, v23, 0
	v_mul_hi_u32 v35, v34, v20
	v_mad_u64_u32 v[31:32], s[0:1], v33, v20, 0
	v_add_co_u32_e32 v20, vcc, v35, v23
	v_addc_co_u32_e32 v23, vcc, 0, v24, vcc
	v_add_co_u32_e32 v20, vcc, v20, v31
	v_addc_co_u32_e32 v20, vcc, v23, v32, vcc
	v_addc_co_u32_e32 v22, vcc, 0, v22, vcc
	v_add_co_u32_e32 v20, vcc, v20, v21
	v_addc_co_u32_e32 v21, vcc, 0, v22, vcc
	v_add_co_u32_e32 v22, vcc, v34, v20
	v_addc_co_u32_e32 v23, vcc, v33, v21, vcc
	v_ashrrev_i32_e32 v24, 31, v11
	v_add_co_u32_e32 v20, vcc, v10, v24
	v_xor_b32_e32 v31, v20, v24
	v_mad_u64_u32 v[20:21], s[0:1], v31, v23, 0
	v_mul_hi_u32 v32, v31, v22
	v_addc_co_u32_e32 v11, vcc, v11, v24, vcc
	v_xor_b32_e32 v11, v11, v24
	v_add_co_u32_e32 v32, vcc, v32, v20
	v_addc_co_u32_e32 v33, vcc, 0, v21, vcc
	v_mad_u64_u32 v[20:21], s[0:1], v11, v22, 0
	v_mad_u64_u32 v[22:23], s[0:1], v11, v23, 0
	v_add_co_u32_e32 v20, vcc, v32, v20
	v_addc_co_u32_e32 v20, vcc, v33, v21, vcc
	v_addc_co_u32_e32 v21, vcc, 0, v23, vcc
	v_add_co_u32_e32 v22, vcc, v20, v22
	v_addc_co_u32_e32 v23, vcc, 0, v21, vcc
	v_mul_lo_u32 v32, v15, v22
	v_mul_lo_u32 v33, v27, v23
	v_mad_u64_u32 v[20:21], s[0:1], v27, v22, 0
	v_add3_u32 v21, v21, v33, v32
	v_sub_u32_e32 v32, v11, v21
	v_sub_co_u32_e32 v20, vcc, v31, v20
	v_subb_co_u32_e64 v31, s[0:1], v32, v15, vcc
	v_sub_co_u32_e64 v32, s[0:1], v20, v27
	v_subbrev_co_u32_e64 v31, s[0:1], 0, v31, s[0:1]
	v_cmp_ge_u32_e64 s[0:1], v31, v15
	v_cndmask_b32_e64 v33, 0, -1, s[0:1]
	v_cmp_ge_u32_e64 s[0:1], v32, v27
	v_cndmask_b32_e64 v32, 0, -1, s[0:1]
	v_cmp_eq_u32_e64 s[0:1], v31, v15
	v_cndmask_b32_e64 v31, v33, v32, s[0:1]
	v_add_co_u32_e64 v32, s[0:1], 2, v22
	v_subb_co_u32_e32 v11, vcc, v11, v21, vcc
	v_addc_co_u32_e64 v33, s[0:1], 0, v23, s[0:1]
	v_cmp_ge_u32_e32 vcc, v11, v15
	v_add_co_u32_e64 v34, s[0:1], 1, v22
	v_cndmask_b32_e64 v21, 0, -1, vcc
	v_cmp_ge_u32_e32 vcc, v20, v27
	v_addc_co_u32_e64 v35, s[0:1], 0, v23, s[0:1]
	v_cndmask_b32_e64 v20, 0, -1, vcc
	v_cmp_eq_u32_e32 vcc, v11, v15
	v_cmp_ne_u32_e64 s[0:1], 0, v31
	v_cndmask_b32_e32 v11, v21, v20, vcc
	v_cmp_ne_u32_e32 vcc, 0, v11
	v_cndmask_b32_e64 v15, v34, v32, s[0:1]
	v_cndmask_b32_e64 v31, v35, v33, s[0:1]
	v_cndmask_b32_e32 v15, v22, v15, vcc
	v_xor_b32_e32 v21, v24, v25
	v_cndmask_b32_e32 v11, v23, v31, vcc
	v_xor_b32_e32 v15, v15, v21
	v_xor_b32_e32 v11, v11, v21
	v_sub_co_u32_e32 v20, vcc, v15, v21
	v_subb_co_u32_e32 v21, vcc, v11, v21, vcc
.LBB47_49:                              ;   in Loop: Header=BB47_39 Depth=1
	s_andn2_saveexec_b64 s[0:1], s[8:9]
	s_cbranch_execz .LBB47_51
; %bb.50:                               ;   in Loop: Header=BB47_39 Depth=1
	v_cvt_f32_u32_e32 v11, v14
	v_sub_u32_e32 v15, 0, v14
	v_mov_b32_e32 v21, v26
	v_rcp_iflag_f32_e32 v11, v11
	v_mul_f32_e32 v11, 0x4f7ffffe, v11
	v_cvt_u32_f32_e32 v11, v11
	v_mul_lo_u32 v15, v15, v11
	v_mul_hi_u32 v15, v11, v15
	v_add_u32_e32 v11, v11, v15
	v_mul_hi_u32 v11, v10, v11
	v_mul_lo_u32 v15, v11, v14
	v_add_u32_e32 v20, 1, v11
	v_sub_u32_e32 v10, v10, v15
	v_sub_u32_e32 v15, v10, v14
	v_cmp_ge_u32_e32 vcc, v10, v14
	v_cndmask_b32_e32 v10, v10, v15, vcc
	v_cndmask_b32_e32 v11, v11, v20, vcc
	v_add_u32_e32 v15, 1, v11
	v_cmp_ge_u32_e32 vcc, v10, v14
	v_cndmask_b32_e32 v20, v11, v15, vcc
.LBB47_51:                              ;   in Loop: Header=BB47_39 Depth=1
	s_or_b64 exec, exec, s[0:1]
	v_or_b32_e32 v27, v13, v17
	v_cmp_ne_u64_e32 vcc, 0, v[26:27]
                                        ; implicit-def: $vgpr10_vgpr11
	s_and_saveexec_b64 s[0:1], vcc
	s_xor_b64 s[8:9], exec, s[0:1]
	s_cbranch_execz .LBB47_53
; %bb.52:                               ;   in Loop: Header=BB47_39 Depth=1
	v_ashrrev_i32_e32 v22, 31, v17
	v_add_co_u32_e32 v10, vcc, v16, v22
	v_addc_co_u32_e32 v11, vcc, v17, v22, vcc
	v_xor_b32_e32 v23, v11, v22
	v_xor_b32_e32 v24, v10, v22
	v_cvt_f32_u32_e32 v10, v24
	v_cvt_f32_u32_e32 v11, v23
	v_sub_co_u32_e32 v17, vcc, 0, v24
	v_subb_co_u32_e32 v25, vcc, 0, v23, vcc
	v_mac_f32_e32 v10, 0x4f800000, v11
	v_rcp_f32_e32 v10, v10
	v_mul_f32_e32 v10, 0x5f7ffffc, v10
	v_mul_f32_e32 v11, 0x2f800000, v10
	v_trunc_f32_e32 v11, v11
	v_mac_f32_e32 v10, 0xcf800000, v11
	v_cvt_u32_f32_e32 v16, v10
	v_cvt_u32_f32_e32 v27, v11
	v_mul_lo_u32 v14, v25, v16
	v_mad_u64_u32 v[10:11], s[0:1], v17, v16, 0
	v_mul_lo_u32 v15, v17, v27
	v_add3_u32 v31, v11, v15, v14
	v_mad_u64_u32 v[14:15], s[0:1], v16, v31, 0
	v_mul_hi_u32 v11, v16, v10
	v_add_co_u32_e32 v32, vcc, v11, v14
	v_mad_u64_u32 v[10:11], s[0:1], v27, v10, 0
	v_addc_co_u32_e32 v33, vcc, 0, v15, vcc
	v_mad_u64_u32 v[14:15], s[0:1], v27, v31, 0
	v_add_co_u32_e32 v10, vcc, v32, v10
	v_addc_co_u32_e32 v10, vcc, v33, v11, vcc
	v_addc_co_u32_e32 v11, vcc, 0, v15, vcc
	v_add_co_u32_e32 v10, vcc, v10, v14
	v_addc_co_u32_e32 v11, vcc, 0, v11, vcc
	v_add_co_u32_e32 v31, vcc, v16, v10
	v_addc_co_u32_e32 v27, vcc, v27, v11, vcc
	v_mul_lo_u32 v14, v17, v27
	v_mul_lo_u32 v15, v25, v31
	v_mad_u64_u32 v[10:11], s[0:1], v17, v31, 0
	v_add3_u32 v11, v11, v14, v15
	v_mad_u64_u32 v[16:17], s[0:1], v31, v11, 0
	v_mul_hi_u32 v25, v31, v10
	v_mad_u64_u32 v[14:15], s[0:1], v27, v11, 0
	v_mad_u64_u32 v[10:11], s[0:1], v27, v10, 0
	v_add_co_u32_e32 v16, vcc, v25, v16
	v_addc_co_u32_e32 v17, vcc, 0, v17, vcc
	v_add_co_u32_e32 v10, vcc, v16, v10
	v_addc_co_u32_e32 v10, vcc, v17, v11, vcc
	v_addc_co_u32_e32 v11, vcc, 0, v15, vcc
	v_add_co_u32_e32 v10, vcc, v10, v14
	v_addc_co_u32_e32 v11, vcc, 0, v11, vcc
	v_add_co_u32_e32 v14, vcc, v31, v10
	v_addc_co_u32_e32 v15, vcc, v27, v11, vcc
	v_ashrrev_i32_e32 v16, 31, v13
	v_add_co_u32_e32 v10, vcc, v12, v16
	v_xor_b32_e32 v17, v10, v16
	v_addc_co_u32_e32 v12, vcc, v13, v16, vcc
	v_mad_u64_u32 v[10:11], s[0:1], v17, v15, 0
	v_mul_hi_u32 v13, v17, v14
	v_xor_b32_e32 v25, v12, v16
	v_add_co_u32_e32 v27, vcc, v13, v10
	v_addc_co_u32_e32 v31, vcc, 0, v11, vcc
	v_mad_u64_u32 v[10:11], s[0:1], v25, v14, 0
	v_mad_u64_u32 v[12:13], s[0:1], v25, v15, 0
	v_add_co_u32_e32 v10, vcc, v27, v10
	v_addc_co_u32_e32 v10, vcc, v31, v11, vcc
	v_addc_co_u32_e32 v11, vcc, 0, v13, vcc
	v_add_co_u32_e32 v12, vcc, v10, v12
	v_addc_co_u32_e32 v13, vcc, 0, v11, vcc
	v_mul_lo_u32 v14, v23, v12
	v_mul_lo_u32 v15, v24, v13
	v_mad_u64_u32 v[10:11], s[0:1], v24, v12, 0
	v_add3_u32 v11, v11, v15, v14
	v_sub_u32_e32 v14, v25, v11
	v_sub_co_u32_e32 v10, vcc, v17, v10
	v_subb_co_u32_e64 v14, s[0:1], v14, v23, vcc
	v_sub_co_u32_e64 v15, s[0:1], v10, v24
	v_subbrev_co_u32_e64 v14, s[0:1], 0, v14, s[0:1]
	v_cmp_ge_u32_e64 s[0:1], v14, v23
	v_cndmask_b32_e64 v17, 0, -1, s[0:1]
	v_cmp_ge_u32_e64 s[0:1], v15, v24
	v_cndmask_b32_e64 v15, 0, -1, s[0:1]
	v_cmp_eq_u32_e64 s[0:1], v14, v23
	v_cndmask_b32_e64 v14, v17, v15, s[0:1]
	v_add_co_u32_e64 v15, s[0:1], 2, v12
	v_addc_co_u32_e64 v17, s[0:1], 0, v13, s[0:1]
	v_add_co_u32_e64 v27, s[0:1], 1, v12
	v_addc_co_u32_e64 v31, s[0:1], 0, v13, s[0:1]
	v_subb_co_u32_e32 v11, vcc, v25, v11, vcc
	v_cmp_ne_u32_e64 s[0:1], 0, v14
	v_cmp_ge_u32_e32 vcc, v11, v23
	v_cndmask_b32_e64 v14, v31, v17, s[0:1]
	v_cndmask_b32_e64 v17, 0, -1, vcc
	v_cmp_ge_u32_e32 vcc, v10, v24
	v_cndmask_b32_e64 v10, 0, -1, vcc
	v_cmp_eq_u32_e32 vcc, v11, v23
	v_cndmask_b32_e32 v10, v17, v10, vcc
	v_cmp_ne_u32_e32 vcc, 0, v10
	v_cndmask_b32_e64 v11, v27, v15, s[0:1]
	v_cndmask_b32_e32 v10, v13, v14, vcc
	v_cndmask_b32_e32 v11, v12, v11, vcc
	v_xor_b32_e32 v12, v16, v22
	v_xor_b32_e32 v13, v10, v12
	;; [unrolled: 1-line block ×3, first 2 shown]
	v_sub_co_u32_e32 v10, vcc, v10, v12
	v_subb_co_u32_e32 v11, vcc, v13, v12, vcc
                                        ; implicit-def: $vgpr16_vgpr17
                                        ; implicit-def: $vgpr12_vgpr13
.LBB47_53:                              ;   in Loop: Header=BB47_39 Depth=1
	s_andn2_saveexec_b64 s[0:1], s[8:9]
	s_cbranch_execz .LBB47_38
; %bb.54:                               ;   in Loop: Header=BB47_39 Depth=1
	v_cvt_f32_u32_e32 v10, v16
	v_sub_u32_e32 v11, 0, v16
	v_rcp_iflag_f32_e32 v10, v10
	v_mul_f32_e32 v10, 0x4f7ffffe, v10
	v_cvt_u32_f32_e32 v10, v10
	v_mul_lo_u32 v11, v11, v10
	v_mul_hi_u32 v11, v10, v11
	v_add_u32_e32 v10, v10, v11
	v_mul_hi_u32 v10, v12, v10
	v_mul_lo_u32 v11, v10, v16
	v_add_u32_e32 v13, 1, v10
	v_sub_u32_e32 v11, v12, v11
	v_sub_u32_e32 v12, v11, v16
	v_cmp_ge_u32_e32 vcc, v11, v16
	v_cndmask_b32_e32 v11, v11, v12, vcc
	v_cndmask_b32_e32 v10, v10, v13, vcc
	v_add_u32_e32 v12, 1, v10
	v_cmp_ge_u32_e32 vcc, v11, v16
	v_cndmask_b32_e32 v10, v10, v12, vcc
	v_mov_b32_e32 v11, v26
	s_branch .LBB47_38
.LBB47_55:
	s_endpgm
	.section	.rodata,"a",@progbits
	.p2align	6, 0x0
	.amdhsa_kernel _ZN2at6native12_GLOBAL__N_125multi_tensor_apply_kernelINS1_18TensorListMetadataILi4EEENS1_24PointwiseOpScalarFunctorIlLi4ELi3ELi3EEEJSt7dividesIlElEEEvT_T0_DpT1_
		.amdhsa_group_segment_fixed_size 0
		.amdhsa_private_segment_fixed_size 0
		.amdhsa_kernarg_size 3320
		.amdhsa_user_sgpr_count 6
		.amdhsa_user_sgpr_private_segment_buffer 1
		.amdhsa_user_sgpr_dispatch_ptr 0
		.amdhsa_user_sgpr_queue_ptr 0
		.amdhsa_user_sgpr_kernarg_segment_ptr 1
		.amdhsa_user_sgpr_dispatch_id 0
		.amdhsa_user_sgpr_flat_scratch_init 0
		.amdhsa_user_sgpr_private_segment_size 0
		.amdhsa_uses_dynamic_stack 0
		.amdhsa_system_sgpr_private_segment_wavefront_offset 0
		.amdhsa_system_sgpr_workgroup_id_x 1
		.amdhsa_system_sgpr_workgroup_id_y 0
		.amdhsa_system_sgpr_workgroup_id_z 0
		.amdhsa_system_sgpr_workgroup_info 0
		.amdhsa_system_vgpr_workitem_id 0
		.amdhsa_next_free_vgpr 76
		.amdhsa_next_free_sgpr 36
		.amdhsa_reserve_vcc 1
		.amdhsa_reserve_flat_scratch 0
		.amdhsa_float_round_mode_32 0
		.amdhsa_float_round_mode_16_64 0
		.amdhsa_float_denorm_mode_32 3
		.amdhsa_float_denorm_mode_16_64 3
		.amdhsa_dx10_clamp 1
		.amdhsa_ieee_mode 1
		.amdhsa_fp16_overflow 0
		.amdhsa_exception_fp_ieee_invalid_op 0
		.amdhsa_exception_fp_denorm_src 0
		.amdhsa_exception_fp_ieee_div_zero 0
		.amdhsa_exception_fp_ieee_overflow 0
		.amdhsa_exception_fp_ieee_underflow 0
		.amdhsa_exception_fp_ieee_inexact 0
		.amdhsa_exception_int_div_zero 0
	.end_amdhsa_kernel
	.section	.text._ZN2at6native12_GLOBAL__N_125multi_tensor_apply_kernelINS1_18TensorListMetadataILi4EEENS1_24PointwiseOpScalarFunctorIlLi4ELi3ELi3EEEJSt7dividesIlElEEEvT_T0_DpT1_,"axG",@progbits,_ZN2at6native12_GLOBAL__N_125multi_tensor_apply_kernelINS1_18TensorListMetadataILi4EEENS1_24PointwiseOpScalarFunctorIlLi4ELi3ELi3EEEJSt7dividesIlElEEEvT_T0_DpT1_,comdat
.Lfunc_end47:
	.size	_ZN2at6native12_GLOBAL__N_125multi_tensor_apply_kernelINS1_18TensorListMetadataILi4EEENS1_24PointwiseOpScalarFunctorIlLi4ELi3ELi3EEEJSt7dividesIlElEEEvT_T0_DpT1_, .Lfunc_end47-_ZN2at6native12_GLOBAL__N_125multi_tensor_apply_kernelINS1_18TensorListMetadataILi4EEENS1_24PointwiseOpScalarFunctorIlLi4ELi3ELi3EEEJSt7dividesIlElEEEvT_T0_DpT1_
                                        ; -- End function
	.set _ZN2at6native12_GLOBAL__N_125multi_tensor_apply_kernelINS1_18TensorListMetadataILi4EEENS1_24PointwiseOpScalarFunctorIlLi4ELi3ELi3EEEJSt7dividesIlElEEEvT_T0_DpT1_.num_vgpr, 76
	.set _ZN2at6native12_GLOBAL__N_125multi_tensor_apply_kernelINS1_18TensorListMetadataILi4EEENS1_24PointwiseOpScalarFunctorIlLi4ELi3ELi3EEEJSt7dividesIlElEEEvT_T0_DpT1_.num_agpr, 0
	.set _ZN2at6native12_GLOBAL__N_125multi_tensor_apply_kernelINS1_18TensorListMetadataILi4EEENS1_24PointwiseOpScalarFunctorIlLi4ELi3ELi3EEEJSt7dividesIlElEEEvT_T0_DpT1_.numbered_sgpr, 36
	.set _ZN2at6native12_GLOBAL__N_125multi_tensor_apply_kernelINS1_18TensorListMetadataILi4EEENS1_24PointwiseOpScalarFunctorIlLi4ELi3ELi3EEEJSt7dividesIlElEEEvT_T0_DpT1_.num_named_barrier, 0
	.set _ZN2at6native12_GLOBAL__N_125multi_tensor_apply_kernelINS1_18TensorListMetadataILi4EEENS1_24PointwiseOpScalarFunctorIlLi4ELi3ELi3EEEJSt7dividesIlElEEEvT_T0_DpT1_.private_seg_size, 0
	.set _ZN2at6native12_GLOBAL__N_125multi_tensor_apply_kernelINS1_18TensorListMetadataILi4EEENS1_24PointwiseOpScalarFunctorIlLi4ELi3ELi3EEEJSt7dividesIlElEEEvT_T0_DpT1_.uses_vcc, 1
	.set _ZN2at6native12_GLOBAL__N_125multi_tensor_apply_kernelINS1_18TensorListMetadataILi4EEENS1_24PointwiseOpScalarFunctorIlLi4ELi3ELi3EEEJSt7dividesIlElEEEvT_T0_DpT1_.uses_flat_scratch, 0
	.set _ZN2at6native12_GLOBAL__N_125multi_tensor_apply_kernelINS1_18TensorListMetadataILi4EEENS1_24PointwiseOpScalarFunctorIlLi4ELi3ELi3EEEJSt7dividesIlElEEEvT_T0_DpT1_.has_dyn_sized_stack, 0
	.set _ZN2at6native12_GLOBAL__N_125multi_tensor_apply_kernelINS1_18TensorListMetadataILi4EEENS1_24PointwiseOpScalarFunctorIlLi4ELi3ELi3EEEJSt7dividesIlElEEEvT_T0_DpT1_.has_recursion, 0
	.set _ZN2at6native12_GLOBAL__N_125multi_tensor_apply_kernelINS1_18TensorListMetadataILi4EEENS1_24PointwiseOpScalarFunctorIlLi4ELi3ELi3EEEJSt7dividesIlElEEEvT_T0_DpT1_.has_indirect_call, 0
	.section	.AMDGPU.csdata,"",@progbits
; Kernel info:
; codeLenInByte = 7800
; TotalNumSgprs: 40
; NumVgprs: 76
; ScratchSize: 0
; MemoryBound: 1
; FloatMode: 240
; IeeeMode: 1
; LDSByteSize: 0 bytes/workgroup (compile time only)
; SGPRBlocks: 4
; VGPRBlocks: 18
; NumSGPRsForWavesPerEU: 40
; NumVGPRsForWavesPerEU: 76
; Occupancy: 3
; WaveLimiterHint : 0
; COMPUTE_PGM_RSRC2:SCRATCH_EN: 0
; COMPUTE_PGM_RSRC2:USER_SGPR: 6
; COMPUTE_PGM_RSRC2:TRAP_HANDLER: 0
; COMPUTE_PGM_RSRC2:TGID_X_EN: 1
; COMPUTE_PGM_RSRC2:TGID_Y_EN: 0
; COMPUTE_PGM_RSRC2:TGID_Z_EN: 0
; COMPUTE_PGM_RSRC2:TIDIG_COMP_CNT: 0
	.section	.text._ZN2at6native12_GLOBAL__N_125multi_tensor_apply_kernelINS1_18TensorListMetadataILi4EEENS1_24PointwiseOpScalarFunctorIsLi4ELi3ELi3EEEJSt7dividesIsEsEEEvT_T0_DpT1_,"axG",@progbits,_ZN2at6native12_GLOBAL__N_125multi_tensor_apply_kernelINS1_18TensorListMetadataILi4EEENS1_24PointwiseOpScalarFunctorIsLi4ELi3ELi3EEEJSt7dividesIsEsEEEvT_T0_DpT1_,comdat
	.globl	_ZN2at6native12_GLOBAL__N_125multi_tensor_apply_kernelINS1_18TensorListMetadataILi4EEENS1_24PointwiseOpScalarFunctorIsLi4ELi3ELi3EEEJSt7dividesIsEsEEEvT_T0_DpT1_ ; -- Begin function _ZN2at6native12_GLOBAL__N_125multi_tensor_apply_kernelINS1_18TensorListMetadataILi4EEENS1_24PointwiseOpScalarFunctorIsLi4ELi3ELi3EEEJSt7dividesIsEsEEEvT_T0_DpT1_
	.p2align	8
	.type	_ZN2at6native12_GLOBAL__N_125multi_tensor_apply_kernelINS1_18TensorListMetadataILi4EEENS1_24PointwiseOpScalarFunctorIsLi4ELi3ELi3EEEJSt7dividesIsEsEEEvT_T0_DpT1_,@function
_ZN2at6native12_GLOBAL__N_125multi_tensor_apply_kernelINS1_18TensorListMetadataILi4EEENS1_24PointwiseOpScalarFunctorIsLi4ELi3ELi3EEEJSt7dividesIsEsEEEvT_T0_DpT1_: ; @_ZN2at6native12_GLOBAL__N_125multi_tensor_apply_kernelINS1_18TensorListMetadataILi4EEENS1_24PointwiseOpScalarFunctorIsLi4ELi3ELi3EEEJSt7dividesIsEsEEEvT_T0_DpT1_
; %bb.0:
	v_mov_b32_e32 v1, s6
	global_load_ubyte v1, v1, s[4:5] offset:1440
	s_load_dword s0, s[4:5], 0xbe8
	s_mul_i32 s7, s6, 3
	s_mul_hi_u32 s2, s6, 3
	s_mov_b32 s1, 0
	s_mov_b32 s3, s1
	s_waitcnt lgkmcnt(0)
	s_lshr_b32 s33, s0, 16
	s_add_u32 s0, s4, s6
	s_addc_u32 s8, s5, 0
	s_add_u32 s6, s0, s7
	s_addc_u32 s7, s8, s2
	s_load_dword s6, s[6:7], 0x6e0
	s_mov_b32 s9, s1
	s_waitcnt vmcnt(0)
	v_readfirstlane_b32 s0, v1
	s_lshl_b32 s0, s0, 3
	s_load_dwordx2 s[10:11], s[4:5], s0 offset:0x480
	s_load_dwordx2 s[14:15], s[4:5], s0 offset:0x0
	;; [unrolled: 1-line block ×5, first 2 shown]
	s_waitcnt lgkmcnt(0)
	s_ashr_i32 s7, s6, 31
	s_lshl_b64 s[22:23], s[6:7], 17
	s_add_u32 s2, s16, s22
	s_and_b32 s0, s14, 7
	s_and_b32 s2, s2, 7
	s_cmp_eq_u64 s[2:3], 0
	s_cselect_b64 s[2:3], -1, 0
	s_add_u32 s8, s18, s22
	s_or_b32 s8, s20, s8
	s_and_b32 s8, s8, 7
	s_cmp_eq_u32 s8, 0
	s_cselect_b64 s[12:13], -1, 0
	s_lshl_b64 s[6:7], s[6:7], 16
	s_and_b64 s[2:3], s[12:13], s[2:3]
	s_sub_u32 s24, s10, s6
	s_subb_u32 s25, s11, s7
	s_and_b32 s8, s10, 3
	s_or_b64 s[0:1], s[0:1], s[8:9]
	s_cmp_eq_u64 s[0:1], 0
	s_cselect_b64 s[0:1], -1, 0
	s_and_b64 s[2:3], s[2:3], s[0:1]
	s_mov_b64 s[0:1], -1
	s_and_b64 vcc, exec, s[2:3]
	s_cbranch_vccnz .LBB48_45
; %bb.1:
	v_cmp_lt_i64_e64 s[0:1], s[24:25], 1
	s_and_b64 vcc, exec, s[0:1]
	s_cbranch_vccnz .LBB48_44
; %bb.2:
	v_mov_b32_e32 v1, 0x10000
	s_load_dword s2, s[4:5], 0xbfc
	v_mov_b32_e32 v2, 0
	v_cmp_lt_i64_e32 vcc, s[24:25], v[1:2]
	v_mov_b32_e32 v24, 0
	s_and_b64 s[0:1], vcc, exec
	v_cmp_lt_u64_e32 vcc, s[24:25], v[1:2]
	s_cselect_b32 s27, s25, 0
	s_cselect_b32 s26, s24, 0x10000
	s_waitcnt lgkmcnt(0)
	s_and_b32 s2, s2, 0xffff
	s_and_b64 s[0:1], vcc, exec
	s_cselect_b32 s29, s25, 0
	s_cselect_b32 s28, s24, 0x10000
	s_lshl_b32 s3, s2, 1
	s_and_b32 s0, 0xffff, s33
	v_lshlrev_b32_e32 v23, 1, v0
	s_cmp_lg_u32 s0, 1
	v_mad_u64_u32 v[7:8], s[0:1], s2, 6, v[23:24]
	v_mov_b32_e32 v2, s15
	v_mov_b32_e32 v4, s17
	v_add_co_u32_e32 v1, vcc, s14, v7
	v_addc_co_u32_e32 v2, vcc, v2, v8, vcc
	v_add_co_u32_e32 v3, vcc, s16, v7
	v_addc_co_u32_e32 v4, vcc, v4, v8, vcc
	v_mov_b32_e32 v6, s19
	v_add_co_u32_e32 v5, vcc, s18, v7
	v_addc_co_u32_e32 v6, vcc, v6, v8, vcc
	v_mov_b32_e32 v9, s21
	v_add_co_u32_e32 v7, vcc, s20, v7
	s_cselect_b64 s[30:31], -1, 0
	s_lshl_b32 s36, s2, 2
	v_addc_co_u32_e32 v8, vcc, v9, v8, vcc
	v_add_co_u32_e32 v15, vcc, s36, v23
	v_addc_co_u32_e64 v16, s[0:1], 0, 0, vcc
	v_mov_b32_e32 v10, s15
	v_add_co_u32_e32 v9, vcc, s14, v15
	v_addc_co_u32_e32 v10, vcc, v10, v16, vcc
	v_mov_b32_e32 v12, s17
	v_add_co_u32_e32 v11, vcc, s16, v15
	v_addc_co_u32_e32 v12, vcc, v12, v16, vcc
	;; [unrolled: 3-line block ×8, first 2 shown]
	v_add_co_u32_e32 v25, vcc, s2, v0
	v_lshlrev_b32_e32 v33, 1, v25
	v_addc_co_u32_e64 v26, s[0:1], 0, 0, vcc
	v_mov_b32_e32 v28, s15
	v_add_co_u32_e32 v27, vcc, s14, v33
	v_addc_co_u32_e32 v28, vcc, 0, v28, vcc
	v_mov_b32_e32 v30, s17
	v_add_co_u32_e32 v29, vcc, s16, v33
	v_addc_co_u32_e32 v30, vcc, 0, v30, vcc
	;; [unrolled: 3-line block ×3, first 2 shown]
	v_mov_b32_e32 v34, s21
	v_add_co_u32_e32 v33, vcc, s20, v33
	s_mul_i32 s6, s2, 3
	v_addc_co_u32_e32 v34, vcc, 0, v34, vcc
	v_add_co_u32_e32 v35, vcc, s6, v0
	v_addc_co_u32_e64 v36, s[0:1], 0, 0, vcc
	v_add_co_u32_e32 v37, vcc, s3, v0
	s_lshl_b32 s37, s2, 3
	s_mov_b64 s[34:35], 0
	v_addc_co_u32_e64 v38, s[0:1], 0, 0, vcc
	s_branch .LBB48_4
.LBB48_3:                               ;   in Loop: Header=BB48_4 Depth=1
	s_or_b64 exec, exec, s[0:1]
	v_add_co_u32_e32 v17, vcc, s37, v17
	v_addc_co_u32_e32 v18, vcc, 0, v18, vcc
	v_add_co_u32_e32 v19, vcc, s37, v19
	v_addc_co_u32_e32 v20, vcc, 0, v20, vcc
	;; [unrolled: 2-line block ×14, first 2 shown]
	s_add_u32 s34, s34, s36
	v_add_co_u32_e32 v31, vcc, s37, v31
	v_mov_b32_e32 v40, s27
	s_addc_u32 s35, s35, 0
	v_addc_co_u32_e32 v32, vcc, 0, v32, vcc
	v_mov_b32_e32 v39, s26
	v_cmp_ge_i64_e32 vcc, s[34:35], v[39:40]
	v_add_co_u32_e64 v33, s[0:1], s37, v33
	v_addc_co_u32_e64 v34, s[0:1], 0, v34, s[0:1]
	s_cbranch_vccnz .LBB48_44
.LBB48_4:                               ; =>This Inner Loop Header: Depth=1
	v_mov_b32_e32 v40, s35
	v_add_co_u32_e32 v39, vcc, s34, v0
	v_addc_co_u32_e32 v40, vcc, 0, v40, vcc
	v_cmp_gt_u64_e64 s[0:1], s[28:29], v[39:40]
	v_mov_b32_e32 v43, 0
	v_mov_b32_e32 v46, 0
	;; [unrolled: 1-line block ×3, first 2 shown]
	s_and_saveexec_b64 s[2:3], s[0:1]
	s_cbranch_execz .LBB48_6
; %bb.5:                                ;   in Loop: Header=BB48_4 Depth=1
	v_mov_b32_e32 v39, s23
	v_add_co_u32_e32 v41, vcc, s22, v17
	v_addc_co_u32_e32 v42, vcc, v18, v39, vcc
	v_add_co_u32_e32 v44, vcc, s22, v19
	v_addc_co_u32_e32 v45, vcc, v20, v39, vcc
	global_load_ushort v40, v[41:42], off
	global_load_sshort v46, v[44:45], off
.LBB48_6:                               ;   in Loop: Header=BB48_4 Depth=1
	s_or_b64 exec, exec, s[2:3]
	s_and_saveexec_b64 s[2:3], s[0:1]
	s_cbranch_execz .LBB48_8
; %bb.7:                                ;   in Loop: Header=BB48_4 Depth=1
	v_mov_b32_e32 v39, s23
	v_add_co_u32_e32 v41, vcc, s22, v21
	v_addc_co_u32_e32 v42, vcc, v22, v39, vcc
	global_load_sshort v43, v[41:42], off
.LBB48_8:                               ;   in Loop: Header=BB48_4 Depth=1
	s_or_b64 exec, exec, s[2:3]
	v_mov_b32_e32 v39, s35
	v_add_co_u32_e32 v41, vcc, s34, v25
	v_addc_co_u32_e32 v42, vcc, v26, v39, vcc
	v_cmp_gt_u64_e64 s[2:3], s[28:29], v[41:42]
	v_mov_b32_e32 v39, 0
	v_mov_b32_e32 v44, 0
	;; [unrolled: 1-line block ×3, first 2 shown]
	s_and_saveexec_b64 s[6:7], s[2:3]
	s_cbranch_execz .LBB48_10
; %bb.9:                                ;   in Loop: Header=BB48_4 Depth=1
	v_mov_b32_e32 v39, s23
	v_add_co_u32_e32 v41, vcc, s22, v29
	v_addc_co_u32_e32 v42, vcc, v30, v39, vcc
	v_add_co_u32_e32 v48, vcc, s22, v27
	v_addc_co_u32_e32 v49, vcc, v28, v39, vcc
	global_load_ushort v39, v[48:49], off
	global_load_sshort v47, v[41:42], off
.LBB48_10:                              ;   in Loop: Header=BB48_4 Depth=1
	s_or_b64 exec, exec, s[6:7]
	s_and_saveexec_b64 s[6:7], s[2:3]
	s_cbranch_execz .LBB48_12
; %bb.11:                               ;   in Loop: Header=BB48_4 Depth=1
	v_mov_b32_e32 v42, s23
	v_add_co_u32_e32 v41, vcc, s22, v31
	v_addc_co_u32_e32 v42, vcc, v32, v42, vcc
	global_load_sshort v44, v[41:42], off
.LBB48_12:                              ;   in Loop: Header=BB48_4 Depth=1
	s_or_b64 exec, exec, s[6:7]
	v_mov_b32_e32 v42, s35
	v_add_co_u32_e32 v41, vcc, s34, v37
	v_addc_co_u32_e32 v42, vcc, v38, v42, vcc
	v_cmp_gt_u64_e64 s[6:7], s[28:29], v[41:42]
	v_mov_b32_e32 v41, 0
	v_mov_b32_e32 v45, 0
	;; [unrolled: 1-line block ×3, first 2 shown]
	s_and_saveexec_b64 s[8:9], s[6:7]
	s_cbranch_execz .LBB48_14
; %bb.13:                               ;   in Loop: Header=BB48_4 Depth=1
	v_mov_b32_e32 v41, s23
	v_add_co_u32_e32 v49, vcc, s22, v11
	v_addc_co_u32_e32 v50, vcc, v12, v41, vcc
	v_add_co_u32_e32 v51, vcc, s22, v9
	v_addc_co_u32_e32 v52, vcc, v10, v41, vcc
	global_load_ushort v41, v[51:52], off
	global_load_sshort v48, v[49:50], off
.LBB48_14:                              ;   in Loop: Header=BB48_4 Depth=1
	s_or_b64 exec, exec, s[8:9]
	s_and_saveexec_b64 s[8:9], s[6:7]
	s_cbranch_execz .LBB48_16
; %bb.15:                               ;   in Loop: Header=BB48_4 Depth=1
	v_mov_b32_e32 v42, s23
	v_add_co_u32_e32 v49, vcc, s22, v13
	v_addc_co_u32_e32 v50, vcc, v14, v42, vcc
	global_load_sshort v45, v[49:50], off
.LBB48_16:                              ;   in Loop: Header=BB48_4 Depth=1
	s_or_b64 exec, exec, s[8:9]
	v_mov_b32_e32 v42, s35
	v_add_co_u32_e32 v49, vcc, s34, v35
	v_addc_co_u32_e32 v50, vcc, v36, v42, vcc
	v_cmp_gt_u64_e64 s[8:9], s[28:29], v[49:50]
	v_mov_b32_e32 v42, 0
	v_mov_b32_e32 v49, 0
	;; [unrolled: 1-line block ×3, first 2 shown]
	s_and_saveexec_b64 s[10:11], s[8:9]
	s_cbranch_execz .LBB48_18
; %bb.17:                               ;   in Loop: Header=BB48_4 Depth=1
	v_mov_b32_e32 v42, s23
	v_add_co_u32_e32 v51, vcc, s22, v3
	v_addc_co_u32_e32 v52, vcc, v4, v42, vcc
	v_add_co_u32_e32 v53, vcc, s22, v1
	v_addc_co_u32_e32 v54, vcc, v2, v42, vcc
	global_load_ushort v42, v[53:54], off
	global_load_sshort v50, v[51:52], off
.LBB48_18:                              ;   in Loop: Header=BB48_4 Depth=1
	s_or_b64 exec, exec, s[10:11]
	s_and_saveexec_b64 s[10:11], s[8:9]
	s_cbranch_execz .LBB48_20
; %bb.19:                               ;   in Loop: Header=BB48_4 Depth=1
	v_mov_b32_e32 v49, s23
	v_add_co_u32_e32 v51, vcc, s22, v5
	v_addc_co_u32_e32 v52, vcc, v6, v49, vcc
	global_load_sshort v49, v[51:52], off
.LBB48_20:                              ;   in Loop: Header=BB48_4 Depth=1
	s_or_b64 exec, exec, s[10:11]
	s_waitcnt vmcnt(0)
	v_cvt_f32_i32_e32 v51, v43
	v_xor_b32_e32 v52, v46, v43
	v_cvt_f32_i32_e32 v46, v46
	v_ashrrev_i32_e32 v52, 30, v52
	v_rcp_iflag_f32_e32 v53, v51
	v_or_b32_e32 v52, 1, v52
	s_mov_b64 s[12:13], -1
	s_and_b64 vcc, exec, s[30:31]
	v_mul_f32_e32 v53, v46, v53
	v_trunc_f32_e32 v53, v53
	v_cvt_i32_f32_e32 v54, v53
	v_mad_f32 v46, -v53, v51, v46
	v_cmp_ge_f32_e64 s[10:11], |v46|, |v51|
	v_cndmask_b32_e64 v46, 0, v52, s[10:11]
	v_add_u32_e32 v46, v54, v46
                                        ; implicit-def: $vgpr43
	s_cbranch_vccz .LBB48_22
; %bb.21:                               ;   in Loop: Header=BB48_4 Depth=1
	v_mad_legacy_u16 v43, s33, v46, v40
	s_mov_b64 s[12:13], 0
.LBB48_22:                              ;   in Loop: Header=BB48_4 Depth=1
	s_andn2_b64 vcc, exec, s[12:13]
	s_cbranch_vccnz .LBB48_24
; %bb.23:                               ;   in Loop: Header=BB48_4 Depth=1
	v_add_u16_e32 v43, v40, v46
.LBB48_24:                              ;   in Loop: Header=BB48_4 Depth=1
	v_cvt_f32_i32_e32 v40, v44
	v_cvt_f32_i32_e32 v46, v47
	v_xor_b32_e32 v44, v47, v44
	v_cndmask_b32_e64 v47, 0, 1, s[30:31]
	v_rcp_iflag_f32_e32 v51, v40
	v_cmp_ne_u32_e64 s[10:11], 1, v47
	v_ashrrev_i32_e32 v44, 30, v44
	v_or_b32_e32 v44, 1, v44
	v_mul_f32_e32 v47, v46, v51
	v_trunc_f32_e32 v47, v47
	v_cvt_i32_f32_e32 v51, v47
	v_mad_f32 v46, -v47, v40, v46
	v_cmp_ge_f32_e64 vcc, |v46|, |v40|
	v_cndmask_b32_e32 v40, 0, v44, vcc
	v_add_u32_e32 v44, v51, v40
	s_andn2_b64 vcc, exec, s[30:31]
	s_mov_b64 s[12:13], -1
                                        ; implicit-def: $vgpr40
	s_cbranch_vccnz .LBB48_26
; %bb.25:                               ;   in Loop: Header=BB48_4 Depth=1
	v_mad_legacy_u16 v40, s33, v44, v39
	s_mov_b64 s[12:13], 0
.LBB48_26:                              ;   in Loop: Header=BB48_4 Depth=1
	s_andn2_b64 vcc, exec, s[12:13]
	s_cbranch_vccnz .LBB48_28
; %bb.27:                               ;   in Loop: Header=BB48_4 Depth=1
	v_add_u16_e32 v40, v39, v44
.LBB48_28:                              ;   in Loop: Header=BB48_4 Depth=1
	v_cvt_f32_i32_e32 v39, v45
	v_xor_b32_e32 v44, v48, v45
	v_cvt_f32_i32_e32 v45, v48
	v_ashrrev_i32_e32 v44, 30, v44
	v_rcp_iflag_f32_e32 v46, v39
	v_or_b32_e32 v44, 1, v44
	s_and_b64 vcc, exec, s[10:11]
	v_mul_f32_e32 v46, v45, v46
	v_trunc_f32_e32 v46, v46
	v_cvt_i32_f32_e32 v47, v46
	v_mad_f32 v45, -v46, v39, v45
	v_cmp_ge_f32_e64 s[12:13], |v45|, |v39|
	v_cndmask_b32_e64 v39, 0, v44, s[12:13]
	v_add_u32_e32 v44, v47, v39
	s_mov_b64 s[12:13], -1
                                        ; implicit-def: $vgpr39
	s_cbranch_vccnz .LBB48_30
; %bb.29:                               ;   in Loop: Header=BB48_4 Depth=1
	v_mad_legacy_u16 v39, s33, v44, v41
	s_mov_b64 s[12:13], 0
.LBB48_30:                              ;   in Loop: Header=BB48_4 Depth=1
	s_andn2_b64 vcc, exec, s[12:13]
	s_cbranch_vccnz .LBB48_32
; %bb.31:                               ;   in Loop: Header=BB48_4 Depth=1
	v_add_u16_e32 v39, v41, v44
.LBB48_32:                              ;   in Loop: Header=BB48_4 Depth=1
	v_cvt_f32_i32_e32 v41, v49
	v_cvt_f32_i32_e32 v45, v50
	v_xor_b32_e32 v44, v50, v49
	v_ashrrev_i32_e32 v44, 30, v44
	v_rcp_iflag_f32_e32 v46, v41
	s_and_b64 vcc, exec, s[10:11]
	v_or_b32_e32 v44, 1, v44
	v_mul_f32_e32 v46, v45, v46
	v_trunc_f32_e32 v46, v46
	v_cvt_i32_f32_e32 v47, v46
	v_mad_f32 v45, -v46, v41, v45
	v_cmp_ge_f32_e64 s[10:11], |v45|, |v41|
	v_cndmask_b32_e64 v41, 0, v44, s[10:11]
	v_add_u32_e32 v44, v47, v41
	s_mov_b64 s[10:11], -1
                                        ; implicit-def: $vgpr41
	s_cbranch_vccz .LBB48_38
; %bb.33:                               ;   in Loop: Header=BB48_4 Depth=1
	s_andn2_b64 vcc, exec, s[10:11]
	s_cbranch_vccz .LBB48_39
.LBB48_34:                              ;   in Loop: Header=BB48_4 Depth=1
	s_and_saveexec_b64 s[10:11], s[0:1]
	s_xor_b64 s[0:1], exec, s[10:11]
	s_cbranch_execnz .LBB48_40
.LBB48_35:                              ;   in Loop: Header=BB48_4 Depth=1
	s_or_b64 exec, exec, s[0:1]
	s_and_saveexec_b64 s[0:1], s[2:3]
	s_cbranch_execnz .LBB48_41
.LBB48_36:                              ;   in Loop: Header=BB48_4 Depth=1
	s_or_b64 exec, exec, s[0:1]
	s_and_saveexec_b64 s[0:1], s[6:7]
	s_cbranch_execnz .LBB48_42
.LBB48_37:                              ;   in Loop: Header=BB48_4 Depth=1
	s_or_b64 exec, exec, s[0:1]
	s_and_saveexec_b64 s[0:1], s[8:9]
	s_cbranch_execz .LBB48_3
	s_branch .LBB48_43
.LBB48_38:                              ;   in Loop: Header=BB48_4 Depth=1
	v_mad_legacy_u16 v41, s33, v44, v42
	s_cbranch_execnz .LBB48_34
.LBB48_39:                              ;   in Loop: Header=BB48_4 Depth=1
	v_add_u16_e32 v41, v42, v44
	s_and_saveexec_b64 s[10:11], s[0:1]
	s_xor_b64 s[0:1], exec, s[10:11]
	s_cbranch_execz .LBB48_35
.LBB48_40:                              ;   in Loop: Header=BB48_4 Depth=1
	v_mov_b32_e32 v42, s23
	v_add_co_u32_e32 v44, vcc, s22, v23
	v_addc_co_u32_e32 v45, vcc, v24, v42, vcc
	global_store_short v[44:45], v43, off
	s_or_b64 exec, exec, s[0:1]
	s_and_saveexec_b64 s[0:1], s[2:3]
	s_cbranch_execz .LBB48_36
.LBB48_41:                              ;   in Loop: Header=BB48_4 Depth=1
	v_mov_b32_e32 v43, s23
	v_add_co_u32_e32 v42, vcc, s22, v33
	v_addc_co_u32_e32 v43, vcc, v34, v43, vcc
	global_store_short v[42:43], v40, off
	s_or_b64 exec, exec, s[0:1]
	s_and_saveexec_b64 s[0:1], s[6:7]
	s_cbranch_execz .LBB48_37
.LBB48_42:                              ;   in Loop: Header=BB48_4 Depth=1
	v_mov_b32_e32 v40, s23
	v_add_co_u32_e32 v42, vcc, s22, v15
	v_addc_co_u32_e32 v43, vcc, v16, v40, vcc
	global_store_short v[42:43], v39, off
	s_or_b64 exec, exec, s[0:1]
	s_and_saveexec_b64 s[0:1], s[8:9]
	s_cbranch_execz .LBB48_3
.LBB48_43:                              ;   in Loop: Header=BB48_4 Depth=1
	v_mov_b32_e32 v40, s23
	v_add_co_u32_e32 v39, vcc, s22, v7
	v_addc_co_u32_e32 v40, vcc, v8, v40, vcc
	global_store_short v[39:40], v41, off
	s_branch .LBB48_3
.LBB48_44:
	s_mov_b64 s[0:1], 0
.LBB48_45:
	s_andn2_b64 vcc, exec, s[0:1]
	s_cbranch_vccnz .LBB48_49
; %bb.46:
	v_mov_b32_e32 v1, 0x10000
	v_mov_b32_e32 v2, 0
	v_cmp_lt_i64_e32 vcc, s[24:25], v[1:2]
	v_mov_b32_e32 v2, 0
	s_and_b64 s[0:1], vcc, exec
	s_cselect_b32 s1, s25, 0
	s_cselect_b32 s0, s24, 0x10000
	v_lshlrev_b32_e32 v1, 2, v0
	v_cmp_gt_i64_e32 vcc, s[0:1], v[1:2]
	s_and_saveexec_b64 s[2:3], vcc
	s_cbranch_execz .LBB48_49
; %bb.47:
	s_load_dword s2, s[4:5], 0xbfc
	v_mov_b32_e32 v1, v2
	v_lshlrev_b32_e32 v2, 3, v0
	v_mov_b32_e32 v3, s23
	v_add_co_u32_e32 v2, vcc, s22, v2
	s_waitcnt lgkmcnt(0)
	s_and_b32 s4, s2, 0xffff
	v_addc_co_u32_e32 v3, vcc, 0, v3, vcc
	s_lshl_b32 s5, s4, 3
	s_mov_b64 s[2:3], 0
	v_mov_b32_e32 v4, s15
	v_mov_b32_e32 v5, s17
	;; [unrolled: 1-line block ×4, first 2 shown]
.LBB48_48:                              ; =>This Inner Loop Header: Depth=1
	v_add_co_u32_e32 v8, vcc, s14, v2
	v_addc_co_u32_e32 v9, vcc, v4, v3, vcc
	v_add_co_u32_e32 v10, vcc, s16, v2
	v_addc_co_u32_e32 v11, vcc, v5, v3, vcc
	;; [unrolled: 2-line block ×3, first 2 shown]
	global_load_dwordx2 v[14:15], v[10:11], off
	global_load_dwordx2 v[16:17], v[12:13], off
	;; [unrolled: 1-line block ×3, first 2 shown]
	v_add_co_u32_e32 v8, vcc, s20, v2
	v_addc_co_u32_e32 v9, vcc, v7, v3, vcc
	v_add_co_u32_e32 v0, vcc, s4, v0
	v_addc_co_u32_e32 v1, vcc, 0, v1, vcc
	v_add_co_u32_e32 v2, vcc, s5, v2
	v_lshlrev_b64 v[10:11], 2, v[0:1]
	v_addc_co_u32_e32 v3, vcc, 0, v3, vcc
	v_cmp_le_i64_e32 vcc, s[0:1], v[10:11]
	s_or_b64 s[2:3], vcc, s[2:3]
	s_waitcnt vmcnt(2)
	v_cvt_f32_i32_sdwa v11, sext(v14) dst_sel:DWORD dst_unused:UNUSED_PAD src0_sel:WORD_0
	s_waitcnt vmcnt(1)
	v_cvt_f32_i32_sdwa v12, sext(v16) dst_sel:DWORD dst_unused:UNUSED_PAD src0_sel:WORD_0
	v_cvt_f32_i32_sdwa v23, sext(v16) dst_sel:DWORD dst_unused:UNUSED_PAD src0_sel:WORD_1
	v_xor_b32_sdwa v10, sext(v14), sext(v16) dst_sel:DWORD dst_unused:UNUSED_PAD src0_sel:WORD_0 src1_sel:WORD_0
	v_xor_b32_sdwa v21, sext(v14), sext(v16) dst_sel:DWORD dst_unused:UNUSED_PAD src0_sel:WORD_1 src1_sel:WORD_1
	v_cvt_f32_i32_sdwa v22, sext(v14) dst_sel:DWORD dst_unused:UNUSED_PAD src0_sel:WORD_1
	v_alignbit_b32 v14, v15, v14, 16
	v_alignbit_b32 v16, v17, v16, 16
	v_xor_b32_sdwa v24, sext(v15), sext(v17) dst_sel:DWORD dst_unused:UNUSED_PAD src0_sel:WORD_1 src1_sel:WORD_1
	v_cvt_f32_i32_sdwa v17, sext(v17) dst_sel:DWORD dst_unused:UNUSED_PAD src0_sel:WORD_1
	v_xor_b32_sdwa v25, sext(v14), sext(v16) dst_sel:DWORD dst_unused:UNUSED_PAD src0_sel:WORD_1 src1_sel:WORD_1
	v_cvt_f32_i32_sdwa v16, sext(v16) dst_sel:DWORD dst_unused:UNUSED_PAD src0_sel:WORD_1
	v_rcp_iflag_f32_e32 v26, v12
	v_rcp_iflag_f32_e32 v27, v23
	v_cvt_f32_i32_sdwa v15, sext(v15) dst_sel:DWORD dst_unused:UNUSED_PAD src0_sel:WORD_1
	v_rcp_iflag_f32_e32 v28, v17
	v_cvt_f32_i32_sdwa v14, sext(v14) dst_sel:DWORD dst_unused:UNUSED_PAD src0_sel:WORD_1
	v_rcp_iflag_f32_e32 v29, v16
	v_mul_f32_e32 v26, v11, v26
	v_mul_f32_e32 v27, v22, v27
	;; [unrolled: 1-line block ×3, first 2 shown]
	v_trunc_f32_e32 v26, v26
	v_trunc_f32_e32 v27, v27
	v_ashrrev_i32_e32 v10, 30, v10
	v_mul_f32_e32 v29, v14, v29
	v_trunc_f32_e32 v28, v28
	v_mad_f32 v11, -v26, v12, v11
	v_cvt_i32_f32_e32 v26, v26
	v_mad_f32 v22, -v27, v23, v22
	v_cvt_i32_f32_e32 v27, v27
	v_ashrrev_i32_e32 v21, 30, v21
	v_or_b32_e32 v10, 1, v10
	v_trunc_f32_e32 v29, v29
	v_mad_f32 v15, -v28, v17, v15
	v_cvt_i32_f32_e32 v28, v28
	v_cmp_ge_f32_e64 vcc, |v11|, |v12|
	v_ashrrev_i32_e32 v24, 30, v24
	v_or_b32_e32 v21, 1, v21
	v_cndmask_b32_e32 v10, 0, v10, vcc
	v_cmp_ge_f32_e64 vcc, |v22|, |v23|
	v_mad_f32 v12, -v29, v16, v14
	v_cvt_i32_f32_e32 v14, v29
	v_ashrrev_i32_e32 v25, 30, v25
	v_or_b32_e32 v24, 1, v24
	v_cndmask_b32_e32 v11, 0, v21, vcc
	v_cmp_ge_f32_e64 vcc, |v15|, |v17|
	s_waitcnt vmcnt(0)
	v_lshrrev_b32_e32 v13, 16, v18
	v_or_b32_e32 v25, 1, v25
	v_cndmask_b32_e32 v15, 0, v24, vcc
	v_cmp_ge_f32_e64 vcc, |v12|, |v16|
	v_add_u32_e32 v10, v26, v10
	v_add_u32_e32 v11, v27, v11
	v_lshrrev_b32_e32 v20, 16, v19
	v_cndmask_b32_e32 v12, 0, v25, vcc
	v_add_u32_e32 v15, v28, v15
	v_mul_lo_u16_e32 v10, s33, v10
	v_mad_legacy_u16 v11, s33, v11, v13
	v_add_u32_e32 v12, v14, v12
	v_mad_legacy_u16 v13, s33, v15, v20
	v_add_u16_e32 v10, v10, v18
	v_lshlrev_b32_e32 v11, 16, v11
	v_mad_legacy_u16 v12, s33, v12, v19
	v_lshlrev_b32_e32 v13, 16, v13
	v_or_b32_e32 v10, v11, v10
	v_or3_b32 v11, v12, 0, v13
	v_or3_b32 v10, 0, v10, 0
	global_store_dwordx2 v[8:9], v[10:11], off
	s_andn2_b64 exec, exec, s[2:3]
	s_cbranch_execnz .LBB48_48
.LBB48_49:
	s_endpgm
	.section	.rodata,"a",@progbits
	.p2align	6, 0x0
	.amdhsa_kernel _ZN2at6native12_GLOBAL__N_125multi_tensor_apply_kernelINS1_18TensorListMetadataILi4EEENS1_24PointwiseOpScalarFunctorIsLi4ELi3ELi3EEEJSt7dividesIsEsEEEvT_T0_DpT1_
		.amdhsa_group_segment_fixed_size 0
		.amdhsa_private_segment_fixed_size 0
		.amdhsa_kernarg_size 3312
		.amdhsa_user_sgpr_count 6
		.amdhsa_user_sgpr_private_segment_buffer 1
		.amdhsa_user_sgpr_dispatch_ptr 0
		.amdhsa_user_sgpr_queue_ptr 0
		.amdhsa_user_sgpr_kernarg_segment_ptr 1
		.amdhsa_user_sgpr_dispatch_id 0
		.amdhsa_user_sgpr_flat_scratch_init 0
		.amdhsa_user_sgpr_private_segment_size 0
		.amdhsa_uses_dynamic_stack 0
		.amdhsa_system_sgpr_private_segment_wavefront_offset 0
		.amdhsa_system_sgpr_workgroup_id_x 1
		.amdhsa_system_sgpr_workgroup_id_y 0
		.amdhsa_system_sgpr_workgroup_id_z 0
		.amdhsa_system_sgpr_workgroup_info 0
		.amdhsa_system_vgpr_workitem_id 0
		.amdhsa_next_free_vgpr 55
		.amdhsa_next_free_sgpr 38
		.amdhsa_reserve_vcc 1
		.amdhsa_reserve_flat_scratch 0
		.amdhsa_float_round_mode_32 0
		.amdhsa_float_round_mode_16_64 0
		.amdhsa_float_denorm_mode_32 3
		.amdhsa_float_denorm_mode_16_64 3
		.amdhsa_dx10_clamp 1
		.amdhsa_ieee_mode 1
		.amdhsa_fp16_overflow 0
		.amdhsa_exception_fp_ieee_invalid_op 0
		.amdhsa_exception_fp_denorm_src 0
		.amdhsa_exception_fp_ieee_div_zero 0
		.amdhsa_exception_fp_ieee_overflow 0
		.amdhsa_exception_fp_ieee_underflow 0
		.amdhsa_exception_fp_ieee_inexact 0
		.amdhsa_exception_int_div_zero 0
	.end_amdhsa_kernel
	.section	.text._ZN2at6native12_GLOBAL__N_125multi_tensor_apply_kernelINS1_18TensorListMetadataILi4EEENS1_24PointwiseOpScalarFunctorIsLi4ELi3ELi3EEEJSt7dividesIsEsEEEvT_T0_DpT1_,"axG",@progbits,_ZN2at6native12_GLOBAL__N_125multi_tensor_apply_kernelINS1_18TensorListMetadataILi4EEENS1_24PointwiseOpScalarFunctorIsLi4ELi3ELi3EEEJSt7dividesIsEsEEEvT_T0_DpT1_,comdat
.Lfunc_end48:
	.size	_ZN2at6native12_GLOBAL__N_125multi_tensor_apply_kernelINS1_18TensorListMetadataILi4EEENS1_24PointwiseOpScalarFunctorIsLi4ELi3ELi3EEEJSt7dividesIsEsEEEvT_T0_DpT1_, .Lfunc_end48-_ZN2at6native12_GLOBAL__N_125multi_tensor_apply_kernelINS1_18TensorListMetadataILi4EEENS1_24PointwiseOpScalarFunctorIsLi4ELi3ELi3EEEJSt7dividesIsEsEEEvT_T0_DpT1_
                                        ; -- End function
	.set _ZN2at6native12_GLOBAL__N_125multi_tensor_apply_kernelINS1_18TensorListMetadataILi4EEENS1_24PointwiseOpScalarFunctorIsLi4ELi3ELi3EEEJSt7dividesIsEsEEEvT_T0_DpT1_.num_vgpr, 55
	.set _ZN2at6native12_GLOBAL__N_125multi_tensor_apply_kernelINS1_18TensorListMetadataILi4EEENS1_24PointwiseOpScalarFunctorIsLi4ELi3ELi3EEEJSt7dividesIsEsEEEvT_T0_DpT1_.num_agpr, 0
	.set _ZN2at6native12_GLOBAL__N_125multi_tensor_apply_kernelINS1_18TensorListMetadataILi4EEENS1_24PointwiseOpScalarFunctorIsLi4ELi3ELi3EEEJSt7dividesIsEsEEEvT_T0_DpT1_.numbered_sgpr, 38
	.set _ZN2at6native12_GLOBAL__N_125multi_tensor_apply_kernelINS1_18TensorListMetadataILi4EEENS1_24PointwiseOpScalarFunctorIsLi4ELi3ELi3EEEJSt7dividesIsEsEEEvT_T0_DpT1_.num_named_barrier, 0
	.set _ZN2at6native12_GLOBAL__N_125multi_tensor_apply_kernelINS1_18TensorListMetadataILi4EEENS1_24PointwiseOpScalarFunctorIsLi4ELi3ELi3EEEJSt7dividesIsEsEEEvT_T0_DpT1_.private_seg_size, 0
	.set _ZN2at6native12_GLOBAL__N_125multi_tensor_apply_kernelINS1_18TensorListMetadataILi4EEENS1_24PointwiseOpScalarFunctorIsLi4ELi3ELi3EEEJSt7dividesIsEsEEEvT_T0_DpT1_.uses_vcc, 1
	.set _ZN2at6native12_GLOBAL__N_125multi_tensor_apply_kernelINS1_18TensorListMetadataILi4EEENS1_24PointwiseOpScalarFunctorIsLi4ELi3ELi3EEEJSt7dividesIsEsEEEvT_T0_DpT1_.uses_flat_scratch, 0
	.set _ZN2at6native12_GLOBAL__N_125multi_tensor_apply_kernelINS1_18TensorListMetadataILi4EEENS1_24PointwiseOpScalarFunctorIsLi4ELi3ELi3EEEJSt7dividesIsEsEEEvT_T0_DpT1_.has_dyn_sized_stack, 0
	.set _ZN2at6native12_GLOBAL__N_125multi_tensor_apply_kernelINS1_18TensorListMetadataILi4EEENS1_24PointwiseOpScalarFunctorIsLi4ELi3ELi3EEEJSt7dividesIsEsEEEvT_T0_DpT1_.has_recursion, 0
	.set _ZN2at6native12_GLOBAL__N_125multi_tensor_apply_kernelINS1_18TensorListMetadataILi4EEENS1_24PointwiseOpScalarFunctorIsLi4ELi3ELi3EEEJSt7dividesIsEsEEEvT_T0_DpT1_.has_indirect_call, 0
	.section	.AMDGPU.csdata,"",@progbits
; Kernel info:
; codeLenInByte = 2444
; TotalNumSgprs: 42
; NumVgprs: 55
; ScratchSize: 0
; MemoryBound: 0
; FloatMode: 240
; IeeeMode: 1
; LDSByteSize: 0 bytes/workgroup (compile time only)
; SGPRBlocks: 5
; VGPRBlocks: 13
; NumSGPRsForWavesPerEU: 42
; NumVGPRsForWavesPerEU: 55
; Occupancy: 4
; WaveLimiterHint : 0
; COMPUTE_PGM_RSRC2:SCRATCH_EN: 0
; COMPUTE_PGM_RSRC2:USER_SGPR: 6
; COMPUTE_PGM_RSRC2:TRAP_HANDLER: 0
; COMPUTE_PGM_RSRC2:TGID_X_EN: 1
; COMPUTE_PGM_RSRC2:TGID_Y_EN: 0
; COMPUTE_PGM_RSRC2:TGID_Z_EN: 0
; COMPUTE_PGM_RSRC2:TIDIG_COMP_CNT: 0
	.section	.text._ZN2at6native12_GLOBAL__N_125multi_tensor_apply_kernelINS1_18TensorListMetadataILi4EEENS1_24PointwiseOpScalarFunctorIdLi4ELi3ELi3EEEJSt7dividesIdEdEEEvT_T0_DpT1_,"axG",@progbits,_ZN2at6native12_GLOBAL__N_125multi_tensor_apply_kernelINS1_18TensorListMetadataILi4EEENS1_24PointwiseOpScalarFunctorIdLi4ELi3ELi3EEEJSt7dividesIdEdEEEvT_T0_DpT1_,comdat
	.globl	_ZN2at6native12_GLOBAL__N_125multi_tensor_apply_kernelINS1_18TensorListMetadataILi4EEENS1_24PointwiseOpScalarFunctorIdLi4ELi3ELi3EEEJSt7dividesIdEdEEEvT_T0_DpT1_ ; -- Begin function _ZN2at6native12_GLOBAL__N_125multi_tensor_apply_kernelINS1_18TensorListMetadataILi4EEENS1_24PointwiseOpScalarFunctorIdLi4ELi3ELi3EEEJSt7dividesIdEdEEEvT_T0_DpT1_
	.p2align	8
	.type	_ZN2at6native12_GLOBAL__N_125multi_tensor_apply_kernelINS1_18TensorListMetadataILi4EEENS1_24PointwiseOpScalarFunctorIdLi4ELi3ELi3EEEJSt7dividesIdEdEEEvT_T0_DpT1_,@function
_ZN2at6native12_GLOBAL__N_125multi_tensor_apply_kernelINS1_18TensorListMetadataILi4EEENS1_24PointwiseOpScalarFunctorIdLi4ELi3ELi3EEEJSt7dividesIdEdEEEvT_T0_DpT1_: ; @_ZN2at6native12_GLOBAL__N_125multi_tensor_apply_kernelINS1_18TensorListMetadataILi4EEENS1_24PointwiseOpScalarFunctorIdLi4ELi3ELi3EEEJSt7dividesIdEdEEEvT_T0_DpT1_
; %bb.0:
	v_mov_b32_e32 v1, s6
	global_load_ubyte v1, v1, s[4:5] offset:1440
	s_add_u32 s0, s4, s6
	s_mul_hi_u32 s1, s6, 3
	s_mul_i32 s6, s6, 3
	s_addc_u32 s2, s5, 0
	s_add_u32 s0, s0, s6
	s_addc_u32 s1, s2, s1
	s_load_dword s0, s[0:1], 0x6e0
	s_mov_b32 s19, 0
	s_mov_b32 s17, s19
	;; [unrolled: 1-line block ×3, first 2 shown]
	s_waitcnt lgkmcnt(0)
	s_ashr_i32 s1, s0, 31
	s_lshl_b64 s[14:15], s[0:1], 19
	s_waitcnt vmcnt(0)
	v_readfirstlane_b32 s2, v1
	s_lshl_b32 s16, s2, 3
	s_load_dwordx2 s[10:11], s[4:5], s16 offset:0x0
	s_load_dwordx2 s[12:13], s[4:5], 0xbf0
	s_load_dwordx2 s[22:23], s[4:5], s16 offset:0x480
	s_load_dwordx2 s[8:9], s[4:5], s16 offset:0x120
	;; [unrolled: 1-line block ×4, first 2 shown]
	s_waitcnt lgkmcnt(0)
	s_add_u32 s26, s10, s14
	s_addc_u32 s27, s11, s15
	s_and_b32 s18, s26, 31
	s_add_u32 s28, s8, s14
	s_addc_u32 s29, s9, s15
	s_and_b32 s16, s28, 31
	s_cmp_eq_u64 s[16:17], 0
	s_cselect_b64 s[16:17], -1, 0
	s_add_u32 s30, s6, s14
	s_addc_u32 s31, s7, s15
	s_add_u32 s33, s2, s14
	s_addc_u32 s34, s3, s15
	s_or_b32 s20, s33, s30
	s_and_b32 s20, s20, 31
	s_cmp_eq_u32 s20, 0
	s_cselect_b64 s[24:25], -1, 0
	s_lshl_b64 s[0:1], s[0:1], 16
	s_and_b64 s[24:25], s[24:25], s[16:17]
	s_sub_u32 s16, s22, s0
	s_subb_u32 s17, s23, s1
	s_and_b32 s20, s22, 3
	s_or_b64 s[0:1], s[18:19], s[20:21]
	s_cmp_eq_u64 s[0:1], 0
	s_cselect_b64 s[0:1], -1, 0
	s_and_b64 s[18:19], s[24:25], s[0:1]
	s_mov_b64 s[0:1], -1
	s_and_b64 vcc, exec, s[18:19]
	s_cbranch_vccnz .LBB49_29
; %bb.1:
	v_cmp_lt_i64_e64 s[0:1], s[16:17], 1
	s_and_b64 vcc, exec, s[0:1]
	s_cbranch_vccnz .LBB49_28
; %bb.2:
	v_mov_b32_e32 v1, 0x10000
	s_load_dword s20, s[4:5], 0xc04
	v_mov_b32_e32 v2, 0
	v_cmp_lt_i64_e32 vcc, s[16:17], v[1:2]
	v_mov_b32_e32 v3, 0
	s_and_b64 s[0:1], vcc, exec
	s_cselect_b32 s19, s17, 0
	s_cselect_b32 s18, s16, 0x10000
	v_cmp_lt_u64_e32 vcc, s[16:17], v[1:2]
	s_waitcnt lgkmcnt(0)
	s_and_b32 s22, s20, 0xffff
	v_lshlrev_b32_e32 v2, 3, v0
	v_mad_u64_u32 v[3:4], s[0:1], s22, 24, v[2:3]
	s_and_b64 s[0:1], vcc, exec
	v_mov_b32_e32 v7, s11
	v_add_co_u32_e32 v25, vcc, s10, v3
	v_addc_co_u32_e32 v26, vcc, v7, v4, vcc
	v_mov_b32_e32 v7, s9
	v_add_co_u32_e32 v27, vcc, s8, v3
	v_addc_co_u32_e32 v28, vcc, v7, v4, vcc
	;; [unrolled: 3-line block ×3, first 2 shown]
	v_mov_b32_e32 v7, s3
	v_add_co_u32_e32 v31, vcc, s2, v3
	s_cselect_b32 s21, s17, 0
	s_cselect_b32 s20, s16, 0x10000
	v_addc_co_u32_e32 v32, vcc, v7, v4, vcc
	s_lshl_b32 s0, s22, 4
	v_add_co_u32_e32 v4, vcc, s0, v2
	v_addc_co_u32_e64 v7, s[0:1], 0, 0, vcc
	v_mov_b32_e32 v8, s11
	v_add_co_u32_e32 v33, vcc, s10, v4
	v_addc_co_u32_e32 v34, vcc, v8, v7, vcc
	v_mov_b32_e32 v8, s9
	v_add_co_u32_e32 v35, vcc, s8, v4
	v_addc_co_u32_e32 v36, vcc, v8, v7, vcc
	;; [unrolled: 3-line block ×8, first 2 shown]
	v_add_co_u32_e32 v49, vcc, s22, v0
	v_lshlrev_b32_e32 v1, 3, v49
	s_lshl_b32 s24, s22, 1
	s_mul_i32 s25, s22, 3
	s_lshl_b32 s35, s22, 2
	s_lshl_b32 s36, s22, 5
	v_addc_co_u32_e64 v50, s[22:23], 0, 0, vcc
	v_mov_b32_e32 v2, s11
	v_add_co_u32_e32 v51, vcc, s10, v1
	v_addc_co_u32_e32 v52, vcc, 0, v2, vcc
	v_mov_b32_e32 v2, s9
	v_add_co_u32_e32 v53, vcc, s8, v1
	v_cmp_eq_f64_e64 s[0:1], s[12:13], 1.0
	v_addc_co_u32_e32 v54, vcc, 0, v2, vcc
	v_mov_b32_e32 v2, s7
	v_add_co_u32_e32 v55, vcc, s6, v1
	v_addc_co_u32_e32 v56, vcc, 0, v2, vcc
	v_mov_b32_e32 v2, s3
	v_add_co_u32_e32 v57, vcc, s2, v1
	v_addc_co_u32_e32 v58, vcc, 0, v2, vcc
	v_add_co_u32_e32 v59, vcc, s25, v0
	v_addc_co_u32_e64 v60, s[2:3], 0, 0, vcc
	v_add_co_u32_e32 v61, vcc, s24, v0
	s_mov_b64 s[22:23], 0
	v_addc_co_u32_e64 v62, s[2:3], 0, 0, vcc
	s_branch .LBB49_4
.LBB49_3:                               ;   in Loop: Header=BB49_4 Depth=1
	s_or_b64 exec, exec, s[2:3]
	v_add_co_u32_e32 v41, vcc, s36, v41
	v_addc_co_u32_e32 v42, vcc, 0, v42, vcc
	v_add_co_u32_e32 v43, vcc, s36, v43
	v_addc_co_u32_e32 v44, vcc, 0, v44, vcc
	v_add_co_u32_e32 v45, vcc, s36, v45
	v_addc_co_u32_e32 v46, vcc, 0, v46, vcc
	v_add_co_u32_e32 v47, vcc, s36, v47
	v_addc_co_u32_e32 v48, vcc, 0, v48, vcc
	v_add_co_u32_e32 v25, vcc, s36, v25
	v_addc_co_u32_e32 v26, vcc, 0, v26, vcc
	v_add_co_u32_e32 v27, vcc, s36, v27
	v_addc_co_u32_e32 v28, vcc, 0, v28, vcc
	v_add_co_u32_e32 v29, vcc, s36, v29
	v_addc_co_u32_e32 v30, vcc, 0, v30, vcc
	v_add_co_u32_e32 v31, vcc, s36, v31
	v_addc_co_u32_e32 v32, vcc, 0, v32, vcc
	v_add_co_u32_e32 v33, vcc, s36, v33
	v_addc_co_u32_e32 v34, vcc, 0, v34, vcc
	v_add_co_u32_e32 v35, vcc, s36, v35
	v_addc_co_u32_e32 v36, vcc, 0, v36, vcc
	v_add_co_u32_e32 v37, vcc, s36, v37
	v_addc_co_u32_e32 v38, vcc, 0, v38, vcc
	v_add_co_u32_e32 v39, vcc, s36, v39
	v_addc_co_u32_e32 v40, vcc, 0, v40, vcc
	v_add_co_u32_e32 v51, vcc, s36, v51
	v_addc_co_u32_e32 v52, vcc, 0, v52, vcc
	v_add_co_u32_e32 v53, vcc, s36, v53
	v_addc_co_u32_e32 v54, vcc, 0, v54, vcc
	s_add_u32 s22, s22, s35
	v_add_co_u32_e32 v55, vcc, s36, v55
	s_waitcnt vmcnt(0)
	v_mov_b32_e32 v1, s18
	s_addc_u32 s23, s23, 0
	v_addc_co_u32_e32 v56, vcc, 0, v56, vcc
	v_mov_b32_e32 v2, s19
	v_cmp_lt_i64_e32 vcc, s[22:23], v[1:2]
	v_add_co_u32_e64 v57, s[2:3], s36, v57
	v_addc_co_u32_e64 v58, s[2:3], 0, v58, s[2:3]
	s_cbranch_vccz .LBB49_28
.LBB49_4:                               ; =>This Inner Loop Header: Depth=1
	v_mov_b32_e32 v2, s23
	v_add_co_u32_e32 v1, vcc, s22, v0
	v_addc_co_u32_e32 v2, vcc, 0, v2, vcc
	v_cmp_gt_u64_e32 vcc, s[20:21], v[1:2]
	v_mov_b32_e32 v1, 0
	v_mov_b32_e32 v5, 0
	;; [unrolled: 1-line block ×6, first 2 shown]
	s_and_saveexec_b64 s[6:7], vcc
	s_cbranch_execz .LBB49_6
; %bb.5:                                ;   in Loop: Header=BB49_4 Depth=1
	v_mov_b32_e32 v3, s15
	v_add_co_u32_e64 v7, s[2:3], s14, v41
	v_addc_co_u32_e64 v8, s[2:3], v42, v3, s[2:3]
	v_add_co_u32_e64 v9, s[2:3], s14, v43
	v_addc_co_u32_e64 v10, s[2:3], v44, v3, s[2:3]
	global_load_dwordx2 v[3:4], v[7:8], off
	global_load_dwordx2 v[5:6], v[9:10], off
.LBB49_6:                               ;   in Loop: Header=BB49_4 Depth=1
	s_or_b64 exec, exec, s[6:7]
	s_and_saveexec_b64 s[6:7], vcc
	s_cbranch_execz .LBB49_8
; %bb.7:                                ;   in Loop: Header=BB49_4 Depth=1
	v_mov_b32_e32 v2, s15
	v_add_co_u32_e64 v1, s[2:3], s14, v45
	v_addc_co_u32_e64 v2, s[2:3], v46, v2, s[2:3]
	global_load_dwordx2 v[1:2], v[1:2], off
.LBB49_8:                               ;   in Loop: Header=BB49_4 Depth=1
	s_or_b64 exec, exec, s[6:7]
	v_mov_b32_e32 v8, s23
	v_add_co_u32_e64 v7, s[2:3], s22, v49
	v_addc_co_u32_e64 v8, s[2:3], v50, v8, s[2:3]
	v_cmp_gt_u64_e64 s[2:3], s[20:21], v[7:8]
	v_mov_b32_e32 v7, 0
	v_mov_b32_e32 v11, 0
	;; [unrolled: 1-line block ×6, first 2 shown]
	s_and_saveexec_b64 s[8:9], s[2:3]
	s_cbranch_execz .LBB49_10
; %bb.9:                                ;   in Loop: Header=BB49_4 Depth=1
	v_mov_b32_e32 v9, s15
	v_add_co_u32_e64 v13, s[6:7], s14, v51
	v_addc_co_u32_e64 v14, s[6:7], v52, v9, s[6:7]
	v_add_co_u32_e64 v15, s[6:7], s14, v53
	v_addc_co_u32_e64 v16, s[6:7], v54, v9, s[6:7]
	global_load_dwordx2 v[9:10], v[13:14], off
	global_load_dwordx2 v[11:12], v[15:16], off
.LBB49_10:                              ;   in Loop: Header=BB49_4 Depth=1
	s_or_b64 exec, exec, s[8:9]
	s_and_saveexec_b64 s[8:9], s[2:3]
	s_cbranch_execz .LBB49_12
; %bb.11:                               ;   in Loop: Header=BB49_4 Depth=1
	v_mov_b32_e32 v8, s15
	v_add_co_u32_e64 v7, s[6:7], s14, v55
	v_addc_co_u32_e64 v8, s[6:7], v56, v8, s[6:7]
	global_load_dwordx2 v[7:8], v[7:8], off
.LBB49_12:                              ;   in Loop: Header=BB49_4 Depth=1
	s_or_b64 exec, exec, s[8:9]
	v_mov_b32_e32 v14, s23
	v_add_co_u32_e64 v13, s[6:7], s22, v61
	v_addc_co_u32_e64 v14, s[6:7], v62, v14, s[6:7]
	v_cmp_gt_u64_e64 s[6:7], s[20:21], v[13:14]
	v_mov_b32_e32 v13, 0
	v_mov_b32_e32 v17, 0
	;; [unrolled: 1-line block ×6, first 2 shown]
	s_and_saveexec_b64 s[10:11], s[6:7]
	s_cbranch_execz .LBB49_14
; %bb.13:                               ;   in Loop: Header=BB49_4 Depth=1
	v_mov_b32_e32 v15, s15
	v_add_co_u32_e64 v19, s[8:9], s14, v33
	v_addc_co_u32_e64 v20, s[8:9], v34, v15, s[8:9]
	v_add_co_u32_e64 v21, s[8:9], s14, v35
	v_addc_co_u32_e64 v22, s[8:9], v36, v15, s[8:9]
	global_load_dwordx2 v[15:16], v[19:20], off
	global_load_dwordx2 v[17:18], v[21:22], off
.LBB49_14:                              ;   in Loop: Header=BB49_4 Depth=1
	s_or_b64 exec, exec, s[10:11]
	s_and_saveexec_b64 s[10:11], s[6:7]
	s_cbranch_execz .LBB49_16
; %bb.15:                               ;   in Loop: Header=BB49_4 Depth=1
	v_mov_b32_e32 v14, s15
	v_add_co_u32_e64 v13, s[8:9], s14, v37
	v_addc_co_u32_e64 v14, s[8:9], v38, v14, s[8:9]
	global_load_dwordx2 v[13:14], v[13:14], off
.LBB49_16:                              ;   in Loop: Header=BB49_4 Depth=1
	s_or_b64 exec, exec, s[10:11]
	v_mov_b32_e32 v20, s23
	v_add_co_u32_e64 v19, s[8:9], s22, v59
	v_addc_co_u32_e64 v20, s[8:9], v60, v20, s[8:9]
	v_cmp_gt_u64_e64 s[8:9], s[20:21], v[19:20]
	v_mov_b32_e32 v19, 0
	v_mov_b32_e32 v23, 0
	;; [unrolled: 1-line block ×6, first 2 shown]
	s_and_saveexec_b64 s[24:25], s[8:9]
	s_cbranch_execnz .LBB49_22
; %bb.17:                               ;   in Loop: Header=BB49_4 Depth=1
	s_or_b64 exec, exec, s[24:25]
	s_and_saveexec_b64 s[24:25], s[8:9]
	s_cbranch_execnz .LBB49_23
.LBB49_18:                              ;   in Loop: Header=BB49_4 Depth=1
	s_or_b64 exec, exec, s[24:25]
	s_and_saveexec_b64 s[10:11], vcc
	s_cbranch_execnz .LBB49_24
.LBB49_19:                              ;   in Loop: Header=BB49_4 Depth=1
	s_or_b64 exec, exec, s[10:11]
	s_and_saveexec_b64 s[10:11], s[2:3]
	s_cbranch_execnz .LBB49_25
.LBB49_20:                              ;   in Loop: Header=BB49_4 Depth=1
	s_or_b64 exec, exec, s[10:11]
	s_and_saveexec_b64 s[2:3], s[6:7]
	s_cbranch_execnz .LBB49_26
.LBB49_21:                              ;   in Loop: Header=BB49_4 Depth=1
	s_or_b64 exec, exec, s[2:3]
	s_and_saveexec_b64 s[2:3], s[8:9]
	s_cbranch_execz .LBB49_3
	s_branch .LBB49_27
.LBB49_22:                              ;   in Loop: Header=BB49_4 Depth=1
	v_mov_b32_e32 v24, s15
	v_add_co_u32_e64 v21, s[10:11], s14, v25
	v_addc_co_u32_e64 v22, s[10:11], v26, v24, s[10:11]
	v_add_co_u32_e64 v23, s[10:11], s14, v27
	v_addc_co_u32_e64 v24, s[10:11], v28, v24, s[10:11]
	global_load_dwordx2 v[21:22], v[21:22], off
	s_nop 0
	global_load_dwordx2 v[23:24], v[23:24], off
	s_or_b64 exec, exec, s[24:25]
	s_and_saveexec_b64 s[24:25], s[8:9]
	s_cbranch_execz .LBB49_18
.LBB49_23:                              ;   in Loop: Header=BB49_4 Depth=1
	v_mov_b32_e32 v20, s15
	v_add_co_u32_e64 v19, s[10:11], s14, v29
	v_addc_co_u32_e64 v20, s[10:11], v30, v20, s[10:11]
	global_load_dwordx2 v[19:20], v[19:20], off
	s_or_b64 exec, exec, s[24:25]
	s_and_saveexec_b64 s[10:11], vcc
	s_cbranch_execz .LBB49_19
.LBB49_24:                              ;   in Loop: Header=BB49_4 Depth=1
	s_waitcnt vmcnt(0)
	v_div_scale_f64 v[63:64], s[24:25], v[1:2], v[1:2], v[5:6]
	v_rcp_f64_e32 v[65:66], v[63:64]
	v_fma_f64 v[67:68], -v[63:64], v[65:66], 1.0
	v_fma_f64 v[65:66], v[65:66], v[67:68], v[65:66]
	v_div_scale_f64 v[67:68], vcc, v[5:6], v[1:2], v[5:6]
	v_fma_f64 v[69:70], -v[63:64], v[65:66], 1.0
	v_fma_f64 v[65:66], v[65:66], v[69:70], v[65:66]
	v_mul_f64 v[69:70], v[67:68], v[65:66]
	v_fma_f64 v[63:64], -v[63:64], v[69:70], v[67:68]
	v_div_fmas_f64 v[63:64], v[63:64], v[65:66], v[69:70]
	v_div_fixup_f64 v[1:2], v[63:64], v[1:2], v[5:6]
	v_add_f64 v[5:6], v[3:4], v[1:2]
	v_fma_f64 v[1:2], s[12:13], v[1:2], v[3:4]
	v_mov_b32_e32 v4, s15
	v_add_co_u32_e32 v3, vcc, s14, v47
	v_addc_co_u32_e32 v4, vcc, v48, v4, vcc
	v_cndmask_b32_e64 v2, v2, v6, s[0:1]
	v_cndmask_b32_e64 v1, v1, v5, s[0:1]
	global_store_dwordx2 v[3:4], v[1:2], off
	s_or_b64 exec, exec, s[10:11]
	s_and_saveexec_b64 s[10:11], s[2:3]
	s_cbranch_execz .LBB49_20
.LBB49_25:                              ;   in Loop: Header=BB49_4 Depth=1
	s_waitcnt vmcnt(0)
	v_div_scale_f64 v[1:2], s[2:3], v[7:8], v[7:8], v[11:12]
	v_rcp_f64_e32 v[3:4], v[1:2]
	v_fma_f64 v[5:6], -v[1:2], v[3:4], 1.0
	v_fma_f64 v[3:4], v[3:4], v[5:6], v[3:4]
	v_div_scale_f64 v[5:6], vcc, v[11:12], v[7:8], v[11:12]
	v_fma_f64 v[63:64], -v[1:2], v[3:4], 1.0
	v_fma_f64 v[3:4], v[3:4], v[63:64], v[3:4]
	v_mul_f64 v[63:64], v[5:6], v[3:4]
	v_fma_f64 v[1:2], -v[1:2], v[63:64], v[5:6]
	v_mov_b32_e32 v5, s15
	v_div_fmas_f64 v[1:2], v[1:2], v[3:4], v[63:64]
	v_div_fixup_f64 v[1:2], v[1:2], v[7:8], v[11:12]
	v_add_f64 v[3:4], v[9:10], v[1:2]
	v_fma_f64 v[1:2], s[12:13], v[1:2], v[9:10]
	v_cndmask_b32_e64 v1, v1, v3, s[0:1]
	v_add_co_u32_e32 v3, vcc, s14, v57
	v_cndmask_b32_e64 v2, v2, v4, s[0:1]
	v_addc_co_u32_e32 v4, vcc, v58, v5, vcc
	global_store_dwordx2 v[3:4], v[1:2], off
	s_or_b64 exec, exec, s[10:11]
	s_and_saveexec_b64 s[2:3], s[6:7]
	s_cbranch_execz .LBB49_21
.LBB49_26:                              ;   in Loop: Header=BB49_4 Depth=1
	s_waitcnt vmcnt(0)
	v_div_scale_f64 v[1:2], s[6:7], v[13:14], v[13:14], v[17:18]
	v_rcp_f64_e32 v[3:4], v[1:2]
	v_fma_f64 v[5:6], -v[1:2], v[3:4], 1.0
	v_fma_f64 v[3:4], v[3:4], v[5:6], v[3:4]
	v_div_scale_f64 v[5:6], vcc, v[17:18], v[13:14], v[17:18]
	v_fma_f64 v[7:8], -v[1:2], v[3:4], 1.0
	v_fma_f64 v[3:4], v[3:4], v[7:8], v[3:4]
	v_mul_f64 v[7:8], v[5:6], v[3:4]
	v_fma_f64 v[1:2], -v[1:2], v[7:8], v[5:6]
	v_mov_b32_e32 v5, s15
	v_div_fmas_f64 v[1:2], v[1:2], v[3:4], v[7:8]
	v_div_fixup_f64 v[1:2], v[1:2], v[13:14], v[17:18]
	v_add_f64 v[3:4], v[15:16], v[1:2]
	v_fma_f64 v[1:2], s[12:13], v[1:2], v[15:16]
	v_cndmask_b32_e64 v1, v1, v3, s[0:1]
	v_add_co_u32_e32 v3, vcc, s14, v39
	v_cndmask_b32_e64 v2, v2, v4, s[0:1]
	v_addc_co_u32_e32 v4, vcc, v40, v5, vcc
	global_store_dwordx2 v[3:4], v[1:2], off
	s_or_b64 exec, exec, s[2:3]
	s_and_saveexec_b64 s[2:3], s[8:9]
	s_cbranch_execz .LBB49_3
.LBB49_27:                              ;   in Loop: Header=BB49_4 Depth=1
	s_waitcnt vmcnt(0)
	v_div_scale_f64 v[1:2], s[6:7], v[19:20], v[19:20], v[23:24]
	v_rcp_f64_e32 v[3:4], v[1:2]
	v_fma_f64 v[5:6], -v[1:2], v[3:4], 1.0
	v_fma_f64 v[3:4], v[3:4], v[5:6], v[3:4]
	v_div_scale_f64 v[5:6], vcc, v[23:24], v[19:20], v[23:24]
	v_fma_f64 v[7:8], -v[1:2], v[3:4], 1.0
	v_fma_f64 v[3:4], v[3:4], v[7:8], v[3:4]
	v_mul_f64 v[7:8], v[5:6], v[3:4]
	v_fma_f64 v[1:2], -v[1:2], v[7:8], v[5:6]
	v_mov_b32_e32 v5, s15
	v_div_fmas_f64 v[1:2], v[1:2], v[3:4], v[7:8]
	v_div_fixup_f64 v[1:2], v[1:2], v[19:20], v[23:24]
	v_add_f64 v[3:4], v[21:22], v[1:2]
	v_fma_f64 v[1:2], s[12:13], v[1:2], v[21:22]
	v_cndmask_b32_e64 v1, v1, v3, s[0:1]
	v_add_co_u32_e32 v3, vcc, s14, v31
	v_cndmask_b32_e64 v2, v2, v4, s[0:1]
	v_addc_co_u32_e32 v4, vcc, v32, v5, vcc
	global_store_dwordx2 v[3:4], v[1:2], off
	s_branch .LBB49_3
.LBB49_28:
	s_mov_b64 s[0:1], 0
.LBB49_29:
	s_andn2_b64 vcc, exec, s[0:1]
	s_cbranch_vccnz .LBB49_33
; %bb.30:
	v_mov_b32_e32 v1, 0x10000
	v_mov_b32_e32 v2, 0
	v_cmp_lt_i64_e32 vcc, s[16:17], v[1:2]
	v_mov_b32_e32 v2, 0
	s_and_b64 s[0:1], vcc, exec
	s_cselect_b32 s9, s17, 0
	s_cselect_b32 s8, s16, 0x10000
	v_lshlrev_b32_e32 v1, 2, v0
	v_cmp_gt_i64_e32 vcc, s[8:9], v[1:2]
	s_and_saveexec_b64 s[0:1], vcc
	s_cbranch_execz .LBB49_33
; %bb.31:
	v_cmp_eq_f64_e64 s[0:1], s[12:13], 1.0
	s_load_dword s2, s[4:5], 0xc04
	v_mov_b32_e32 v1, v2
	v_lshlrev_b32_e32 v2, 5, v0
	s_mov_b64 s[10:11], 0
	s_waitcnt lgkmcnt(0)
	s_and_b32 s14, s2, 0xffff
	s_lshl_b32 s15, s14, 5
.LBB49_32:                              ; =>This Inner Loop Header: Depth=1
	v_mov_b32_e32 v4, s31
	v_add_co_u32_e32 v19, vcc, s30, v2
	v_mov_b32_e32 v3, s29
	v_add_co_u32_e64 v21, s[2:3], s28, v2
	v_addc_co_u32_e32 v20, vcc, 0, v4, vcc
	v_addc_co_u32_e64 v22, s[2:3], 0, v3, s[2:3]
	global_load_dwordx4 v[3:6], v[19:20], off
	global_load_dwordx4 v[7:10], v[21:22], off
	global_load_dwordx4 v[11:14], v[21:22], off offset:16
	global_load_dwordx4 v[15:18], v[19:20], off offset:16
	v_add_co_u32_e64 v0, s[2:3], s14, v0
	v_addc_co_u32_e64 v1, s[2:3], 0, v1, s[2:3]
	v_mov_b32_e32 v19, s27
	v_add_co_u32_e64 v29, s[2:3], s26, v2
	v_addc_co_u32_e64 v30, s[2:3], 0, v19, s[2:3]
	v_mov_b32_e32 v20, s34
	v_add_co_u32_e32 v27, vcc, s33, v2
	v_addc_co_u32_e32 v28, vcc, 0, v20, vcc
	global_load_dwordx4 v[19:22], v[29:30], off offset:16
	global_load_dwordx4 v[23:26], v[29:30], off
	s_add_u32 s33, s33, s15
	s_addc_u32 s34, s34, 0
	s_add_u32 s26, s26, s15
	s_addc_u32 s27, s27, 0
	v_lshlrev_b64 v[31:32], 2, v[0:1]
	s_add_u32 s30, s30, s15
	s_addc_u32 s31, s31, 0
	s_add_u32 s28, s28, s15
	s_addc_u32 s29, s29, 0
	s_waitcnt vmcnt(4)
	v_div_scale_f64 v[33:34], s[2:3], v[3:4], v[3:4], v[7:8]
	v_div_scale_f64 v[35:36], s[2:3], v[5:6], v[5:6], v[9:10]
	s_waitcnt vmcnt(2)
	v_div_scale_f64 v[37:38], s[2:3], v[15:16], v[15:16], v[11:12]
	v_div_scale_f64 v[39:40], s[2:3], v[17:18], v[17:18], v[13:14]
	v_div_scale_f64 v[29:30], vcc, v[7:8], v[3:4], v[7:8]
	v_div_scale_f64 v[49:50], s[2:3], v[9:10], v[5:6], v[9:10]
	v_div_scale_f64 v[51:52], s[4:5], v[11:12], v[15:16], v[11:12]
	v_div_scale_f64 v[53:54], s[6:7], v[13:14], v[17:18], v[13:14]
	v_rcp_f64_e32 v[41:42], v[33:34]
	v_rcp_f64_e32 v[43:44], v[35:36]
	;; [unrolled: 1-line block ×4, first 2 shown]
	v_fma_f64 v[55:56], -v[33:34], v[41:42], 1.0
	v_fma_f64 v[57:58], -v[35:36], v[43:44], 1.0
	;; [unrolled: 1-line block ×4, first 2 shown]
	v_fma_f64 v[41:42], v[41:42], v[55:56], v[41:42]
	v_fma_f64 v[43:44], v[43:44], v[57:58], v[43:44]
	;; [unrolled: 1-line block ×4, first 2 shown]
	v_fma_f64 v[55:56], -v[33:34], v[41:42], 1.0
	v_fma_f64 v[57:58], -v[35:36], v[43:44], 1.0
	;; [unrolled: 1-line block ×4, first 2 shown]
	v_fma_f64 v[41:42], v[41:42], v[55:56], v[41:42]
	v_fma_f64 v[43:44], v[43:44], v[57:58], v[43:44]
	;; [unrolled: 1-line block ×4, first 2 shown]
	v_mul_f64 v[55:56], v[29:30], v[41:42]
	v_mul_f64 v[57:58], v[49:50], v[43:44]
	;; [unrolled: 1-line block ×4, first 2 shown]
	v_fma_f64 v[29:30], -v[33:34], v[55:56], v[29:30]
	v_fma_f64 v[33:34], -v[35:36], v[57:58], v[49:50]
	;; [unrolled: 1-line block ×4, first 2 shown]
	v_div_fmas_f64 v[29:30], v[29:30], v[41:42], v[55:56]
	s_mov_b64 vcc, s[2:3]
	v_div_fmas_f64 v[33:34], v[33:34], v[43:44], v[57:58]
	s_mov_b64 vcc, s[4:5]
	;; [unrolled: 2-line block ×3, first 2 shown]
	v_div_fmas_f64 v[37:38], v[37:38], v[47:48], v[61:62]
	v_cmp_le_i64_e32 vcc, s[8:9], v[31:32]
	s_or_b64 s[10:11], vcc, s[10:11]
	v_div_fixup_f64 v[3:4], v[29:30], v[3:4], v[7:8]
	v_div_fixup_f64 v[5:6], v[33:34], v[5:6], v[9:10]
	v_div_fixup_f64 v[7:8], v[35:36], v[15:16], v[11:12]
	v_div_fixup_f64 v[9:10], v[37:38], v[17:18], v[13:14]
	s_waitcnt vmcnt(0)
	v_add_f64 v[11:12], v[23:24], v[3:4]
	v_fma_f64 v[3:4], s[12:13], v[3:4], v[23:24]
	v_add_f64 v[13:14], v[25:26], v[5:6]
	v_fma_f64 v[5:6], s[12:13], v[5:6], v[25:26]
	;; [unrolled: 2-line block ×4, first 2 shown]
	v_cndmask_b32_e64 v4, v4, v12, s[0:1]
	v_cndmask_b32_e64 v3, v3, v11, s[0:1]
	;; [unrolled: 1-line block ×8, first 2 shown]
	global_store_dwordx4 v[27:28], v[3:6], off
	global_store_dwordx4 v[27:28], v[7:10], off offset:16
	s_andn2_b64 exec, exec, s[10:11]
	s_cbranch_execnz .LBB49_32
.LBB49_33:
	s_endpgm
	.section	.rodata,"a",@progbits
	.p2align	6, 0x0
	.amdhsa_kernel _ZN2at6native12_GLOBAL__N_125multi_tensor_apply_kernelINS1_18TensorListMetadataILi4EEENS1_24PointwiseOpScalarFunctorIdLi4ELi3ELi3EEEJSt7dividesIdEdEEEvT_T0_DpT1_
		.amdhsa_group_segment_fixed_size 0
		.amdhsa_private_segment_fixed_size 0
		.amdhsa_kernarg_size 3320
		.amdhsa_user_sgpr_count 6
		.amdhsa_user_sgpr_private_segment_buffer 1
		.amdhsa_user_sgpr_dispatch_ptr 0
		.amdhsa_user_sgpr_queue_ptr 0
		.amdhsa_user_sgpr_kernarg_segment_ptr 1
		.amdhsa_user_sgpr_dispatch_id 0
		.amdhsa_user_sgpr_flat_scratch_init 0
		.amdhsa_user_sgpr_private_segment_size 0
		.amdhsa_uses_dynamic_stack 0
		.amdhsa_system_sgpr_private_segment_wavefront_offset 0
		.amdhsa_system_sgpr_workgroup_id_x 1
		.amdhsa_system_sgpr_workgroup_id_y 0
		.amdhsa_system_sgpr_workgroup_id_z 0
		.amdhsa_system_sgpr_workgroup_info 0
		.amdhsa_system_vgpr_workitem_id 0
		.amdhsa_next_free_vgpr 71
		.amdhsa_next_free_sgpr 37
		.amdhsa_reserve_vcc 1
		.amdhsa_reserve_flat_scratch 0
		.amdhsa_float_round_mode_32 0
		.amdhsa_float_round_mode_16_64 0
		.amdhsa_float_denorm_mode_32 3
		.amdhsa_float_denorm_mode_16_64 3
		.amdhsa_dx10_clamp 1
		.amdhsa_ieee_mode 1
		.amdhsa_fp16_overflow 0
		.amdhsa_exception_fp_ieee_invalid_op 0
		.amdhsa_exception_fp_denorm_src 0
		.amdhsa_exception_fp_ieee_div_zero 0
		.amdhsa_exception_fp_ieee_overflow 0
		.amdhsa_exception_fp_ieee_underflow 0
		.amdhsa_exception_fp_ieee_inexact 0
		.amdhsa_exception_int_div_zero 0
	.end_amdhsa_kernel
	.section	.text._ZN2at6native12_GLOBAL__N_125multi_tensor_apply_kernelINS1_18TensorListMetadataILi4EEENS1_24PointwiseOpScalarFunctorIdLi4ELi3ELi3EEEJSt7dividesIdEdEEEvT_T0_DpT1_,"axG",@progbits,_ZN2at6native12_GLOBAL__N_125multi_tensor_apply_kernelINS1_18TensorListMetadataILi4EEENS1_24PointwiseOpScalarFunctorIdLi4ELi3ELi3EEEJSt7dividesIdEdEEEvT_T0_DpT1_,comdat
.Lfunc_end49:
	.size	_ZN2at6native12_GLOBAL__N_125multi_tensor_apply_kernelINS1_18TensorListMetadataILi4EEENS1_24PointwiseOpScalarFunctorIdLi4ELi3ELi3EEEJSt7dividesIdEdEEEvT_T0_DpT1_, .Lfunc_end49-_ZN2at6native12_GLOBAL__N_125multi_tensor_apply_kernelINS1_18TensorListMetadataILi4EEENS1_24PointwiseOpScalarFunctorIdLi4ELi3ELi3EEEJSt7dividesIdEdEEEvT_T0_DpT1_
                                        ; -- End function
	.set _ZN2at6native12_GLOBAL__N_125multi_tensor_apply_kernelINS1_18TensorListMetadataILi4EEENS1_24PointwiseOpScalarFunctorIdLi4ELi3ELi3EEEJSt7dividesIdEdEEEvT_T0_DpT1_.num_vgpr, 71
	.set _ZN2at6native12_GLOBAL__N_125multi_tensor_apply_kernelINS1_18TensorListMetadataILi4EEENS1_24PointwiseOpScalarFunctorIdLi4ELi3ELi3EEEJSt7dividesIdEdEEEvT_T0_DpT1_.num_agpr, 0
	.set _ZN2at6native12_GLOBAL__N_125multi_tensor_apply_kernelINS1_18TensorListMetadataILi4EEENS1_24PointwiseOpScalarFunctorIdLi4ELi3ELi3EEEJSt7dividesIdEdEEEvT_T0_DpT1_.numbered_sgpr, 37
	.set _ZN2at6native12_GLOBAL__N_125multi_tensor_apply_kernelINS1_18TensorListMetadataILi4EEENS1_24PointwiseOpScalarFunctorIdLi4ELi3ELi3EEEJSt7dividesIdEdEEEvT_T0_DpT1_.num_named_barrier, 0
	.set _ZN2at6native12_GLOBAL__N_125multi_tensor_apply_kernelINS1_18TensorListMetadataILi4EEENS1_24PointwiseOpScalarFunctorIdLi4ELi3ELi3EEEJSt7dividesIdEdEEEvT_T0_DpT1_.private_seg_size, 0
	.set _ZN2at6native12_GLOBAL__N_125multi_tensor_apply_kernelINS1_18TensorListMetadataILi4EEENS1_24PointwiseOpScalarFunctorIdLi4ELi3ELi3EEEJSt7dividesIdEdEEEvT_T0_DpT1_.uses_vcc, 1
	.set _ZN2at6native12_GLOBAL__N_125multi_tensor_apply_kernelINS1_18TensorListMetadataILi4EEENS1_24PointwiseOpScalarFunctorIdLi4ELi3ELi3EEEJSt7dividesIdEdEEEvT_T0_DpT1_.uses_flat_scratch, 0
	.set _ZN2at6native12_GLOBAL__N_125multi_tensor_apply_kernelINS1_18TensorListMetadataILi4EEENS1_24PointwiseOpScalarFunctorIdLi4ELi3ELi3EEEJSt7dividesIdEdEEEvT_T0_DpT1_.has_dyn_sized_stack, 0
	.set _ZN2at6native12_GLOBAL__N_125multi_tensor_apply_kernelINS1_18TensorListMetadataILi4EEENS1_24PointwiseOpScalarFunctorIdLi4ELi3ELi3EEEJSt7dividesIdEdEEEvT_T0_DpT1_.has_recursion, 0
	.set _ZN2at6native12_GLOBAL__N_125multi_tensor_apply_kernelINS1_18TensorListMetadataILi4EEENS1_24PointwiseOpScalarFunctorIdLi4ELi3ELi3EEEJSt7dividesIdEdEEEvT_T0_DpT1_.has_indirect_call, 0
	.section	.AMDGPU.csdata,"",@progbits
; Kernel info:
; codeLenInByte = 2884
; TotalNumSgprs: 41
; NumVgprs: 71
; ScratchSize: 0
; MemoryBound: 0
; FloatMode: 240
; IeeeMode: 1
; LDSByteSize: 0 bytes/workgroup (compile time only)
; SGPRBlocks: 5
; VGPRBlocks: 17
; NumSGPRsForWavesPerEU: 41
; NumVGPRsForWavesPerEU: 71
; Occupancy: 3
; WaveLimiterHint : 0
; COMPUTE_PGM_RSRC2:SCRATCH_EN: 0
; COMPUTE_PGM_RSRC2:USER_SGPR: 6
; COMPUTE_PGM_RSRC2:TRAP_HANDLER: 0
; COMPUTE_PGM_RSRC2:TGID_X_EN: 1
; COMPUTE_PGM_RSRC2:TGID_Y_EN: 0
; COMPUTE_PGM_RSRC2:TGID_Z_EN: 0
; COMPUTE_PGM_RSRC2:TIDIG_COMP_CNT: 0
	.section	.text._ZN2at6native12_GLOBAL__N_125multi_tensor_apply_kernelINS1_18TensorListMetadataILi4EEENS1_24PointwiseOpScalarFunctorIfLi4ELi3ELi3EEEJSt7dividesIfEfEEEvT_T0_DpT1_,"axG",@progbits,_ZN2at6native12_GLOBAL__N_125multi_tensor_apply_kernelINS1_18TensorListMetadataILi4EEENS1_24PointwiseOpScalarFunctorIfLi4ELi3ELi3EEEJSt7dividesIfEfEEEvT_T0_DpT1_,comdat
	.globl	_ZN2at6native12_GLOBAL__N_125multi_tensor_apply_kernelINS1_18TensorListMetadataILi4EEENS1_24PointwiseOpScalarFunctorIfLi4ELi3ELi3EEEJSt7dividesIfEfEEEvT_T0_DpT1_ ; -- Begin function _ZN2at6native12_GLOBAL__N_125multi_tensor_apply_kernelINS1_18TensorListMetadataILi4EEENS1_24PointwiseOpScalarFunctorIfLi4ELi3ELi3EEEJSt7dividesIfEfEEEvT_T0_DpT1_
	.p2align	8
	.type	_ZN2at6native12_GLOBAL__N_125multi_tensor_apply_kernelINS1_18TensorListMetadataILi4EEENS1_24PointwiseOpScalarFunctorIfLi4ELi3ELi3EEEJSt7dividesIfEfEEEvT_T0_DpT1_,@function
_ZN2at6native12_GLOBAL__N_125multi_tensor_apply_kernelINS1_18TensorListMetadataILi4EEENS1_24PointwiseOpScalarFunctorIfLi4ELi3ELi3EEEJSt7dividesIfEfEEEvT_T0_DpT1_: ; @_ZN2at6native12_GLOBAL__N_125multi_tensor_apply_kernelINS1_18TensorListMetadataILi4EEENS1_24PointwiseOpScalarFunctorIfLi4ELi3ELi3EEEJSt7dividesIfEfEEEvT_T0_DpT1_
; %bb.0:
	v_mov_b32_e32 v1, s6
	global_load_ubyte v1, v1, s[4:5] offset:1440
	s_add_u32 s0, s4, s6
	s_mul_hi_u32 s1, s6, 3
	s_mul_i32 s6, s6, 3
	s_addc_u32 s2, s5, 0
	s_add_u32 s0, s0, s6
	s_addc_u32 s1, s2, s1
	s_load_dword s0, s[0:1], 0x6e0
	s_mov_b32 s17, 0
	s_mov_b32 s15, s17
	;; [unrolled: 1-line block ×3, first 2 shown]
	s_waitcnt lgkmcnt(0)
	s_ashr_i32 s1, s0, 31
	s_lshl_b64 s[12:13], s[0:1], 18
	s_waitcnt vmcnt(0)
	v_readfirstlane_b32 s2, v1
	s_lshl_b32 s14, s2, 3
	s_load_dwordx2 s[10:11], s[4:5], s14 offset:0x0
	s_load_dword s24, s[4:5], 0xbec
	s_load_dwordx2 s[20:21], s[4:5], s14 offset:0x480
	s_load_dwordx2 s[8:9], s[4:5], s14 offset:0x120
	;; [unrolled: 1-line block ×4, first 2 shown]
	s_waitcnt lgkmcnt(0)
	s_add_u32 s25, s10, s12
	s_addc_u32 s26, s11, s13
	s_and_b32 s16, s25, 15
	s_add_u32 s27, s8, s12
	s_addc_u32 s28, s9, s13
	s_and_b32 s14, s27, 15
	s_cmp_eq_u64 s[14:15], 0
	s_cselect_b64 s[14:15], -1, 0
	s_add_u32 s29, s6, s12
	s_addc_u32 s30, s7, s13
	s_add_u32 s31, s2, s12
	s_addc_u32 s33, s3, s13
	s_or_b32 s18, s31, s29
	s_and_b32 s18, s18, 15
	s_cmp_eq_u32 s18, 0
	s_cselect_b64 s[22:23], -1, 0
	s_lshl_b64 s[0:1], s[0:1], 16
	s_and_b64 s[22:23], s[22:23], s[14:15]
	s_sub_u32 s14, s20, s0
	s_subb_u32 s15, s21, s1
	s_and_b32 s18, s20, 3
	s_or_b64 s[0:1], s[16:17], s[18:19]
	s_cmp_eq_u64 s[0:1], 0
	s_cselect_b64 s[0:1], -1, 0
	s_and_b64 s[16:17], s[22:23], s[0:1]
	s_mov_b64 s[0:1], -1
	s_and_b64 vcc, exec, s[16:17]
	s_cbranch_vccnz .LBB50_29
; %bb.1:
	v_cmp_lt_i64_e64 s[0:1], s[14:15], 1
	s_and_b64 vcc, exec, s[0:1]
	s_cbranch_vccnz .LBB50_28
; %bb.2:
	v_mov_b32_e32 v1, 0x10000
	s_load_dword s18, s[4:5], 0xbfc
	v_mov_b32_e32 v2, 0
	v_cmp_lt_i64_e32 vcc, s[14:15], v[1:2]
	v_mov_b32_e32 v24, 0
	s_and_b64 s[0:1], vcc, exec
	s_cselect_b32 s17, s15, 0
	s_cselect_b32 s16, s14, 0x10000
	s_waitcnt lgkmcnt(0)
	s_and_b32 s20, s18, 0xffff
	v_lshlrev_b32_e32 v23, 2, v0
	v_mad_u64_u32 v[7:8], s[0:1], s20, 12, v[23:24]
	v_cmp_lt_u64_e32 vcc, s[14:15], v[1:2]
	v_mov_b32_e32 v2, s11
	s_and_b64 s[0:1], vcc, exec
	v_add_co_u32_e32 v1, vcc, s10, v7
	v_addc_co_u32_e32 v2, vcc, v2, v8, vcc
	v_mov_b32_e32 v4, s9
	v_add_co_u32_e32 v3, vcc, s8, v7
	v_addc_co_u32_e32 v4, vcc, v4, v8, vcc
	v_mov_b32_e32 v6, s7
	;; [unrolled: 3-line block ×3, first 2 shown]
	v_add_co_u32_e32 v7, vcc, s2, v7
	s_cselect_b32 s19, s15, 0
	s_cselect_b32 s18, s14, 0x10000
	v_addc_co_u32_e32 v8, vcc, v9, v8, vcc
	s_lshl_b32 s0, s20, 3
	v_add_co_u32_e32 v15, vcc, s0, v23
	v_addc_co_u32_e64 v16, s[0:1], 0, 0, vcc
	v_mov_b32_e32 v10, s11
	v_add_co_u32_e32 v9, vcc, s10, v15
	v_addc_co_u32_e32 v10, vcc, v10, v16, vcc
	v_mov_b32_e32 v12, s9
	v_add_co_u32_e32 v11, vcc, s8, v15
	v_addc_co_u32_e32 v12, vcc, v12, v16, vcc
	;; [unrolled: 3-line block ×8, first 2 shown]
	v_add_co_u32_e32 v25, vcc, s20, v0
	v_lshlrev_b32_e32 v33, 2, v25
	s_lshl_b32 s22, s20, 1
	s_mul_i32 s23, s20, 3
	s_lshl_b32 s34, s20, 2
	s_lshl_b32 s35, s20, 4
	v_addc_co_u32_e64 v26, s[20:21], 0, 0, vcc
	v_mov_b32_e32 v28, s11
	v_add_co_u32_e32 v27, vcc, s10, v33
	v_addc_co_u32_e32 v28, vcc, 0, v28, vcc
	v_mov_b32_e32 v30, s9
	v_add_co_u32_e32 v29, vcc, s8, v33
	v_addc_co_u32_e32 v30, vcc, 0, v30, vcc
	;; [unrolled: 3-line block ×4, first 2 shown]
	v_add_co_u32_e32 v35, vcc, s23, v0
	v_addc_co_u32_e64 v36, s[2:3], 0, 0, vcc
	v_add_co_u32_e32 v37, vcc, s22, v0
	v_cmp_eq_f32_e64 s[0:1], s24, 1.0
	s_mov_b64 s[20:21], 0
	v_addc_co_u32_e64 v38, s[2:3], 0, 0, vcc
	s_branch .LBB50_4
.LBB50_3:                               ;   in Loop: Header=BB50_4 Depth=1
	s_or_b64 exec, exec, s[2:3]
	v_add_co_u32_e32 v17, vcc, s35, v17
	v_addc_co_u32_e32 v18, vcc, 0, v18, vcc
	v_add_co_u32_e32 v19, vcc, s35, v19
	v_addc_co_u32_e32 v20, vcc, 0, v20, vcc
	;; [unrolled: 2-line block ×14, first 2 shown]
	s_add_u32 s20, s20, s34
	v_add_co_u32_e32 v31, vcc, s35, v31
	s_waitcnt vmcnt(0)
	v_mov_b32_e32 v40, s17
	s_addc_u32 s21, s21, 0
	v_addc_co_u32_e32 v32, vcc, 0, v32, vcc
	v_mov_b32_e32 v39, s16
	v_cmp_lt_i64_e32 vcc, s[20:21], v[39:40]
	v_add_co_u32_e64 v33, s[2:3], s35, v33
	v_addc_co_u32_e64 v34, s[2:3], 0, v34, s[2:3]
	s_cbranch_vccz .LBB50_28
.LBB50_4:                               ; =>This Inner Loop Header: Depth=1
	v_mov_b32_e32 v40, s21
	v_add_co_u32_e32 v39, vcc, s20, v0
	v_addc_co_u32_e32 v40, vcc, 0, v40, vcc
	v_cmp_gt_u64_e32 vcc, s[18:19], v[39:40]
	v_mov_b32_e32 v41, 0
	v_mov_b32_e32 v40, 0
	s_and_saveexec_b64 s[6:7], vcc
	s_cbranch_execz .LBB50_6
; %bb.5:                                ;   in Loop: Header=BB50_4 Depth=1
	v_mov_b32_e32 v39, s13
	v_add_co_u32_e64 v42, s[2:3], s12, v17
	v_addc_co_u32_e64 v43, s[2:3], v18, v39, s[2:3]
	v_add_co_u32_e64 v44, s[2:3], s12, v19
	v_addc_co_u32_e64 v45, s[2:3], v20, v39, s[2:3]
	global_load_dword v40, v[42:43], off
	global_load_dword v41, v[44:45], off
.LBB50_6:                               ;   in Loop: Header=BB50_4 Depth=1
	s_or_b64 exec, exec, s[6:7]
	v_mov_b32_e32 v39, 0
	v_mov_b32_e32 v45, 0
	s_and_saveexec_b64 s[6:7], vcc
	s_cbranch_execz .LBB50_8
; %bb.7:                                ;   in Loop: Header=BB50_4 Depth=1
	v_mov_b32_e32 v43, s13
	v_add_co_u32_e64 v42, s[2:3], s12, v21
	v_addc_co_u32_e64 v43, s[2:3], v22, v43, s[2:3]
	global_load_dword v45, v[42:43], off
.LBB50_8:                               ;   in Loop: Header=BB50_4 Depth=1
	s_or_b64 exec, exec, s[6:7]
	v_mov_b32_e32 v43, s21
	v_add_co_u32_e64 v42, s[2:3], s20, v25
	v_addc_co_u32_e64 v43, s[2:3], v26, v43, s[2:3]
	v_cmp_gt_u64_e64 s[2:3], s[18:19], v[42:43]
	v_mov_b32_e32 v43, 0
	s_and_saveexec_b64 s[8:9], s[2:3]
	s_cbranch_execz .LBB50_10
; %bb.9:                                ;   in Loop: Header=BB50_4 Depth=1
	v_mov_b32_e32 v39, s13
	v_add_co_u32_e64 v46, s[6:7], s12, v27
	v_addc_co_u32_e64 v47, s[6:7], v28, v39, s[6:7]
	v_add_co_u32_e64 v48, s[6:7], s12, v29
	v_addc_co_u32_e64 v49, s[6:7], v30, v39, s[6:7]
	global_load_dword v43, v[46:47], off
	global_load_dword v39, v[48:49], off
.LBB50_10:                              ;   in Loop: Header=BB50_4 Depth=1
	s_or_b64 exec, exec, s[8:9]
	v_mov_b32_e32 v42, 0
	v_mov_b32_e32 v47, 0
	s_and_saveexec_b64 s[8:9], s[2:3]
	s_cbranch_execz .LBB50_12
; %bb.11:                               ;   in Loop: Header=BB50_4 Depth=1
	v_mov_b32_e32 v44, s13
	v_add_co_u32_e64 v46, s[6:7], s12, v31
	v_addc_co_u32_e64 v47, s[6:7], v32, v44, s[6:7]
	global_load_dword v47, v[46:47], off
.LBB50_12:                              ;   in Loop: Header=BB50_4 Depth=1
	s_or_b64 exec, exec, s[8:9]
	v_mov_b32_e32 v44, s21
	v_add_co_u32_e64 v48, s[6:7], s20, v37
	v_addc_co_u32_e64 v49, s[6:7], v38, v44, s[6:7]
	v_cmp_gt_u64_e64 s[6:7], s[18:19], v[48:49]
	v_mov_b32_e32 v46, 0
	s_and_saveexec_b64 s[10:11], s[6:7]
	s_cbranch_execz .LBB50_14
; %bb.13:                               ;   in Loop: Header=BB50_4 Depth=1
	v_mov_b32_e32 v42, s13
	v_add_co_u32_e64 v48, s[8:9], s12, v9
	v_addc_co_u32_e64 v49, s[8:9], v10, v42, s[8:9]
	v_add_co_u32_e64 v50, s[8:9], s12, v11
	v_addc_co_u32_e64 v51, s[8:9], v12, v42, s[8:9]
	global_load_dword v46, v[48:49], off
	global_load_dword v42, v[50:51], off
.LBB50_14:                              ;   in Loop: Header=BB50_4 Depth=1
	s_or_b64 exec, exec, s[10:11]
	v_mov_b32_e32 v44, 0
	v_mov_b32_e32 v49, 0
	s_and_saveexec_b64 s[10:11], s[6:7]
	s_cbranch_execz .LBB50_16
; %bb.15:                               ;   in Loop: Header=BB50_4 Depth=1
	v_mov_b32_e32 v49, s13
	v_add_co_u32_e64 v48, s[8:9], s12, v13
	v_addc_co_u32_e64 v49, s[8:9], v14, v49, s[8:9]
	global_load_dword v49, v[48:49], off
.LBB50_16:                              ;   in Loop: Header=BB50_4 Depth=1
	s_or_b64 exec, exec, s[10:11]
	v_mov_b32_e32 v48, s21
	v_add_co_u32_e64 v50, s[8:9], s20, v35
	v_addc_co_u32_e64 v51, s[8:9], v36, v48, s[8:9]
	v_cmp_gt_u64_e64 s[8:9], s[18:19], v[50:51]
	v_mov_b32_e32 v48, 0
	s_and_saveexec_b64 s[22:23], s[8:9]
	s_cbranch_execnz .LBB50_22
; %bb.17:                               ;   in Loop: Header=BB50_4 Depth=1
	s_or_b64 exec, exec, s[22:23]
	v_mov_b32_e32 v50, 0
	s_and_saveexec_b64 s[22:23], s[8:9]
	s_cbranch_execnz .LBB50_23
.LBB50_18:                              ;   in Loop: Header=BB50_4 Depth=1
	s_or_b64 exec, exec, s[22:23]
	s_and_saveexec_b64 s[10:11], vcc
	s_cbranch_execnz .LBB50_24
.LBB50_19:                              ;   in Loop: Header=BB50_4 Depth=1
	s_or_b64 exec, exec, s[10:11]
	s_and_saveexec_b64 s[10:11], s[2:3]
	s_cbranch_execnz .LBB50_25
.LBB50_20:                              ;   in Loop: Header=BB50_4 Depth=1
	s_or_b64 exec, exec, s[10:11]
	s_and_saveexec_b64 s[2:3], s[6:7]
	s_cbranch_execnz .LBB50_26
.LBB50_21:                              ;   in Loop: Header=BB50_4 Depth=1
	s_or_b64 exec, exec, s[2:3]
	s_and_saveexec_b64 s[2:3], s[8:9]
	s_cbranch_execz .LBB50_3
	s_branch .LBB50_27
.LBB50_22:                              ;   in Loop: Header=BB50_4 Depth=1
	v_mov_b32_e32 v44, s13
	v_add_co_u32_e64 v50, s[10:11], s12, v1
	v_addc_co_u32_e64 v51, s[10:11], v2, v44, s[10:11]
	v_add_co_u32_e64 v52, s[10:11], s12, v3
	v_addc_co_u32_e64 v53, s[10:11], v4, v44, s[10:11]
	global_load_dword v48, v[50:51], off
	global_load_dword v44, v[52:53], off
	s_or_b64 exec, exec, s[22:23]
	v_mov_b32_e32 v50, 0
	s_and_saveexec_b64 s[22:23], s[8:9]
	s_cbranch_execz .LBB50_18
.LBB50_23:                              ;   in Loop: Header=BB50_4 Depth=1
	v_mov_b32_e32 v51, s13
	v_add_co_u32_e64 v50, s[10:11], s12, v5
	v_addc_co_u32_e64 v51, s[10:11], v6, v51, s[10:11]
	global_load_dword v50, v[50:51], off
	s_or_b64 exec, exec, s[22:23]
	s_and_saveexec_b64 s[10:11], vcc
	s_cbranch_execz .LBB50_19
.LBB50_24:                              ;   in Loop: Header=BB50_4 Depth=1
	s_waitcnt vmcnt(0)
	v_div_scale_f32 v51, s[22:23], v45, v45, v41
	v_div_scale_f32 v52, vcc, v41, v45, v41
	v_rcp_f32_e32 v53, v51
	v_fma_f32 v54, -v51, v53, 1.0
	v_fmac_f32_e32 v53, v54, v53
	v_mul_f32_e32 v54, v52, v53
	v_fma_f32 v55, -v51, v54, v52
	v_fmac_f32_e32 v54, v55, v53
	v_fma_f32 v51, -v51, v54, v52
	v_div_fmas_f32 v53, v51, v53, v54
	v_mov_b32_e32 v52, s13
	v_add_co_u32_e32 v51, vcc, s12, v23
	v_addc_co_u32_e32 v52, vcc, v24, v52, vcc
	v_div_fixup_f32 v41, v53, v45, v41
	v_add_f32_e32 v45, v40, v41
	v_fmac_f32_e32 v40, s24, v41
	v_cndmask_b32_e64 v40, v40, v45, s[0:1]
	global_store_dword v[51:52], v40, off
	s_or_b64 exec, exec, s[10:11]
	s_and_saveexec_b64 s[10:11], s[2:3]
	s_cbranch_execz .LBB50_20
.LBB50_25:                              ;   in Loop: Header=BB50_4 Depth=1
	s_waitcnt vmcnt(0)
	v_div_scale_f32 v40, s[2:3], v47, v47, v39
	v_div_scale_f32 v41, vcc, v39, v47, v39
	v_rcp_f32_e32 v45, v40
	v_fma_f32 v51, -v40, v45, 1.0
	v_fmac_f32_e32 v45, v51, v45
	v_mul_f32_e32 v51, v41, v45
	v_fma_f32 v52, -v40, v51, v41
	v_fmac_f32_e32 v51, v52, v45
	v_fma_f32 v40, -v40, v51, v41
	v_div_fmas_f32 v40, v40, v45, v51
	v_mov_b32_e32 v41, s13
	v_div_fixup_f32 v39, v40, v47, v39
	v_add_f32_e32 v40, v43, v39
	v_fmac_f32_e32 v43, s24, v39
	v_add_co_u32_e32 v39, vcc, s12, v33
	v_cndmask_b32_e64 v43, v43, v40, s[0:1]
	v_addc_co_u32_e32 v40, vcc, v34, v41, vcc
	global_store_dword v[39:40], v43, off
	s_or_b64 exec, exec, s[10:11]
	s_and_saveexec_b64 s[2:3], s[6:7]
	s_cbranch_execz .LBB50_21
.LBB50_26:                              ;   in Loop: Header=BB50_4 Depth=1
	s_waitcnt vmcnt(0)
	v_div_scale_f32 v39, s[6:7], v49, v49, v42
	v_div_scale_f32 v40, vcc, v42, v49, v42
	v_rcp_f32_e32 v41, v39
	v_fma_f32 v43, -v39, v41, 1.0
	v_fmac_f32_e32 v41, v43, v41
	v_mul_f32_e32 v43, v40, v41
	v_fma_f32 v45, -v39, v43, v40
	v_fmac_f32_e32 v43, v45, v41
	v_fma_f32 v39, -v39, v43, v40
	v_div_fmas_f32 v39, v39, v41, v43
	v_mov_b32_e32 v40, s13
	v_div_fixup_f32 v39, v39, v49, v42
	v_add_f32_e32 v41, v46, v39
	v_fmac_f32_e32 v46, s24, v39
	v_add_co_u32_e32 v39, vcc, s12, v15
	v_cndmask_b32_e64 v41, v46, v41, s[0:1]
	v_addc_co_u32_e32 v40, vcc, v16, v40, vcc
	global_store_dword v[39:40], v41, off
	s_or_b64 exec, exec, s[2:3]
	s_and_saveexec_b64 s[2:3], s[8:9]
	s_cbranch_execz .LBB50_3
.LBB50_27:                              ;   in Loop: Header=BB50_4 Depth=1
	s_waitcnt vmcnt(0)
	v_div_scale_f32 v39, s[6:7], v50, v50, v44
	v_div_scale_f32 v40, vcc, v44, v50, v44
	v_rcp_f32_e32 v41, v39
	v_fma_f32 v42, -v39, v41, 1.0
	v_fmac_f32_e32 v41, v42, v41
	v_mul_f32_e32 v42, v40, v41
	v_fma_f32 v43, -v39, v42, v40
	v_fmac_f32_e32 v42, v43, v41
	v_fma_f32 v39, -v39, v42, v40
	v_div_fmas_f32 v39, v39, v41, v42
	v_mov_b32_e32 v40, s13
	v_div_fixup_f32 v39, v39, v50, v44
	v_add_f32_e32 v41, v48, v39
	v_fmac_f32_e32 v48, s24, v39
	v_add_co_u32_e32 v39, vcc, s12, v7
	v_cndmask_b32_e64 v41, v48, v41, s[0:1]
	v_addc_co_u32_e32 v40, vcc, v8, v40, vcc
	global_store_dword v[39:40], v41, off
	s_branch .LBB50_3
.LBB50_28:
	s_mov_b64 s[0:1], 0
.LBB50_29:
	s_andn2_b64 vcc, exec, s[0:1]
	s_cbranch_vccnz .LBB50_33
; %bb.30:
	v_mov_b32_e32 v1, 0x10000
	v_mov_b32_e32 v2, 0
	v_cmp_lt_i64_e32 vcc, s[14:15], v[1:2]
	v_mov_b32_e32 v2, 0
	s_and_b64 s[0:1], vcc, exec
	s_cselect_b32 s11, s15, 0
	s_cselect_b32 s10, s14, 0x10000
	v_lshlrev_b32_e32 v1, 2, v0
	v_cmp_gt_i64_e32 vcc, s[10:11], v[1:2]
	s_and_saveexec_b64 s[0:1], vcc
	s_cbranch_execz .LBB50_33
; %bb.31:
	s_load_dword s2, s[4:5], 0xbfc
	v_mov_b32_e32 v1, v2
	v_cmp_eq_f32_e64 s[0:1], s24, 1.0
	v_lshlrev_b32_e32 v2, 4, v0
	s_mov_b64 s[12:13], 0
	s_waitcnt lgkmcnt(0)
	s_and_b32 s14, s2, 0xffff
	s_lshl_b32 s15, s14, 4
.LBB50_32:                              ; =>This Inner Loop Header: Depth=1
	v_mov_b32_e32 v3, s28
	v_add_co_u32_e64 v13, s[2:3], s27, v2
	v_mov_b32_e32 v4, s30
	v_add_co_u32_e32 v11, vcc, s29, v2
	v_addc_co_u32_e64 v14, s[2:3], 0, v3, s[2:3]
	v_addc_co_u32_e32 v12, vcc, 0, v4, vcc
	global_load_dwordx4 v[3:6], v[13:14], off
	global_load_dwordx4 v[7:10], v[11:12], off
	v_add_co_u32_e64 v0, s[2:3], s14, v0
	v_addc_co_u32_e64 v1, s[2:3], 0, v1, s[2:3]
	v_mov_b32_e32 v12, s26
	v_add_co_u32_e64 v11, s[2:3], s25, v2
	v_mov_b32_e32 v13, s33
	v_add_co_u32_e32 v15, vcc, s31, v2
	v_addc_co_u32_e64 v12, s[2:3], 0, v12, s[2:3]
	v_addc_co_u32_e32 v16, vcc, 0, v13, vcc
	global_load_dwordx4 v[11:14], v[11:12], off
	v_lshlrev_b64 v[17:18], 2, v[0:1]
	s_add_u32 s31, s31, s15
	v_cmp_le_i64_e64 s[2:3], s[10:11], v[17:18]
	s_addc_u32 s33, s33, 0
	s_add_u32 s25, s25, s15
	s_addc_u32 s26, s26, 0
	s_add_u32 s29, s29, s15
	;; [unrolled: 2-line block ×3, first 2 shown]
	s_addc_u32 s28, s28, 0
	s_or_b64 s[12:13], s[2:3], s[12:13]
	s_waitcnt vmcnt(1)
	v_div_scale_f32 v17, s[4:5], v7, v7, v3
	v_div_scale_f32 v18, s[4:5], v8, v8, v4
	;; [unrolled: 1-line block ×4, first 2 shown]
	v_div_scale_f32 v21, vcc, v3, v7, v3
	v_div_scale_f32 v22, s[4:5], v4, v8, v4
	v_div_scale_f32 v23, s[6:7], v5, v9, v5
	;; [unrolled: 1-line block ×3, first 2 shown]
	v_rcp_f32_e32 v25, v17
	v_rcp_f32_e32 v26, v18
	;; [unrolled: 1-line block ×3, first 2 shown]
	v_fma_f32 v29, -v17, v25, 1.0
	v_rcp_f32_e32 v28, v20
	v_fma_f32 v30, -v18, v26, 1.0
	v_fmac_f32_e32 v25, v29, v25
	v_fma_f32 v31, -v19, v27, 1.0
	v_fmac_f32_e32 v26, v30, v26
	v_mul_f32_e32 v29, v21, v25
	v_fma_f32 v32, -v20, v28, 1.0
	v_fmac_f32_e32 v27, v31, v27
	v_mul_f32_e32 v30, v22, v26
	v_fma_f32 v33, -v17, v29, v21
	v_fmac_f32_e32 v28, v32, v28
	v_mul_f32_e32 v31, v23, v27
	v_fma_f32 v34, -v18, v30, v22
	;; [unrolled: 3-line block ×3, first 2 shown]
	v_fmac_f32_e32 v30, v34, v26
	v_fma_f32 v17, -v17, v29, v21
	v_fma_f32 v36, -v20, v32, v24
	v_fmac_f32_e32 v31, v35, v27
	v_fma_f32 v18, -v18, v30, v22
	v_div_fmas_f32 v17, v17, v25, v29
	s_mov_b64 vcc, s[4:5]
	v_fmac_f32_e32 v32, v36, v28
	v_fma_f32 v19, -v19, v31, v23
	v_div_fmas_f32 v18, v18, v26, v30
	s_mov_b64 vcc, s[6:7]
	v_fma_f32 v20, -v20, v32, v24
	v_div_fmas_f32 v19, v19, v27, v31
	s_mov_b64 vcc, s[8:9]
	v_div_fmas_f32 v20, v20, v28, v32
	v_div_fixup_f32 v3, v17, v7, v3
	s_waitcnt vmcnt(0)
	v_add_f32_e32 v7, v11, v3
	v_fma_f32 v3, s24, v3, v11
	v_cndmask_b32_e64 v3, v3, v7, s[0:1]
	v_div_fixup_f32 v4, v18, v8, v4
	v_add_f32_e32 v7, v12, v4
	v_fma_f32 v4, s24, v4, v12
	v_div_fixup_f32 v5, v19, v9, v5
	v_cndmask_b32_e64 v4, v4, v7, s[0:1]
	v_add_f32_e32 v7, v13, v5
	v_fma_f32 v5, s24, v5, v13
	v_div_fixup_f32 v6, v20, v10, v6
	v_cndmask_b32_e64 v5, v5, v7, s[0:1]
	v_add_f32_e32 v7, v14, v6
	v_fmac_f32_e32 v14, s24, v6
	v_cndmask_b32_e64 v6, v14, v7, s[0:1]
	global_store_dwordx4 v[15:16], v[3:6], off
	s_andn2_b64 exec, exec, s[12:13]
	s_cbranch_execnz .LBB50_32
.LBB50_33:
	s_endpgm
	.section	.rodata,"a",@progbits
	.p2align	6, 0x0
	.amdhsa_kernel _ZN2at6native12_GLOBAL__N_125multi_tensor_apply_kernelINS1_18TensorListMetadataILi4EEENS1_24PointwiseOpScalarFunctorIfLi4ELi3ELi3EEEJSt7dividesIfEfEEEvT_T0_DpT1_
		.amdhsa_group_segment_fixed_size 0
		.amdhsa_private_segment_fixed_size 0
		.amdhsa_kernarg_size 3312
		.amdhsa_user_sgpr_count 6
		.amdhsa_user_sgpr_private_segment_buffer 1
		.amdhsa_user_sgpr_dispatch_ptr 0
		.amdhsa_user_sgpr_queue_ptr 0
		.amdhsa_user_sgpr_kernarg_segment_ptr 1
		.amdhsa_user_sgpr_dispatch_id 0
		.amdhsa_user_sgpr_flat_scratch_init 0
		.amdhsa_user_sgpr_private_segment_size 0
		.amdhsa_uses_dynamic_stack 0
		.amdhsa_system_sgpr_private_segment_wavefront_offset 0
		.amdhsa_system_sgpr_workgroup_id_x 1
		.amdhsa_system_sgpr_workgroup_id_y 0
		.amdhsa_system_sgpr_workgroup_id_z 0
		.amdhsa_system_sgpr_workgroup_info 0
		.amdhsa_system_vgpr_workitem_id 0
		.amdhsa_next_free_vgpr 56
		.amdhsa_next_free_sgpr 36
		.amdhsa_reserve_vcc 1
		.amdhsa_reserve_flat_scratch 0
		.amdhsa_float_round_mode_32 0
		.amdhsa_float_round_mode_16_64 0
		.amdhsa_float_denorm_mode_32 3
		.amdhsa_float_denorm_mode_16_64 3
		.amdhsa_dx10_clamp 1
		.amdhsa_ieee_mode 1
		.amdhsa_fp16_overflow 0
		.amdhsa_exception_fp_ieee_invalid_op 0
		.amdhsa_exception_fp_denorm_src 0
		.amdhsa_exception_fp_ieee_div_zero 0
		.amdhsa_exception_fp_ieee_overflow 0
		.amdhsa_exception_fp_ieee_underflow 0
		.amdhsa_exception_fp_ieee_inexact 0
		.amdhsa_exception_int_div_zero 0
	.end_amdhsa_kernel
	.section	.text._ZN2at6native12_GLOBAL__N_125multi_tensor_apply_kernelINS1_18TensorListMetadataILi4EEENS1_24PointwiseOpScalarFunctorIfLi4ELi3ELi3EEEJSt7dividesIfEfEEEvT_T0_DpT1_,"axG",@progbits,_ZN2at6native12_GLOBAL__N_125multi_tensor_apply_kernelINS1_18TensorListMetadataILi4EEENS1_24PointwiseOpScalarFunctorIfLi4ELi3ELi3EEEJSt7dividesIfEfEEEvT_T0_DpT1_,comdat
.Lfunc_end50:
	.size	_ZN2at6native12_GLOBAL__N_125multi_tensor_apply_kernelINS1_18TensorListMetadataILi4EEENS1_24PointwiseOpScalarFunctorIfLi4ELi3ELi3EEEJSt7dividesIfEfEEEvT_T0_DpT1_, .Lfunc_end50-_ZN2at6native12_GLOBAL__N_125multi_tensor_apply_kernelINS1_18TensorListMetadataILi4EEENS1_24PointwiseOpScalarFunctorIfLi4ELi3ELi3EEEJSt7dividesIfEfEEEvT_T0_DpT1_
                                        ; -- End function
	.set _ZN2at6native12_GLOBAL__N_125multi_tensor_apply_kernelINS1_18TensorListMetadataILi4EEENS1_24PointwiseOpScalarFunctorIfLi4ELi3ELi3EEEJSt7dividesIfEfEEEvT_T0_DpT1_.num_vgpr, 56
	.set _ZN2at6native12_GLOBAL__N_125multi_tensor_apply_kernelINS1_18TensorListMetadataILi4EEENS1_24PointwiseOpScalarFunctorIfLi4ELi3ELi3EEEJSt7dividesIfEfEEEvT_T0_DpT1_.num_agpr, 0
	.set _ZN2at6native12_GLOBAL__N_125multi_tensor_apply_kernelINS1_18TensorListMetadataILi4EEENS1_24PointwiseOpScalarFunctorIfLi4ELi3ELi3EEEJSt7dividesIfEfEEEvT_T0_DpT1_.numbered_sgpr, 36
	.set _ZN2at6native12_GLOBAL__N_125multi_tensor_apply_kernelINS1_18TensorListMetadataILi4EEENS1_24PointwiseOpScalarFunctorIfLi4ELi3ELi3EEEJSt7dividesIfEfEEEvT_T0_DpT1_.num_named_barrier, 0
	.set _ZN2at6native12_GLOBAL__N_125multi_tensor_apply_kernelINS1_18TensorListMetadataILi4EEENS1_24PointwiseOpScalarFunctorIfLi4ELi3ELi3EEEJSt7dividesIfEfEEEvT_T0_DpT1_.private_seg_size, 0
	.set _ZN2at6native12_GLOBAL__N_125multi_tensor_apply_kernelINS1_18TensorListMetadataILi4EEENS1_24PointwiseOpScalarFunctorIfLi4ELi3ELi3EEEJSt7dividesIfEfEEEvT_T0_DpT1_.uses_vcc, 1
	.set _ZN2at6native12_GLOBAL__N_125multi_tensor_apply_kernelINS1_18TensorListMetadataILi4EEENS1_24PointwiseOpScalarFunctorIfLi4ELi3ELi3EEEJSt7dividesIfEfEEEvT_T0_DpT1_.uses_flat_scratch, 0
	.set _ZN2at6native12_GLOBAL__N_125multi_tensor_apply_kernelINS1_18TensorListMetadataILi4EEENS1_24PointwiseOpScalarFunctorIfLi4ELi3ELi3EEEJSt7dividesIfEfEEEvT_T0_DpT1_.has_dyn_sized_stack, 0
	.set _ZN2at6native12_GLOBAL__N_125multi_tensor_apply_kernelINS1_18TensorListMetadataILi4EEENS1_24PointwiseOpScalarFunctorIfLi4ELi3ELi3EEEJSt7dividesIfEfEEEvT_T0_DpT1_.has_recursion, 0
	.set _ZN2at6native12_GLOBAL__N_125multi_tensor_apply_kernelINS1_18TensorListMetadataILi4EEENS1_24PointwiseOpScalarFunctorIfLi4ELi3ELi3EEEJSt7dividesIfEfEEEvT_T0_DpT1_.has_indirect_call, 0
	.section	.AMDGPU.csdata,"",@progbits
; Kernel info:
; codeLenInByte = 2592
; TotalNumSgprs: 40
; NumVgprs: 56
; ScratchSize: 0
; MemoryBound: 0
; FloatMode: 240
; IeeeMode: 1
; LDSByteSize: 0 bytes/workgroup (compile time only)
; SGPRBlocks: 4
; VGPRBlocks: 13
; NumSGPRsForWavesPerEU: 40
; NumVGPRsForWavesPerEU: 56
; Occupancy: 4
; WaveLimiterHint : 0
; COMPUTE_PGM_RSRC2:SCRATCH_EN: 0
; COMPUTE_PGM_RSRC2:USER_SGPR: 6
; COMPUTE_PGM_RSRC2:TRAP_HANDLER: 0
; COMPUTE_PGM_RSRC2:TGID_X_EN: 1
; COMPUTE_PGM_RSRC2:TGID_Y_EN: 0
; COMPUTE_PGM_RSRC2:TGID_Z_EN: 0
; COMPUTE_PGM_RSRC2:TIDIG_COMP_CNT: 0
	.section	.text._ZN2at6native12_GLOBAL__N_125multi_tensor_apply_kernelINS1_18TensorListMetadataILi4EEENS1_24PointwiseOpScalarFunctorIN3c107complexIdEELi4ELi3ELi3EEEJSt7dividesIS8_ES8_EEEvT_T0_DpT1_,"axG",@progbits,_ZN2at6native12_GLOBAL__N_125multi_tensor_apply_kernelINS1_18TensorListMetadataILi4EEENS1_24PointwiseOpScalarFunctorIN3c107complexIdEELi4ELi3ELi3EEEJSt7dividesIS8_ES8_EEEvT_T0_DpT1_,comdat
	.globl	_ZN2at6native12_GLOBAL__N_125multi_tensor_apply_kernelINS1_18TensorListMetadataILi4EEENS1_24PointwiseOpScalarFunctorIN3c107complexIdEELi4ELi3ELi3EEEJSt7dividesIS8_ES8_EEEvT_T0_DpT1_ ; -- Begin function _ZN2at6native12_GLOBAL__N_125multi_tensor_apply_kernelINS1_18TensorListMetadataILi4EEENS1_24PointwiseOpScalarFunctorIN3c107complexIdEELi4ELi3ELi3EEEJSt7dividesIS8_ES8_EEEvT_T0_DpT1_
	.p2align	8
	.type	_ZN2at6native12_GLOBAL__N_125multi_tensor_apply_kernelINS1_18TensorListMetadataILi4EEENS1_24PointwiseOpScalarFunctorIN3c107complexIdEELi4ELi3ELi3EEEJSt7dividesIS8_ES8_EEEvT_T0_DpT1_,@function
_ZN2at6native12_GLOBAL__N_125multi_tensor_apply_kernelINS1_18TensorListMetadataILi4EEENS1_24PointwiseOpScalarFunctorIN3c107complexIdEELi4ELi3ELi3EEEJSt7dividesIS8_ES8_EEEvT_T0_DpT1_: ; @_ZN2at6native12_GLOBAL__N_125multi_tensor_apply_kernelINS1_18TensorListMetadataILi4EEENS1_24PointwiseOpScalarFunctorIN3c107complexIdEELi4ELi3ELi3EEEJSt7dividesIS8_ES8_EEEvT_T0_DpT1_
; %bb.0:
	v_mov_b32_e32 v1, s6
	global_load_ubyte v1, v1, s[4:5] offset:1440
	s_add_u32 s0, s4, s6
	s_mul_hi_u32 s1, s6, 3
	s_mul_i32 s6, s6, 3
	s_addc_u32 s2, s5, 0
	s_add_u32 s0, s0, s6
	s_addc_u32 s1, s2, s1
	s_load_dword s0, s[0:1], 0x6e0
	s_mov_b32 s3, 0
	s_mov_b32 s7, s3
	s_waitcnt lgkmcnt(0)
	s_ashr_i32 s1, s0, 31
	s_lshl_b64 s[8:9], s[0:1], 20
	s_waitcnt vmcnt(0)
	v_readfirstlane_b32 s2, v1
	s_lshl_b32 s2, s2, 3
	s_load_dwordx2 s[10:11], s[4:5], s2 offset:0x0
	s_load_dwordx4 s[16:19], s[4:5], 0xbf0
	s_load_dwordx2 s[12:13], s[4:5], s2 offset:0x480
	s_load_dwordx2 s[14:15], s[4:5], s2 offset:0x120
	;; [unrolled: 1-line block ×4, first 2 shown]
	s_waitcnt lgkmcnt(0)
	s_add_u32 s33, s10, s8
	s_addc_u32 s36, s11, s9
	s_add_u32 s37, s14, s8
	s_addc_u32 s38, s15, s9
	s_and_b32 s2, s37, 63
	s_add_u32 s39, s20, s8
	s_addc_u32 s40, s21, s9
	s_add_u32 s41, s22, s8
	s_addc_u32 s42, s23, s9
	s_or_b32 s6, s41, s39
	s_and_b32 s6, s6, 63
	s_cmp_eq_u32 s6, 0
	s_cselect_b64 s[8:9], -1, 0
	s_and_b32 s6, s33, 63
	s_cmp_eq_u64 s[2:3], 0
	s_cselect_b64 s[10:11], -1, 0
	s_lshl_b64 s[0:1], s[0:1], 16
	s_and_b64 s[8:9], s[8:9], s[10:11]
	s_sub_u32 s20, s12, s0
	s_subb_u32 s21, s13, s1
	s_and_b32 s2, s12, 3
	s_or_b64 s[0:1], s[6:7], s[2:3]
	s_cmp_eq_u64 s[0:1], 0
	s_cselect_b64 s[0:1], -1, 0
	s_and_b64 s[2:3], s[8:9], s[0:1]
	s_mov_b64 s[0:1], -1
	s_and_b64 vcc, exec, s[2:3]
	s_cbranch_vccnz .LBB51_109
; %bb.1:
	v_cmp_lt_i64_e64 s[0:1], s[20:21], 1
	s_and_b64 vcc, exec, s[0:1]
	s_cbranch_vccnz .LBB51_108
; %bb.2:
	v_mov_b32_e32 v1, 0x10000
	v_mov_b32_e32 v2, 0
	v_cmp_lt_i64_e32 vcc, s[20:21], v[1:2]
	v_cmp_neq_f64_e64 s[2:3], s[18:19], 0
	s_and_b64 s[0:1], vcc, exec
	v_cmp_neq_f64_e64 s[0:1], s[16:17], 1.0
	s_load_dword s6, s[4:5], 0xc0c
	v_cmp_lt_u64_e32 vcc, s[20:21], v[1:2]
	s_cselect_b32 s23, s21, 0
	s_cselect_b32 s22, s20, 0x10000
	s_mov_b64 s[26:27], 0
	s_waitcnt lgkmcnt(0)
	s_and_b32 s43, s6, 0xffff
	s_and_b64 s[6:7], vcc, exec
	s_cselect_b32 s25, s21, 0
	s_cselect_b32 s24, s20, 0x10000
	s_lshl_b32 s44, s43, 1
	s_mul_i32 s45, s43, 3
	s_or_b64 s[28:29], s[0:1], s[2:3]
	s_lshl_b32 s46, s43, 2
	s_branch .LBB51_4
.LBB51_3:                               ;   in Loop: Header=BB51_4 Depth=1
	s_or_b64 exec, exec, s[0:1]
	s_add_u32 s26, s26, s46
	v_mov_b32_e32 v1, s22
	s_addc_u32 s27, s27, 0
	v_mov_b32_e32 v2, s23
	v_cmp_ge_i64_e32 vcc, s[26:27], v[1:2]
	s_cbranch_vccnz .LBB51_108
.LBB51_4:                               ; =>This Inner Loop Header: Depth=1
	v_mov_b32_e32 v1, s27
	v_add_co_u32_e32 v49, vcc, s26, v0
	v_addc_co_u32_e32 v50, vcc, 0, v1, vcc
	v_cmp_gt_u64_e64 s[0:1], s[24:25], v[49:50]
	v_mov_b32_e32 v47, 0
	v_mov_b32_e32 v43, 0
	;; [unrolled: 1-line block ×10, first 2 shown]
	s_and_saveexec_b64 s[2:3], s[0:1]
	s_cbranch_execz .LBB51_6
; %bb.5:                                ;   in Loop: Header=BB51_4 Depth=1
	v_lshlrev_b64 v[1:2], 4, v[49:50]
	v_mov_b32_e32 v3, s38
	v_add_co_u32_e32 v5, vcc, s37, v1
	v_addc_co_u32_e32 v6, vcc, v3, v2, vcc
	v_mov_b32_e32 v3, s36
	v_add_co_u32_e32 v7, vcc, s33, v1
	v_addc_co_u32_e32 v8, vcc, v3, v2, vcc
	global_load_dwordx4 v[1:4], v[7:8], off
	global_load_dwordx4 v[41:44], v[5:6], off
.LBB51_6:                               ;   in Loop: Header=BB51_4 Depth=1
	s_or_b64 exec, exec, s[2:3]
	v_mov_b32_e32 v45, 0
	v_mov_b32_e32 v46, 0
	s_and_saveexec_b64 s[2:3], s[0:1]
	s_cbranch_execz .LBB51_8
; %bb.7:                                ;   in Loop: Header=BB51_4 Depth=1
	v_lshlrev_b64 v[5:6], 4, v[49:50]
	v_mov_b32_e32 v7, s40
	v_add_co_u32_e32 v5, vcc, s39, v5
	v_addc_co_u32_e32 v6, vcc, v7, v6, vcc
	global_load_dwordx4 v[45:48], v[5:6], off
.LBB51_8:                               ;   in Loop: Header=BB51_4 Depth=1
	s_or_b64 exec, exec, s[2:3]
	v_add_co_u32_e32 v51, vcc, s43, v49
	v_addc_co_u32_e32 v52, vcc, 0, v50, vcc
	v_cmp_gt_u64_e64 s[2:3], s[24:25], v[51:52]
	v_mov_b32_e32 v39, 0
	v_mov_b32_e32 v35, 0
	;; [unrolled: 1-line block ×10, first 2 shown]
	s_and_saveexec_b64 s[6:7], s[2:3]
	s_cbranch_execz .LBB51_10
; %bb.9:                                ;   in Loop: Header=BB51_4 Depth=1
	v_lshlrev_b64 v[5:6], 4, v[51:52]
	v_mov_b32_e32 v7, s38
	v_add_co_u32_e32 v9, vcc, s37, v5
	v_addc_co_u32_e32 v10, vcc, v7, v6, vcc
	v_mov_b32_e32 v7, s36
	v_add_co_u32_e32 v11, vcc, s33, v5
	v_addc_co_u32_e32 v12, vcc, v7, v6, vcc
	global_load_dwordx4 v[5:8], v[11:12], off
	global_load_dwordx4 v[33:36], v[9:10], off
.LBB51_10:                              ;   in Loop: Header=BB51_4 Depth=1
	s_or_b64 exec, exec, s[6:7]
	v_mov_b32_e32 v37, 0
	v_mov_b32_e32 v38, 0
	s_and_saveexec_b64 s[6:7], s[2:3]
	s_cbranch_execz .LBB51_12
; %bb.11:                               ;   in Loop: Header=BB51_4 Depth=1
	v_lshlrev_b64 v[9:10], 4, v[51:52]
	v_mov_b32_e32 v11, s40
	v_add_co_u32_e32 v9, vcc, s39, v9
	v_addc_co_u32_e32 v10, vcc, v11, v10, vcc
	global_load_dwordx4 v[37:40], v[9:10], off
.LBB51_12:                              ;   in Loop: Header=BB51_4 Depth=1
	s_or_b64 exec, exec, s[6:7]
	v_add_co_u32_e32 v53, vcc, s44, v49
	v_addc_co_u32_e32 v54, vcc, 0, v50, vcc
	v_cmp_gt_u64_e64 s[6:7], s[24:25], v[53:54]
	v_mov_b32_e32 v31, 0
	v_mov_b32_e32 v27, 0
	;; [unrolled: 1-line block ×10, first 2 shown]
	s_and_saveexec_b64 s[8:9], s[6:7]
	s_cbranch_execz .LBB51_14
; %bb.13:                               ;   in Loop: Header=BB51_4 Depth=1
	v_lshlrev_b64 v[9:10], 4, v[53:54]
	v_mov_b32_e32 v11, s38
	v_add_co_u32_e32 v13, vcc, s37, v9
	v_addc_co_u32_e32 v14, vcc, v11, v10, vcc
	v_mov_b32_e32 v11, s36
	v_add_co_u32_e32 v15, vcc, s33, v9
	v_addc_co_u32_e32 v16, vcc, v11, v10, vcc
	global_load_dwordx4 v[9:12], v[15:16], off
	global_load_dwordx4 v[25:28], v[13:14], off
.LBB51_14:                              ;   in Loop: Header=BB51_4 Depth=1
	s_or_b64 exec, exec, s[8:9]
	v_mov_b32_e32 v29, 0
	v_mov_b32_e32 v30, 0
	s_and_saveexec_b64 s[8:9], s[6:7]
	s_cbranch_execz .LBB51_16
; %bb.15:                               ;   in Loop: Header=BB51_4 Depth=1
	v_lshlrev_b64 v[13:14], 4, v[53:54]
	v_mov_b32_e32 v15, s40
	v_add_co_u32_e32 v13, vcc, s39, v13
	v_addc_co_u32_e32 v14, vcc, v15, v14, vcc
	global_load_dwordx4 v[29:32], v[13:14], off
.LBB51_16:                              ;   in Loop: Header=BB51_4 Depth=1
	s_or_b64 exec, exec, s[8:9]
	v_add_co_u32_e32 v55, vcc, s45, v49
	v_addc_co_u32_e32 v56, vcc, 0, v50, vcc
	v_cmp_gt_u64_e64 s[8:9], s[24:25], v[55:56]
	v_mov_b32_e32 v23, 0
	v_mov_b32_e32 v19, 0
	;; [unrolled: 1-line block ×10, first 2 shown]
	s_and_saveexec_b64 s[10:11], s[8:9]
	s_cbranch_execz .LBB51_18
; %bb.17:                               ;   in Loop: Header=BB51_4 Depth=1
	v_lshlrev_b64 v[13:14], 4, v[55:56]
	v_mov_b32_e32 v15, s38
	v_add_co_u32_e32 v21, vcc, s37, v13
	v_addc_co_u32_e32 v22, vcc, v15, v14, vcc
	v_mov_b32_e32 v15, s36
	v_add_co_u32_e32 v57, vcc, s33, v13
	v_addc_co_u32_e32 v58, vcc, v15, v14, vcc
	global_load_dwordx4 v[13:16], v[57:58], off
	global_load_dwordx4 v[17:20], v[21:22], off
.LBB51_18:                              ;   in Loop: Header=BB51_4 Depth=1
	s_or_b64 exec, exec, s[10:11]
	v_mov_b32_e32 v21, 0
	v_mov_b32_e32 v22, 0
	s_and_saveexec_b64 s[10:11], s[8:9]
	s_cbranch_execz .LBB51_20
; %bb.19:                               ;   in Loop: Header=BB51_4 Depth=1
	v_lshlrev_b64 v[21:22], 4, v[55:56]
	v_mov_b32_e32 v23, s40
	v_add_co_u32_e32 v21, vcc, s39, v21
	v_addc_co_u32_e32 v22, vcc, v23, v22, vcc
	global_load_dwordx4 v[21:24], v[21:22], off
.LBB51_20:                              ;   in Loop: Header=BB51_4 Depth=1
	s_or_b64 exec, exec, s[10:11]
	s_waitcnt vmcnt(0)
	v_cmp_gt_f64_e32 vcc, 0, v[45:46]
	v_xor_b32_e32 v57, 0x80000000, v46
	v_mov_b32_e32 v61, v45
	v_mov_b32_e32 v63, v47
	s_mov_b64 s[12:13], -1
                                        ; implicit-def: $vgpr59_vgpr60
	v_cndmask_b32_e32 v62, v46, v57, vcc
	v_cmp_gt_f64_e32 vcc, 0, v[47:48]
	v_xor_b32_e32 v57, 0x80000000, v48
	v_cndmask_b32_e32 v64, v48, v57, vcc
	v_cmp_ge_f64_e64 s[10:11], v[61:62], v[63:64]
	s_and_b64 vcc, exec, s[28:29]
                                        ; implicit-def: $vgpr57_vgpr58
	s_cbranch_vccz .LBB51_30
; %bb.21:                               ;   in Loop: Header=BB51_4 Depth=1
                                        ; implicit-def: $vgpr57_vgpr58
                                        ; implicit-def: $vgpr59_vgpr60
	s_and_saveexec_b64 s[12:13], s[10:11]
	s_xor_b64 s[14:15], exec, s[12:13]
	s_cbranch_execz .LBB51_27
; %bb.22:                               ;   in Loop: Header=BB51_4 Depth=1
	v_cmp_neq_f64_e32 vcc, 0, v[45:46]
	v_cmp_neq_f64_e64 s[12:13], 0, v[47:48]
                                        ; implicit-def: $vgpr57_vgpr58
                                        ; implicit-def: $vgpr59_vgpr60
	s_or_b64 s[12:13], s[12:13], vcc
	s_and_saveexec_b64 s[30:31], s[12:13]
	s_xor_b64 s[12:13], exec, s[30:31]
	s_cbranch_execz .LBB51_24
; %bb.23:                               ;   in Loop: Header=BB51_4 Depth=1
	v_div_scale_f64 v[57:58], s[30:31], v[45:46], v[45:46], v[47:48]
	v_rcp_f64_e32 v[59:60], v[57:58]
	v_fma_f64 v[65:66], -v[57:58], v[59:60], 1.0
	v_fma_f64 v[59:60], v[59:60], v[65:66], v[59:60]
	v_div_scale_f64 v[65:66], vcc, v[47:48], v[45:46], v[47:48]
	v_fma_f64 v[67:68], -v[57:58], v[59:60], 1.0
	v_fma_f64 v[59:60], v[59:60], v[67:68], v[59:60]
	v_mul_f64 v[67:68], v[65:66], v[59:60]
	v_fma_f64 v[57:58], -v[57:58], v[67:68], v[65:66]
	v_div_fmas_f64 v[57:58], v[57:58], v[59:60], v[67:68]
	v_div_fixup_f64 v[57:58], v[57:58], v[45:46], v[47:48]
	v_fma_f64 v[59:60], v[47:48], v[57:58], v[45:46]
	v_div_scale_f64 v[65:66], s[30:31], v[59:60], v[59:60], 1.0
	v_rcp_f64_e32 v[67:68], v[65:66]
	v_fma_f64 v[69:70], -v[65:66], v[67:68], 1.0
	v_fma_f64 v[67:68], v[67:68], v[69:70], v[67:68]
	v_div_scale_f64 v[69:70], vcc, 1.0, v[59:60], 1.0
	v_fma_f64 v[71:72], -v[65:66], v[67:68], 1.0
	v_fma_f64 v[67:68], v[67:68], v[71:72], v[67:68]
	v_mul_f64 v[71:72], v[69:70], v[67:68]
	v_fma_f64 v[65:66], -v[65:66], v[71:72], v[69:70]
	v_div_fmas_f64 v[65:66], v[65:66], v[67:68], v[71:72]
	v_fma_f64 v[67:68], v[43:44], v[57:58], v[41:42]
	v_fma_f64 v[57:58], -v[41:42], v[57:58], v[43:44]
	v_div_fixup_f64 v[65:66], v[65:66], v[59:60], 1.0
	v_mul_f64 v[59:60], v[67:68], v[65:66]
	v_mul_f64 v[57:58], v[57:58], v[65:66]
.LBB51_24:                              ;   in Loop: Header=BB51_4 Depth=1
	s_andn2_saveexec_b64 s[30:31], s[12:13]
	s_cbranch_execz .LBB51_26
; %bb.25:                               ;   in Loop: Header=BB51_4 Depth=1
	v_div_scale_f64 v[57:58], s[12:13], v[61:62], v[61:62], v[41:42]
	v_div_scale_f64 v[59:60], s[12:13], v[63:64], v[63:64], v[43:44]
	;; [unrolled: 1-line block ×3, first 2 shown]
	v_rcp_f64_e32 v[65:66], v[57:58]
	v_rcp_f64_e32 v[67:68], v[59:60]
	v_fma_f64 v[69:70], -v[57:58], v[65:66], 1.0
	v_fma_f64 v[71:72], -v[59:60], v[67:68], 1.0
	v_fma_f64 v[65:66], v[65:66], v[69:70], v[65:66]
	v_div_scale_f64 v[69:70], vcc, v[41:42], v[61:62], v[41:42]
	v_fma_f64 v[67:68], v[67:68], v[71:72], v[67:68]
	v_fma_f64 v[71:72], -v[57:58], v[65:66], 1.0
	v_fma_f64 v[75:76], -v[59:60], v[67:68], 1.0
	v_fma_f64 v[65:66], v[65:66], v[71:72], v[65:66]
	v_fma_f64 v[67:68], v[67:68], v[75:76], v[67:68]
	v_mul_f64 v[71:72], v[69:70], v[65:66]
	v_mul_f64 v[75:76], v[73:74], v[67:68]
	v_fma_f64 v[57:58], -v[57:58], v[71:72], v[69:70]
	v_fma_f64 v[59:60], -v[59:60], v[75:76], v[73:74]
	v_div_fmas_f64 v[57:58], v[57:58], v[65:66], v[71:72]
	s_mov_b64 vcc, s[12:13]
	v_div_fmas_f64 v[65:66], v[59:60], v[67:68], v[75:76]
	v_div_fixup_f64 v[59:60], v[57:58], v[61:62], v[41:42]
	v_div_fixup_f64 v[57:58], v[65:66], v[63:64], v[43:44]
.LBB51_26:                              ;   in Loop: Header=BB51_4 Depth=1
	s_or_b64 exec, exec, s[30:31]
.LBB51_27:                              ;   in Loop: Header=BB51_4 Depth=1
	s_andn2_saveexec_b64 s[12:13], s[14:15]
	s_cbranch_execz .LBB51_29
; %bb.28:                               ;   in Loop: Header=BB51_4 Depth=1
	v_div_scale_f64 v[57:58], s[14:15], v[47:48], v[47:48], v[45:46]
	v_rcp_f64_e32 v[59:60], v[57:58]
	v_fma_f64 v[65:66], -v[57:58], v[59:60], 1.0
	v_fma_f64 v[59:60], v[59:60], v[65:66], v[59:60]
	v_div_scale_f64 v[65:66], vcc, v[45:46], v[47:48], v[45:46]
	v_fma_f64 v[67:68], -v[57:58], v[59:60], 1.0
	v_fma_f64 v[59:60], v[59:60], v[67:68], v[59:60]
	v_mul_f64 v[67:68], v[65:66], v[59:60]
	v_fma_f64 v[57:58], -v[57:58], v[67:68], v[65:66]
	v_div_fmas_f64 v[57:58], v[57:58], v[59:60], v[67:68]
	v_div_fixup_f64 v[57:58], v[57:58], v[47:48], v[45:46]
	v_fma_f64 v[59:60], v[45:46], v[57:58], v[47:48]
	v_div_scale_f64 v[65:66], s[14:15], v[59:60], v[59:60], 1.0
	v_rcp_f64_e32 v[67:68], v[65:66]
	v_fma_f64 v[69:70], -v[65:66], v[67:68], 1.0
	v_fma_f64 v[67:68], v[67:68], v[69:70], v[67:68]
	v_div_scale_f64 v[69:70], vcc, 1.0, v[59:60], 1.0
	v_fma_f64 v[71:72], -v[65:66], v[67:68], 1.0
	v_fma_f64 v[67:68], v[67:68], v[71:72], v[67:68]
	v_mul_f64 v[71:72], v[69:70], v[67:68]
	v_fma_f64 v[65:66], -v[65:66], v[71:72], v[69:70]
	v_div_fmas_f64 v[65:66], v[65:66], v[67:68], v[71:72]
	v_fma_f64 v[67:68], v[41:42], v[57:58], v[43:44]
	v_fma_f64 v[57:58], v[43:44], v[57:58], -v[41:42]
	v_div_fixup_f64 v[65:66], v[65:66], v[59:60], 1.0
	v_mul_f64 v[59:60], v[67:68], v[65:66]
	v_mul_f64 v[57:58], v[57:58], v[65:66]
.LBB51_29:                              ;   in Loop: Header=BB51_4 Depth=1
	s_or_b64 exec, exec, s[12:13]
	v_mul_f64 v[65:66], s[18:19], v[57:58]
	v_mul_f64 v[67:68], s[16:17], v[57:58]
	s_mov_b64 s[12:13], 0
	v_fma_f64 v[57:58], s[16:17], v[59:60], -v[65:66]
	v_fma_f64 v[59:60], s[18:19], v[59:60], v[67:68]
.LBB51_30:                              ;   in Loop: Header=BB51_4 Depth=1
	s_and_b64 vcc, exec, s[12:13]
	s_cbranch_vccz .LBB51_40
; %bb.31:                               ;   in Loop: Header=BB51_4 Depth=1
                                        ; implicit-def: $vgpr59_vgpr60
                                        ; implicit-def: $vgpr57_vgpr58
	s_and_saveexec_b64 s[12:13], s[10:11]
	s_xor_b64 s[12:13], exec, s[12:13]
	s_cbranch_execz .LBB51_37
; %bb.32:                               ;   in Loop: Header=BB51_4 Depth=1
	v_cmp_neq_f64_e32 vcc, 0, v[45:46]
	v_cmp_neq_f64_e64 s[10:11], 0, v[47:48]
                                        ; implicit-def: $vgpr59_vgpr60
                                        ; implicit-def: $vgpr57_vgpr58
	s_or_b64 s[10:11], s[10:11], vcc
	s_and_saveexec_b64 s[14:15], s[10:11]
	s_xor_b64 s[10:11], exec, s[14:15]
	s_cbranch_execz .LBB51_34
; %bb.33:                               ;   in Loop: Header=BB51_4 Depth=1
	v_div_scale_f64 v[57:58], s[14:15], v[45:46], v[45:46], v[47:48]
	v_rcp_f64_e32 v[59:60], v[57:58]
	v_fma_f64 v[61:62], -v[57:58], v[59:60], 1.0
	v_fma_f64 v[59:60], v[59:60], v[61:62], v[59:60]
	v_div_scale_f64 v[61:62], vcc, v[47:48], v[45:46], v[47:48]
	v_fma_f64 v[63:64], -v[57:58], v[59:60], 1.0
	v_fma_f64 v[59:60], v[59:60], v[63:64], v[59:60]
	v_mul_f64 v[63:64], v[61:62], v[59:60]
	v_fma_f64 v[57:58], -v[57:58], v[63:64], v[61:62]
	v_div_fmas_f64 v[57:58], v[57:58], v[59:60], v[63:64]
	v_div_fixup_f64 v[57:58], v[57:58], v[45:46], v[47:48]
	v_fma_f64 v[45:46], v[47:48], v[57:58], v[45:46]
	v_div_scale_f64 v[47:48], s[14:15], v[45:46], v[45:46], 1.0
	v_rcp_f64_e32 v[59:60], v[47:48]
	v_fma_f64 v[61:62], -v[47:48], v[59:60], 1.0
	v_fma_f64 v[59:60], v[59:60], v[61:62], v[59:60]
	v_div_scale_f64 v[61:62], vcc, 1.0, v[45:46], 1.0
	v_fma_f64 v[63:64], -v[47:48], v[59:60], 1.0
	v_fma_f64 v[59:60], v[59:60], v[63:64], v[59:60]
	v_mul_f64 v[63:64], v[61:62], v[59:60]
	v_fma_f64 v[47:48], -v[47:48], v[63:64], v[61:62]
                                        ; implicit-def: $vgpr61_vgpr62
	v_div_fmas_f64 v[47:48], v[47:48], v[59:60], v[63:64]
	v_fma_f64 v[59:60], v[43:44], v[57:58], v[41:42]
	v_fma_f64 v[41:42], -v[41:42], v[57:58], v[43:44]
                                        ; implicit-def: $vgpr63_vgpr64
	v_div_fixup_f64 v[45:46], v[47:48], v[45:46], 1.0
	v_mul_f64 v[57:58], v[59:60], v[45:46]
	v_mul_f64 v[59:60], v[41:42], v[45:46]
                                        ; implicit-def: $vgpr41_vgpr42
.LBB51_34:                              ;   in Loop: Header=BB51_4 Depth=1
	s_andn2_saveexec_b64 s[14:15], s[10:11]
	s_cbranch_execz .LBB51_36
; %bb.35:                               ;   in Loop: Header=BB51_4 Depth=1
	v_div_scale_f64 v[45:46], s[10:11], v[61:62], v[61:62], v[41:42]
	v_div_scale_f64 v[47:48], s[10:11], v[63:64], v[63:64], v[43:44]
	;; [unrolled: 1-line block ×3, first 2 shown]
	v_rcp_f64_e32 v[57:58], v[45:46]
	v_rcp_f64_e32 v[59:60], v[47:48]
	v_fma_f64 v[65:66], -v[45:46], v[57:58], 1.0
	v_fma_f64 v[67:68], -v[47:48], v[59:60], 1.0
	v_fma_f64 v[57:58], v[57:58], v[65:66], v[57:58]
	v_div_scale_f64 v[65:66], vcc, v[41:42], v[61:62], v[41:42]
	v_fma_f64 v[59:60], v[59:60], v[67:68], v[59:60]
	v_fma_f64 v[67:68], -v[45:46], v[57:58], 1.0
	v_fma_f64 v[71:72], -v[47:48], v[59:60], 1.0
	v_fma_f64 v[57:58], v[57:58], v[67:68], v[57:58]
	v_fma_f64 v[59:60], v[59:60], v[71:72], v[59:60]
	v_mul_f64 v[67:68], v[65:66], v[57:58]
	v_mul_f64 v[71:72], v[69:70], v[59:60]
	v_fma_f64 v[45:46], -v[45:46], v[67:68], v[65:66]
	v_fma_f64 v[47:48], -v[47:48], v[71:72], v[69:70]
	v_div_fmas_f64 v[45:46], v[45:46], v[57:58], v[67:68]
	s_mov_b64 vcc, s[10:11]
	v_div_fmas_f64 v[47:48], v[47:48], v[59:60], v[71:72]
	v_div_fixup_f64 v[57:58], v[45:46], v[61:62], v[41:42]
	v_div_fixup_f64 v[59:60], v[47:48], v[63:64], v[43:44]
.LBB51_36:                              ;   in Loop: Header=BB51_4 Depth=1
	s_or_b64 exec, exec, s[14:15]
                                        ; implicit-def: $vgpr47_vgpr48
                                        ; implicit-def: $vgpr41_vgpr42
.LBB51_37:                              ;   in Loop: Header=BB51_4 Depth=1
	s_andn2_saveexec_b64 s[10:11], s[12:13]
	s_cbranch_execz .LBB51_39
; %bb.38:                               ;   in Loop: Header=BB51_4 Depth=1
	v_div_scale_f64 v[57:58], s[12:13], v[47:48], v[47:48], v[45:46]
	v_rcp_f64_e32 v[59:60], v[57:58]
	v_fma_f64 v[61:62], -v[57:58], v[59:60], 1.0
	v_fma_f64 v[59:60], v[59:60], v[61:62], v[59:60]
	v_div_scale_f64 v[61:62], vcc, v[45:46], v[47:48], v[45:46]
	v_fma_f64 v[63:64], -v[57:58], v[59:60], 1.0
	v_fma_f64 v[59:60], v[59:60], v[63:64], v[59:60]
	v_mul_f64 v[63:64], v[61:62], v[59:60]
	v_fma_f64 v[57:58], -v[57:58], v[63:64], v[61:62]
	v_div_fmas_f64 v[57:58], v[57:58], v[59:60], v[63:64]
	v_div_fixup_f64 v[57:58], v[57:58], v[47:48], v[45:46]
	v_fma_f64 v[45:46], v[45:46], v[57:58], v[47:48]
	v_div_scale_f64 v[47:48], s[12:13], v[45:46], v[45:46], 1.0
	v_rcp_f64_e32 v[59:60], v[47:48]
	v_fma_f64 v[61:62], -v[47:48], v[59:60], 1.0
	v_fma_f64 v[59:60], v[59:60], v[61:62], v[59:60]
	v_div_scale_f64 v[61:62], vcc, 1.0, v[45:46], 1.0
	v_fma_f64 v[63:64], -v[47:48], v[59:60], 1.0
	v_fma_f64 v[59:60], v[59:60], v[63:64], v[59:60]
	v_mul_f64 v[63:64], v[61:62], v[59:60]
	v_fma_f64 v[47:48], -v[47:48], v[63:64], v[61:62]
	v_div_fmas_f64 v[47:48], v[47:48], v[59:60], v[63:64]
	v_fma_f64 v[59:60], v[41:42], v[57:58], v[43:44]
	v_fma_f64 v[41:42], v[43:44], v[57:58], -v[41:42]
	v_div_fixup_f64 v[45:46], v[47:48], v[45:46], 1.0
	v_mul_f64 v[57:58], v[59:60], v[45:46]
	v_mul_f64 v[59:60], v[41:42], v[45:46]
.LBB51_39:                              ;   in Loop: Header=BB51_4 Depth=1
	s_or_b64 exec, exec, s[10:11]
.LBB51_40:                              ;   in Loop: Header=BB51_4 Depth=1
	v_cmp_gt_f64_e32 vcc, 0, v[37:38]
	v_xor_b32_e32 v41, 0x80000000, v38
	v_mov_b32_e32 v45, v37
	v_mov_b32_e32 v47, v39
	s_mov_b64 s[14:15], -1
                                        ; implicit-def: $vgpr43_vgpr44
	v_cndmask_b32_e32 v46, v38, v41, vcc
	v_cmp_gt_f64_e32 vcc, 0, v[39:40]
	v_xor_b32_e32 v41, 0x80000000, v40
	v_cndmask_b32_e32 v48, v40, v41, vcc
	v_cmp_ge_f64_e64 s[12:13], v[45:46], v[47:48]
	v_cndmask_b32_e64 v41, 0, 1, s[28:29]
	v_cmp_ne_u32_e64 s[10:11], 1, v41
	s_andn2_b64 vcc, exec, s[28:29]
                                        ; implicit-def: $vgpr41_vgpr42
	s_cbranch_vccnz .LBB51_50
; %bb.41:                               ;   in Loop: Header=BB51_4 Depth=1
                                        ; implicit-def: $vgpr41_vgpr42
                                        ; implicit-def: $vgpr43_vgpr44
	s_and_saveexec_b64 s[14:15], s[12:13]
	s_xor_b64 s[30:31], exec, s[14:15]
	s_cbranch_execz .LBB51_47
; %bb.42:                               ;   in Loop: Header=BB51_4 Depth=1
	v_cmp_neq_f64_e32 vcc, 0, v[37:38]
	v_cmp_neq_f64_e64 s[14:15], 0, v[39:40]
                                        ; implicit-def: $vgpr41_vgpr42
                                        ; implicit-def: $vgpr43_vgpr44
	s_or_b64 s[14:15], s[14:15], vcc
	s_and_saveexec_b64 s[34:35], s[14:15]
	s_xor_b64 s[14:15], exec, s[34:35]
	s_cbranch_execz .LBB51_44
; %bb.43:                               ;   in Loop: Header=BB51_4 Depth=1
	v_div_scale_f64 v[41:42], s[34:35], v[37:38], v[37:38], v[39:40]
	v_rcp_f64_e32 v[43:44], v[41:42]
	v_fma_f64 v[61:62], -v[41:42], v[43:44], 1.0
	v_fma_f64 v[43:44], v[43:44], v[61:62], v[43:44]
	v_div_scale_f64 v[61:62], vcc, v[39:40], v[37:38], v[39:40]
	v_fma_f64 v[63:64], -v[41:42], v[43:44], 1.0
	v_fma_f64 v[43:44], v[43:44], v[63:64], v[43:44]
	v_mul_f64 v[63:64], v[61:62], v[43:44]
	v_fma_f64 v[41:42], -v[41:42], v[63:64], v[61:62]
	v_div_fmas_f64 v[41:42], v[41:42], v[43:44], v[63:64]
	v_div_fixup_f64 v[41:42], v[41:42], v[37:38], v[39:40]
	v_fma_f64 v[43:44], v[39:40], v[41:42], v[37:38]
	v_div_scale_f64 v[61:62], s[34:35], v[43:44], v[43:44], 1.0
	v_rcp_f64_e32 v[63:64], v[61:62]
	v_fma_f64 v[65:66], -v[61:62], v[63:64], 1.0
	v_fma_f64 v[63:64], v[63:64], v[65:66], v[63:64]
	v_div_scale_f64 v[65:66], vcc, 1.0, v[43:44], 1.0
	v_fma_f64 v[67:68], -v[61:62], v[63:64], 1.0
	v_fma_f64 v[63:64], v[63:64], v[67:68], v[63:64]
	v_mul_f64 v[67:68], v[65:66], v[63:64]
	v_fma_f64 v[61:62], -v[61:62], v[67:68], v[65:66]
	v_div_fmas_f64 v[61:62], v[61:62], v[63:64], v[67:68]
	v_fma_f64 v[63:64], v[35:36], v[41:42], v[33:34]
	v_fma_f64 v[41:42], -v[33:34], v[41:42], v[35:36]
	v_div_fixup_f64 v[61:62], v[61:62], v[43:44], 1.0
	v_mul_f64 v[43:44], v[63:64], v[61:62]
	v_mul_f64 v[41:42], v[41:42], v[61:62]
.LBB51_44:                              ;   in Loop: Header=BB51_4 Depth=1
	s_andn2_saveexec_b64 s[34:35], s[14:15]
	s_cbranch_execz .LBB51_46
; %bb.45:                               ;   in Loop: Header=BB51_4 Depth=1
	v_div_scale_f64 v[41:42], s[14:15], v[45:46], v[45:46], v[33:34]
	v_div_scale_f64 v[43:44], s[14:15], v[47:48], v[47:48], v[35:36]
	;; [unrolled: 1-line block ×3, first 2 shown]
	v_rcp_f64_e32 v[61:62], v[41:42]
	v_rcp_f64_e32 v[63:64], v[43:44]
	v_fma_f64 v[65:66], -v[41:42], v[61:62], 1.0
	v_fma_f64 v[67:68], -v[43:44], v[63:64], 1.0
	v_fma_f64 v[61:62], v[61:62], v[65:66], v[61:62]
	v_div_scale_f64 v[65:66], vcc, v[33:34], v[45:46], v[33:34]
	v_fma_f64 v[63:64], v[63:64], v[67:68], v[63:64]
	v_fma_f64 v[67:68], -v[41:42], v[61:62], 1.0
	v_fma_f64 v[71:72], -v[43:44], v[63:64], 1.0
	v_fma_f64 v[61:62], v[61:62], v[67:68], v[61:62]
	v_fma_f64 v[63:64], v[63:64], v[71:72], v[63:64]
	v_mul_f64 v[67:68], v[65:66], v[61:62]
	v_mul_f64 v[71:72], v[69:70], v[63:64]
	v_fma_f64 v[41:42], -v[41:42], v[67:68], v[65:66]
	v_fma_f64 v[43:44], -v[43:44], v[71:72], v[69:70]
	v_div_fmas_f64 v[41:42], v[41:42], v[61:62], v[67:68]
	s_mov_b64 vcc, s[14:15]
	v_div_fmas_f64 v[61:62], v[43:44], v[63:64], v[71:72]
	v_div_fixup_f64 v[43:44], v[41:42], v[45:46], v[33:34]
	v_div_fixup_f64 v[41:42], v[61:62], v[47:48], v[35:36]
.LBB51_46:                              ;   in Loop: Header=BB51_4 Depth=1
	s_or_b64 exec, exec, s[34:35]
.LBB51_47:                              ;   in Loop: Header=BB51_4 Depth=1
	s_andn2_saveexec_b64 s[14:15], s[30:31]
	s_cbranch_execz .LBB51_49
; %bb.48:                               ;   in Loop: Header=BB51_4 Depth=1
	v_div_scale_f64 v[41:42], s[30:31], v[39:40], v[39:40], v[37:38]
	v_rcp_f64_e32 v[43:44], v[41:42]
	v_fma_f64 v[61:62], -v[41:42], v[43:44], 1.0
	v_fma_f64 v[43:44], v[43:44], v[61:62], v[43:44]
	v_div_scale_f64 v[61:62], vcc, v[37:38], v[39:40], v[37:38]
	v_fma_f64 v[63:64], -v[41:42], v[43:44], 1.0
	v_fma_f64 v[43:44], v[43:44], v[63:64], v[43:44]
	v_mul_f64 v[63:64], v[61:62], v[43:44]
	v_fma_f64 v[41:42], -v[41:42], v[63:64], v[61:62]
	v_div_fmas_f64 v[41:42], v[41:42], v[43:44], v[63:64]
	v_div_fixup_f64 v[41:42], v[41:42], v[39:40], v[37:38]
	v_fma_f64 v[43:44], v[37:38], v[41:42], v[39:40]
	v_div_scale_f64 v[61:62], s[30:31], v[43:44], v[43:44], 1.0
	v_rcp_f64_e32 v[63:64], v[61:62]
	v_fma_f64 v[65:66], -v[61:62], v[63:64], 1.0
	v_fma_f64 v[63:64], v[63:64], v[65:66], v[63:64]
	v_div_scale_f64 v[65:66], vcc, 1.0, v[43:44], 1.0
	v_fma_f64 v[67:68], -v[61:62], v[63:64], 1.0
	v_fma_f64 v[63:64], v[63:64], v[67:68], v[63:64]
	v_mul_f64 v[67:68], v[65:66], v[63:64]
	v_fma_f64 v[61:62], -v[61:62], v[67:68], v[65:66]
	v_div_fmas_f64 v[61:62], v[61:62], v[63:64], v[67:68]
	v_fma_f64 v[63:64], v[33:34], v[41:42], v[35:36]
	v_fma_f64 v[41:42], v[35:36], v[41:42], -v[33:34]
	v_div_fixup_f64 v[61:62], v[61:62], v[43:44], 1.0
	v_mul_f64 v[43:44], v[63:64], v[61:62]
	v_mul_f64 v[41:42], v[41:42], v[61:62]
.LBB51_49:                              ;   in Loop: Header=BB51_4 Depth=1
	s_or_b64 exec, exec, s[14:15]
	v_mul_f64 v[61:62], s[18:19], v[41:42]
	v_mul_f64 v[63:64], s[16:17], v[41:42]
	s_mov_b64 s[14:15], 0
	v_fma_f64 v[41:42], s[16:17], v[43:44], -v[61:62]
	v_fma_f64 v[43:44], s[18:19], v[43:44], v[63:64]
.LBB51_50:                              ;   in Loop: Header=BB51_4 Depth=1
	s_and_b64 vcc, exec, s[14:15]
	s_cbranch_vccz .LBB51_60
; %bb.51:                               ;   in Loop: Header=BB51_4 Depth=1
                                        ; implicit-def: $vgpr43_vgpr44
                                        ; implicit-def: $vgpr41_vgpr42
	s_and_saveexec_b64 s[14:15], s[12:13]
	s_xor_b64 s[14:15], exec, s[14:15]
	s_cbranch_execz .LBB51_57
; %bb.52:                               ;   in Loop: Header=BB51_4 Depth=1
	v_cmp_neq_f64_e32 vcc, 0, v[37:38]
	v_cmp_neq_f64_e64 s[12:13], 0, v[39:40]
                                        ; implicit-def: $vgpr43_vgpr44
                                        ; implicit-def: $vgpr41_vgpr42
	s_or_b64 s[12:13], s[12:13], vcc
	s_and_saveexec_b64 s[30:31], s[12:13]
	s_xor_b64 s[12:13], exec, s[30:31]
	s_cbranch_execz .LBB51_54
; %bb.53:                               ;   in Loop: Header=BB51_4 Depth=1
	v_div_scale_f64 v[41:42], s[30:31], v[37:38], v[37:38], v[39:40]
	v_rcp_f64_e32 v[43:44], v[41:42]
	v_fma_f64 v[45:46], -v[41:42], v[43:44], 1.0
	v_fma_f64 v[43:44], v[43:44], v[45:46], v[43:44]
	v_div_scale_f64 v[45:46], vcc, v[39:40], v[37:38], v[39:40]
	v_fma_f64 v[47:48], -v[41:42], v[43:44], 1.0
	v_fma_f64 v[43:44], v[43:44], v[47:48], v[43:44]
	v_mul_f64 v[47:48], v[45:46], v[43:44]
	v_fma_f64 v[41:42], -v[41:42], v[47:48], v[45:46]
	v_div_fmas_f64 v[41:42], v[41:42], v[43:44], v[47:48]
	v_div_fixup_f64 v[41:42], v[41:42], v[37:38], v[39:40]
	v_fma_f64 v[37:38], v[39:40], v[41:42], v[37:38]
	v_div_scale_f64 v[39:40], s[30:31], v[37:38], v[37:38], 1.0
	v_rcp_f64_e32 v[43:44], v[39:40]
	v_fma_f64 v[45:46], -v[39:40], v[43:44], 1.0
	v_fma_f64 v[43:44], v[43:44], v[45:46], v[43:44]
	v_div_scale_f64 v[45:46], vcc, 1.0, v[37:38], 1.0
	v_fma_f64 v[47:48], -v[39:40], v[43:44], 1.0
	v_fma_f64 v[43:44], v[43:44], v[47:48], v[43:44]
	v_mul_f64 v[47:48], v[45:46], v[43:44]
	v_fma_f64 v[39:40], -v[39:40], v[47:48], v[45:46]
                                        ; implicit-def: $vgpr45_vgpr46
	v_div_fmas_f64 v[39:40], v[39:40], v[43:44], v[47:48]
	v_fma_f64 v[43:44], v[35:36], v[41:42], v[33:34]
	v_fma_f64 v[33:34], -v[33:34], v[41:42], v[35:36]
                                        ; implicit-def: $vgpr47_vgpr48
	v_div_fixup_f64 v[37:38], v[39:40], v[37:38], 1.0
	v_mul_f64 v[41:42], v[43:44], v[37:38]
	v_mul_f64 v[43:44], v[33:34], v[37:38]
                                        ; implicit-def: $vgpr33_vgpr34
.LBB51_54:                              ;   in Loop: Header=BB51_4 Depth=1
	s_andn2_saveexec_b64 s[30:31], s[12:13]
	s_cbranch_execz .LBB51_56
; %bb.55:                               ;   in Loop: Header=BB51_4 Depth=1
	v_div_scale_f64 v[37:38], s[12:13], v[45:46], v[45:46], v[33:34]
	v_div_scale_f64 v[39:40], s[12:13], v[47:48], v[47:48], v[35:36]
	v_div_scale_f64 v[65:66], s[12:13], v[35:36], v[47:48], v[35:36]
	v_rcp_f64_e32 v[41:42], v[37:38]
	v_rcp_f64_e32 v[43:44], v[39:40]
	v_fma_f64 v[61:62], -v[37:38], v[41:42], 1.0
	v_fma_f64 v[63:64], -v[39:40], v[43:44], 1.0
	v_fma_f64 v[41:42], v[41:42], v[61:62], v[41:42]
	v_div_scale_f64 v[61:62], vcc, v[33:34], v[45:46], v[33:34]
	v_fma_f64 v[43:44], v[43:44], v[63:64], v[43:44]
	v_fma_f64 v[63:64], -v[37:38], v[41:42], 1.0
	v_fma_f64 v[67:68], -v[39:40], v[43:44], 1.0
	v_fma_f64 v[41:42], v[41:42], v[63:64], v[41:42]
	v_fma_f64 v[43:44], v[43:44], v[67:68], v[43:44]
	v_mul_f64 v[63:64], v[61:62], v[41:42]
	v_mul_f64 v[67:68], v[65:66], v[43:44]
	v_fma_f64 v[37:38], -v[37:38], v[63:64], v[61:62]
	v_fma_f64 v[39:40], -v[39:40], v[67:68], v[65:66]
	v_div_fmas_f64 v[37:38], v[37:38], v[41:42], v[63:64]
	s_mov_b64 vcc, s[12:13]
	v_div_fmas_f64 v[39:40], v[39:40], v[43:44], v[67:68]
	v_div_fixup_f64 v[41:42], v[37:38], v[45:46], v[33:34]
	v_div_fixup_f64 v[43:44], v[39:40], v[47:48], v[35:36]
.LBB51_56:                              ;   in Loop: Header=BB51_4 Depth=1
	s_or_b64 exec, exec, s[30:31]
                                        ; implicit-def: $vgpr39_vgpr40
                                        ; implicit-def: $vgpr33_vgpr34
.LBB51_57:                              ;   in Loop: Header=BB51_4 Depth=1
	s_andn2_saveexec_b64 s[12:13], s[14:15]
	s_cbranch_execz .LBB51_59
; %bb.58:                               ;   in Loop: Header=BB51_4 Depth=1
	v_div_scale_f64 v[41:42], s[14:15], v[39:40], v[39:40], v[37:38]
	v_rcp_f64_e32 v[43:44], v[41:42]
	v_fma_f64 v[45:46], -v[41:42], v[43:44], 1.0
	v_fma_f64 v[43:44], v[43:44], v[45:46], v[43:44]
	v_div_scale_f64 v[45:46], vcc, v[37:38], v[39:40], v[37:38]
	v_fma_f64 v[47:48], -v[41:42], v[43:44], 1.0
	v_fma_f64 v[43:44], v[43:44], v[47:48], v[43:44]
	v_mul_f64 v[47:48], v[45:46], v[43:44]
	v_fma_f64 v[41:42], -v[41:42], v[47:48], v[45:46]
	v_div_fmas_f64 v[41:42], v[41:42], v[43:44], v[47:48]
	v_div_fixup_f64 v[41:42], v[41:42], v[39:40], v[37:38]
	v_fma_f64 v[37:38], v[37:38], v[41:42], v[39:40]
	v_div_scale_f64 v[39:40], s[14:15], v[37:38], v[37:38], 1.0
	v_rcp_f64_e32 v[43:44], v[39:40]
	v_fma_f64 v[45:46], -v[39:40], v[43:44], 1.0
	v_fma_f64 v[43:44], v[43:44], v[45:46], v[43:44]
	v_div_scale_f64 v[45:46], vcc, 1.0, v[37:38], 1.0
	v_fma_f64 v[47:48], -v[39:40], v[43:44], 1.0
	v_fma_f64 v[43:44], v[43:44], v[47:48], v[43:44]
	v_mul_f64 v[47:48], v[45:46], v[43:44]
	v_fma_f64 v[39:40], -v[39:40], v[47:48], v[45:46]
	v_div_fmas_f64 v[39:40], v[39:40], v[43:44], v[47:48]
	v_fma_f64 v[43:44], v[33:34], v[41:42], v[35:36]
	v_fma_f64 v[33:34], v[35:36], v[41:42], -v[33:34]
	v_div_fixup_f64 v[37:38], v[39:40], v[37:38], 1.0
	v_mul_f64 v[41:42], v[43:44], v[37:38]
	v_mul_f64 v[43:44], v[33:34], v[37:38]
.LBB51_59:                              ;   in Loop: Header=BB51_4 Depth=1
	s_or_b64 exec, exec, s[12:13]
.LBB51_60:                              ;   in Loop: Header=BB51_4 Depth=1
	v_cmp_gt_f64_e32 vcc, 0, v[29:30]
	v_xor_b32_e32 v33, 0x80000000, v30
	v_mov_b32_e32 v37, v29
	v_mov_b32_e32 v39, v31
	s_mov_b64 s[14:15], -1
                                        ; implicit-def: $vgpr35_vgpr36
	v_cndmask_b32_e32 v38, v30, v33, vcc
	v_cmp_gt_f64_e32 vcc, 0, v[31:32]
	v_xor_b32_e32 v33, 0x80000000, v32
	v_cndmask_b32_e32 v40, v32, v33, vcc
	v_cmp_ge_f64_e64 s[12:13], v[37:38], v[39:40]
	s_and_b64 vcc, exec, s[10:11]
                                        ; implicit-def: $vgpr33_vgpr34
	s_cbranch_vccnz .LBB51_70
; %bb.61:                               ;   in Loop: Header=BB51_4 Depth=1
                                        ; implicit-def: $vgpr33_vgpr34
                                        ; implicit-def: $vgpr35_vgpr36
	s_and_saveexec_b64 s[14:15], s[12:13]
	s_xor_b64 s[30:31], exec, s[14:15]
	s_cbranch_execz .LBB51_67
; %bb.62:                               ;   in Loop: Header=BB51_4 Depth=1
	v_cmp_neq_f64_e32 vcc, 0, v[29:30]
	v_cmp_neq_f64_e64 s[14:15], 0, v[31:32]
                                        ; implicit-def: $vgpr33_vgpr34
                                        ; implicit-def: $vgpr35_vgpr36
	s_or_b64 s[14:15], s[14:15], vcc
	s_and_saveexec_b64 s[34:35], s[14:15]
	s_xor_b64 s[14:15], exec, s[34:35]
	s_cbranch_execz .LBB51_64
; %bb.63:                               ;   in Loop: Header=BB51_4 Depth=1
	v_div_scale_f64 v[33:34], s[34:35], v[29:30], v[29:30], v[31:32]
	v_rcp_f64_e32 v[35:36], v[33:34]
	v_fma_f64 v[45:46], -v[33:34], v[35:36], 1.0
	v_fma_f64 v[35:36], v[35:36], v[45:46], v[35:36]
	v_div_scale_f64 v[45:46], vcc, v[31:32], v[29:30], v[31:32]
	v_fma_f64 v[47:48], -v[33:34], v[35:36], 1.0
	v_fma_f64 v[35:36], v[35:36], v[47:48], v[35:36]
	v_mul_f64 v[47:48], v[45:46], v[35:36]
	v_fma_f64 v[33:34], -v[33:34], v[47:48], v[45:46]
	v_div_fmas_f64 v[33:34], v[33:34], v[35:36], v[47:48]
	v_div_fixup_f64 v[33:34], v[33:34], v[29:30], v[31:32]
	v_fma_f64 v[35:36], v[31:32], v[33:34], v[29:30]
	v_div_scale_f64 v[45:46], s[34:35], v[35:36], v[35:36], 1.0
	v_rcp_f64_e32 v[47:48], v[45:46]
	v_fma_f64 v[61:62], -v[45:46], v[47:48], 1.0
	v_fma_f64 v[47:48], v[47:48], v[61:62], v[47:48]
	v_div_scale_f64 v[61:62], vcc, 1.0, v[35:36], 1.0
	v_fma_f64 v[63:64], -v[45:46], v[47:48], 1.0
	v_fma_f64 v[47:48], v[47:48], v[63:64], v[47:48]
	v_mul_f64 v[63:64], v[61:62], v[47:48]
	v_fma_f64 v[45:46], -v[45:46], v[63:64], v[61:62]
	v_div_fmas_f64 v[45:46], v[45:46], v[47:48], v[63:64]
	v_fma_f64 v[47:48], v[27:28], v[33:34], v[25:26]
	v_fma_f64 v[33:34], -v[25:26], v[33:34], v[27:28]
	v_div_fixup_f64 v[45:46], v[45:46], v[35:36], 1.0
	v_mul_f64 v[35:36], v[47:48], v[45:46]
	v_mul_f64 v[33:34], v[33:34], v[45:46]
.LBB51_64:                              ;   in Loop: Header=BB51_4 Depth=1
	s_andn2_saveexec_b64 s[34:35], s[14:15]
	s_cbranch_execz .LBB51_66
; %bb.65:                               ;   in Loop: Header=BB51_4 Depth=1
	v_div_scale_f64 v[33:34], s[14:15], v[37:38], v[37:38], v[25:26]
	v_div_scale_f64 v[35:36], s[14:15], v[39:40], v[39:40], v[27:28]
	v_div_scale_f64 v[65:66], s[14:15], v[27:28], v[39:40], v[27:28]
	v_rcp_f64_e32 v[45:46], v[33:34]
	v_rcp_f64_e32 v[47:48], v[35:36]
	v_fma_f64 v[61:62], -v[33:34], v[45:46], 1.0
	v_fma_f64 v[63:64], -v[35:36], v[47:48], 1.0
	v_fma_f64 v[45:46], v[45:46], v[61:62], v[45:46]
	v_div_scale_f64 v[61:62], vcc, v[25:26], v[37:38], v[25:26]
	v_fma_f64 v[47:48], v[47:48], v[63:64], v[47:48]
	v_fma_f64 v[63:64], -v[33:34], v[45:46], 1.0
	v_fma_f64 v[67:68], -v[35:36], v[47:48], 1.0
	v_fma_f64 v[45:46], v[45:46], v[63:64], v[45:46]
	v_fma_f64 v[47:48], v[47:48], v[67:68], v[47:48]
	v_mul_f64 v[63:64], v[61:62], v[45:46]
	v_mul_f64 v[67:68], v[65:66], v[47:48]
	v_fma_f64 v[33:34], -v[33:34], v[63:64], v[61:62]
	v_fma_f64 v[35:36], -v[35:36], v[67:68], v[65:66]
	v_div_fmas_f64 v[33:34], v[33:34], v[45:46], v[63:64]
	s_mov_b64 vcc, s[14:15]
	v_div_fmas_f64 v[45:46], v[35:36], v[47:48], v[67:68]
	v_div_fixup_f64 v[35:36], v[33:34], v[37:38], v[25:26]
	v_div_fixup_f64 v[33:34], v[45:46], v[39:40], v[27:28]
.LBB51_66:                              ;   in Loop: Header=BB51_4 Depth=1
	s_or_b64 exec, exec, s[34:35]
.LBB51_67:                              ;   in Loop: Header=BB51_4 Depth=1
	s_andn2_saveexec_b64 s[14:15], s[30:31]
	s_cbranch_execz .LBB51_69
; %bb.68:                               ;   in Loop: Header=BB51_4 Depth=1
	v_div_scale_f64 v[33:34], s[30:31], v[31:32], v[31:32], v[29:30]
	v_rcp_f64_e32 v[35:36], v[33:34]
	v_fma_f64 v[45:46], -v[33:34], v[35:36], 1.0
	v_fma_f64 v[35:36], v[35:36], v[45:46], v[35:36]
	v_div_scale_f64 v[45:46], vcc, v[29:30], v[31:32], v[29:30]
	v_fma_f64 v[47:48], -v[33:34], v[35:36], 1.0
	v_fma_f64 v[35:36], v[35:36], v[47:48], v[35:36]
	v_mul_f64 v[47:48], v[45:46], v[35:36]
	v_fma_f64 v[33:34], -v[33:34], v[47:48], v[45:46]
	v_div_fmas_f64 v[33:34], v[33:34], v[35:36], v[47:48]
	v_div_fixup_f64 v[33:34], v[33:34], v[31:32], v[29:30]
	v_fma_f64 v[35:36], v[29:30], v[33:34], v[31:32]
	v_div_scale_f64 v[45:46], s[30:31], v[35:36], v[35:36], 1.0
	v_rcp_f64_e32 v[47:48], v[45:46]
	v_fma_f64 v[61:62], -v[45:46], v[47:48], 1.0
	v_fma_f64 v[47:48], v[47:48], v[61:62], v[47:48]
	v_div_scale_f64 v[61:62], vcc, 1.0, v[35:36], 1.0
	v_fma_f64 v[63:64], -v[45:46], v[47:48], 1.0
	v_fma_f64 v[47:48], v[47:48], v[63:64], v[47:48]
	v_mul_f64 v[63:64], v[61:62], v[47:48]
	v_fma_f64 v[45:46], -v[45:46], v[63:64], v[61:62]
	v_div_fmas_f64 v[45:46], v[45:46], v[47:48], v[63:64]
	v_fma_f64 v[47:48], v[25:26], v[33:34], v[27:28]
	v_fma_f64 v[33:34], v[27:28], v[33:34], -v[25:26]
	v_div_fixup_f64 v[45:46], v[45:46], v[35:36], 1.0
	v_mul_f64 v[35:36], v[47:48], v[45:46]
	v_mul_f64 v[33:34], v[33:34], v[45:46]
.LBB51_69:                              ;   in Loop: Header=BB51_4 Depth=1
	s_or_b64 exec, exec, s[14:15]
	v_mul_f64 v[45:46], s[18:19], v[33:34]
	v_mul_f64 v[47:48], s[16:17], v[33:34]
	s_mov_b64 s[14:15], 0
	v_fma_f64 v[33:34], s[16:17], v[35:36], -v[45:46]
	v_fma_f64 v[35:36], s[18:19], v[35:36], v[47:48]
.LBB51_70:                              ;   in Loop: Header=BB51_4 Depth=1
	s_and_b64 vcc, exec, s[14:15]
	s_cbranch_vccz .LBB51_80
; %bb.71:                               ;   in Loop: Header=BB51_4 Depth=1
                                        ; implicit-def: $vgpr35_vgpr36
                                        ; implicit-def: $vgpr33_vgpr34
	s_and_saveexec_b64 s[14:15], s[12:13]
	s_xor_b64 s[14:15], exec, s[14:15]
	s_cbranch_execz .LBB51_77
; %bb.72:                               ;   in Loop: Header=BB51_4 Depth=1
	v_cmp_neq_f64_e32 vcc, 0, v[29:30]
	v_cmp_neq_f64_e64 s[12:13], 0, v[31:32]
                                        ; implicit-def: $vgpr35_vgpr36
                                        ; implicit-def: $vgpr33_vgpr34
	s_or_b64 s[12:13], s[12:13], vcc
	s_and_saveexec_b64 s[30:31], s[12:13]
	s_xor_b64 s[12:13], exec, s[30:31]
	s_cbranch_execz .LBB51_74
; %bb.73:                               ;   in Loop: Header=BB51_4 Depth=1
	v_div_scale_f64 v[33:34], s[30:31], v[29:30], v[29:30], v[31:32]
	v_rcp_f64_e32 v[35:36], v[33:34]
	v_fma_f64 v[37:38], -v[33:34], v[35:36], 1.0
	v_fma_f64 v[35:36], v[35:36], v[37:38], v[35:36]
	v_div_scale_f64 v[37:38], vcc, v[31:32], v[29:30], v[31:32]
	v_fma_f64 v[39:40], -v[33:34], v[35:36], 1.0
	v_fma_f64 v[35:36], v[35:36], v[39:40], v[35:36]
	v_mul_f64 v[39:40], v[37:38], v[35:36]
	v_fma_f64 v[33:34], -v[33:34], v[39:40], v[37:38]
	v_div_fmas_f64 v[33:34], v[33:34], v[35:36], v[39:40]
	v_div_fixup_f64 v[33:34], v[33:34], v[29:30], v[31:32]
	v_fma_f64 v[29:30], v[31:32], v[33:34], v[29:30]
	v_div_scale_f64 v[31:32], s[30:31], v[29:30], v[29:30], 1.0
	v_rcp_f64_e32 v[35:36], v[31:32]
	v_fma_f64 v[37:38], -v[31:32], v[35:36], 1.0
	v_fma_f64 v[35:36], v[35:36], v[37:38], v[35:36]
	v_div_scale_f64 v[37:38], vcc, 1.0, v[29:30], 1.0
	v_fma_f64 v[39:40], -v[31:32], v[35:36], 1.0
	v_fma_f64 v[35:36], v[35:36], v[39:40], v[35:36]
	v_mul_f64 v[39:40], v[37:38], v[35:36]
	v_fma_f64 v[31:32], -v[31:32], v[39:40], v[37:38]
                                        ; implicit-def: $vgpr37_vgpr38
	v_div_fmas_f64 v[31:32], v[31:32], v[35:36], v[39:40]
	v_fma_f64 v[35:36], v[27:28], v[33:34], v[25:26]
	v_fma_f64 v[25:26], -v[25:26], v[33:34], v[27:28]
                                        ; implicit-def: $vgpr39_vgpr40
	v_div_fixup_f64 v[29:30], v[31:32], v[29:30], 1.0
	v_mul_f64 v[33:34], v[35:36], v[29:30]
	v_mul_f64 v[35:36], v[25:26], v[29:30]
                                        ; implicit-def: $vgpr25_vgpr26
.LBB51_74:                              ;   in Loop: Header=BB51_4 Depth=1
	s_andn2_saveexec_b64 s[30:31], s[12:13]
	s_cbranch_execz .LBB51_76
; %bb.75:                               ;   in Loop: Header=BB51_4 Depth=1
	v_div_scale_f64 v[29:30], s[12:13], v[37:38], v[37:38], v[25:26]
	v_div_scale_f64 v[31:32], s[12:13], v[39:40], v[39:40], v[27:28]
	;; [unrolled: 1-line block ×3, first 2 shown]
	v_rcp_f64_e32 v[33:34], v[29:30]
	v_rcp_f64_e32 v[35:36], v[31:32]
	v_fma_f64 v[45:46], -v[29:30], v[33:34], 1.0
	v_fma_f64 v[47:48], -v[31:32], v[35:36], 1.0
	v_fma_f64 v[33:34], v[33:34], v[45:46], v[33:34]
	v_div_scale_f64 v[45:46], vcc, v[25:26], v[37:38], v[25:26]
	v_fma_f64 v[35:36], v[35:36], v[47:48], v[35:36]
	v_fma_f64 v[47:48], -v[29:30], v[33:34], 1.0
	v_fma_f64 v[63:64], -v[31:32], v[35:36], 1.0
	v_fma_f64 v[33:34], v[33:34], v[47:48], v[33:34]
	v_fma_f64 v[35:36], v[35:36], v[63:64], v[35:36]
	v_mul_f64 v[47:48], v[45:46], v[33:34]
	v_mul_f64 v[63:64], v[61:62], v[35:36]
	v_fma_f64 v[29:30], -v[29:30], v[47:48], v[45:46]
	v_fma_f64 v[31:32], -v[31:32], v[63:64], v[61:62]
	v_div_fmas_f64 v[29:30], v[29:30], v[33:34], v[47:48]
	s_mov_b64 vcc, s[12:13]
	v_div_fmas_f64 v[31:32], v[31:32], v[35:36], v[63:64]
	v_div_fixup_f64 v[33:34], v[29:30], v[37:38], v[25:26]
	v_div_fixup_f64 v[35:36], v[31:32], v[39:40], v[27:28]
.LBB51_76:                              ;   in Loop: Header=BB51_4 Depth=1
	s_or_b64 exec, exec, s[30:31]
                                        ; implicit-def: $vgpr31_vgpr32
                                        ; implicit-def: $vgpr25_vgpr26
.LBB51_77:                              ;   in Loop: Header=BB51_4 Depth=1
	s_andn2_saveexec_b64 s[12:13], s[14:15]
	s_cbranch_execz .LBB51_79
; %bb.78:                               ;   in Loop: Header=BB51_4 Depth=1
	v_div_scale_f64 v[33:34], s[14:15], v[31:32], v[31:32], v[29:30]
	v_rcp_f64_e32 v[35:36], v[33:34]
	v_fma_f64 v[37:38], -v[33:34], v[35:36], 1.0
	v_fma_f64 v[35:36], v[35:36], v[37:38], v[35:36]
	v_div_scale_f64 v[37:38], vcc, v[29:30], v[31:32], v[29:30]
	v_fma_f64 v[39:40], -v[33:34], v[35:36], 1.0
	v_fma_f64 v[35:36], v[35:36], v[39:40], v[35:36]
	v_mul_f64 v[39:40], v[37:38], v[35:36]
	v_fma_f64 v[33:34], -v[33:34], v[39:40], v[37:38]
	v_div_fmas_f64 v[33:34], v[33:34], v[35:36], v[39:40]
	v_div_fixup_f64 v[33:34], v[33:34], v[31:32], v[29:30]
	v_fma_f64 v[29:30], v[29:30], v[33:34], v[31:32]
	v_div_scale_f64 v[31:32], s[14:15], v[29:30], v[29:30], 1.0
	v_rcp_f64_e32 v[35:36], v[31:32]
	v_fma_f64 v[37:38], -v[31:32], v[35:36], 1.0
	v_fma_f64 v[35:36], v[35:36], v[37:38], v[35:36]
	v_div_scale_f64 v[37:38], vcc, 1.0, v[29:30], 1.0
	v_fma_f64 v[39:40], -v[31:32], v[35:36], 1.0
	v_fma_f64 v[35:36], v[35:36], v[39:40], v[35:36]
	v_mul_f64 v[39:40], v[37:38], v[35:36]
	v_fma_f64 v[31:32], -v[31:32], v[39:40], v[37:38]
	v_div_fmas_f64 v[31:32], v[31:32], v[35:36], v[39:40]
	v_fma_f64 v[35:36], v[25:26], v[33:34], v[27:28]
	v_fma_f64 v[25:26], v[27:28], v[33:34], -v[25:26]
	v_div_fixup_f64 v[29:30], v[31:32], v[29:30], 1.0
	v_mul_f64 v[33:34], v[35:36], v[29:30]
	v_mul_f64 v[35:36], v[25:26], v[29:30]
.LBB51_79:                              ;   in Loop: Header=BB51_4 Depth=1
	s_or_b64 exec, exec, s[12:13]
.LBB51_80:                              ;   in Loop: Header=BB51_4 Depth=1
	v_cmp_gt_f64_e32 vcc, 0, v[21:22]
	v_xor_b32_e32 v25, 0x80000000, v22
	v_xor_b32_e32 v27, 0x80000000, v24
                                        ; implicit-def: $vgpr31_vgpr32
                                        ; implicit-def: $vgpr29_vgpr30
	v_cndmask_b32_e32 v26, v22, v25, vcc
	v_cmp_gt_f64_e32 vcc, 0, v[23:24]
	v_mov_b32_e32 v25, v21
	v_cndmask_b32_e32 v28, v24, v27, vcc
	v_mov_b32_e32 v27, v23
	v_cmp_ge_f64_e64 s[12:13], v[25:26], v[27:28]
	s_and_b64 vcc, exec, s[10:11]
	s_mov_b64 s[10:11], -1
	s_cbranch_vccz .LBB51_86
; %bb.81:                               ;   in Loop: Header=BB51_4 Depth=1
	s_and_b64 vcc, exec, s[10:11]
	s_cbranch_vccnz .LBB51_95
.LBB51_82:                              ;   in Loop: Header=BB51_4 Depth=1
	s_and_saveexec_b64 s[10:11], s[0:1]
	s_xor_b64 s[0:1], exec, s[10:11]
	s_cbranch_execnz .LBB51_104
.LBB51_83:                              ;   in Loop: Header=BB51_4 Depth=1
	s_or_b64 exec, exec, s[0:1]
	s_and_saveexec_b64 s[0:1], s[2:3]
	s_cbranch_execnz .LBB51_105
.LBB51_84:                              ;   in Loop: Header=BB51_4 Depth=1
	s_or_b64 exec, exec, s[0:1]
	s_and_saveexec_b64 s[0:1], s[6:7]
	s_cbranch_execnz .LBB51_106
.LBB51_85:                              ;   in Loop: Header=BB51_4 Depth=1
	s_or_b64 exec, exec, s[0:1]
	s_and_saveexec_b64 s[0:1], s[8:9]
	s_cbranch_execz .LBB51_3
	s_branch .LBB51_107
.LBB51_86:                              ;   in Loop: Header=BB51_4 Depth=1
                                        ; implicit-def: $vgpr29_vgpr30
                                        ; implicit-def: $vgpr31_vgpr32
	s_and_saveexec_b64 s[10:11], s[12:13]
	s_xor_b64 s[14:15], exec, s[10:11]
	s_cbranch_execz .LBB51_92
; %bb.87:                               ;   in Loop: Header=BB51_4 Depth=1
	v_cmp_neq_f64_e32 vcc, 0, v[21:22]
	v_cmp_neq_f64_e64 s[10:11], 0, v[23:24]
                                        ; implicit-def: $vgpr29_vgpr30
                                        ; implicit-def: $vgpr31_vgpr32
	s_or_b64 s[10:11], s[10:11], vcc
	s_and_saveexec_b64 s[30:31], s[10:11]
	s_xor_b64 s[10:11], exec, s[30:31]
	s_cbranch_execz .LBB51_89
; %bb.88:                               ;   in Loop: Header=BB51_4 Depth=1
	v_div_scale_f64 v[29:30], s[30:31], v[21:22], v[21:22], v[23:24]
	v_rcp_f64_e32 v[31:32], v[29:30]
	v_fma_f64 v[37:38], -v[29:30], v[31:32], 1.0
	v_fma_f64 v[31:32], v[31:32], v[37:38], v[31:32]
	v_div_scale_f64 v[37:38], vcc, v[23:24], v[21:22], v[23:24]
	v_fma_f64 v[39:40], -v[29:30], v[31:32], 1.0
	v_fma_f64 v[31:32], v[31:32], v[39:40], v[31:32]
	v_mul_f64 v[39:40], v[37:38], v[31:32]
	v_fma_f64 v[29:30], -v[29:30], v[39:40], v[37:38]
	v_div_fmas_f64 v[29:30], v[29:30], v[31:32], v[39:40]
	v_div_fixup_f64 v[29:30], v[29:30], v[21:22], v[23:24]
	v_fma_f64 v[31:32], v[23:24], v[29:30], v[21:22]
	v_div_scale_f64 v[37:38], s[30:31], v[31:32], v[31:32], 1.0
	v_rcp_f64_e32 v[39:40], v[37:38]
	v_fma_f64 v[45:46], -v[37:38], v[39:40], 1.0
	v_fma_f64 v[39:40], v[39:40], v[45:46], v[39:40]
	v_div_scale_f64 v[45:46], vcc, 1.0, v[31:32], 1.0
	v_fma_f64 v[47:48], -v[37:38], v[39:40], 1.0
	v_fma_f64 v[39:40], v[39:40], v[47:48], v[39:40]
	v_mul_f64 v[47:48], v[45:46], v[39:40]
	v_fma_f64 v[37:38], -v[37:38], v[47:48], v[45:46]
	v_div_fmas_f64 v[37:38], v[37:38], v[39:40], v[47:48]
	v_fma_f64 v[39:40], v[19:20], v[29:30], v[17:18]
	v_fma_f64 v[29:30], -v[17:18], v[29:30], v[19:20]
	v_div_fixup_f64 v[37:38], v[37:38], v[31:32], 1.0
	v_mul_f64 v[31:32], v[39:40], v[37:38]
	v_mul_f64 v[29:30], v[29:30], v[37:38]
.LBB51_89:                              ;   in Loop: Header=BB51_4 Depth=1
	s_andn2_saveexec_b64 s[30:31], s[10:11]
	s_cbranch_execz .LBB51_91
; %bb.90:                               ;   in Loop: Header=BB51_4 Depth=1
	v_div_scale_f64 v[29:30], s[10:11], v[25:26], v[25:26], v[17:18]
	v_div_scale_f64 v[31:32], s[10:11], v[27:28], v[27:28], v[19:20]
	;; [unrolled: 1-line block ×3, first 2 shown]
	v_rcp_f64_e32 v[37:38], v[29:30]
	v_rcp_f64_e32 v[39:40], v[31:32]
	v_fma_f64 v[45:46], -v[29:30], v[37:38], 1.0
	v_fma_f64 v[47:48], -v[31:32], v[39:40], 1.0
	v_fma_f64 v[37:38], v[37:38], v[45:46], v[37:38]
	v_div_scale_f64 v[45:46], vcc, v[17:18], v[25:26], v[17:18]
	v_fma_f64 v[39:40], v[39:40], v[47:48], v[39:40]
	v_fma_f64 v[47:48], -v[29:30], v[37:38], 1.0
	v_fma_f64 v[63:64], -v[31:32], v[39:40], 1.0
	v_fma_f64 v[37:38], v[37:38], v[47:48], v[37:38]
	v_fma_f64 v[39:40], v[39:40], v[63:64], v[39:40]
	v_mul_f64 v[47:48], v[45:46], v[37:38]
	v_mul_f64 v[63:64], v[61:62], v[39:40]
	v_fma_f64 v[29:30], -v[29:30], v[47:48], v[45:46]
	v_fma_f64 v[31:32], -v[31:32], v[63:64], v[61:62]
	v_div_fmas_f64 v[29:30], v[29:30], v[37:38], v[47:48]
	s_mov_b64 vcc, s[10:11]
	v_div_fmas_f64 v[37:38], v[31:32], v[39:40], v[63:64]
	v_div_fixup_f64 v[31:32], v[29:30], v[25:26], v[17:18]
	v_div_fixup_f64 v[29:30], v[37:38], v[27:28], v[19:20]
.LBB51_91:                              ;   in Loop: Header=BB51_4 Depth=1
	s_or_b64 exec, exec, s[30:31]
.LBB51_92:                              ;   in Loop: Header=BB51_4 Depth=1
	s_andn2_saveexec_b64 s[10:11], s[14:15]
	s_cbranch_execz .LBB51_94
; %bb.93:                               ;   in Loop: Header=BB51_4 Depth=1
	v_div_scale_f64 v[29:30], s[14:15], v[23:24], v[23:24], v[21:22]
	v_rcp_f64_e32 v[31:32], v[29:30]
	v_fma_f64 v[37:38], -v[29:30], v[31:32], 1.0
	v_fma_f64 v[31:32], v[31:32], v[37:38], v[31:32]
	v_div_scale_f64 v[37:38], vcc, v[21:22], v[23:24], v[21:22]
	v_fma_f64 v[39:40], -v[29:30], v[31:32], 1.0
	v_fma_f64 v[31:32], v[31:32], v[39:40], v[31:32]
	v_mul_f64 v[39:40], v[37:38], v[31:32]
	v_fma_f64 v[29:30], -v[29:30], v[39:40], v[37:38]
	v_div_fmas_f64 v[29:30], v[29:30], v[31:32], v[39:40]
	v_div_fixup_f64 v[29:30], v[29:30], v[23:24], v[21:22]
	v_fma_f64 v[31:32], v[21:22], v[29:30], v[23:24]
	v_div_scale_f64 v[37:38], s[14:15], v[31:32], v[31:32], 1.0
	v_rcp_f64_e32 v[39:40], v[37:38]
	v_fma_f64 v[45:46], -v[37:38], v[39:40], 1.0
	v_fma_f64 v[39:40], v[39:40], v[45:46], v[39:40]
	v_div_scale_f64 v[45:46], vcc, 1.0, v[31:32], 1.0
	v_fma_f64 v[47:48], -v[37:38], v[39:40], 1.0
	v_fma_f64 v[39:40], v[39:40], v[47:48], v[39:40]
	v_mul_f64 v[47:48], v[45:46], v[39:40]
	v_fma_f64 v[37:38], -v[37:38], v[47:48], v[45:46]
	v_div_fmas_f64 v[37:38], v[37:38], v[39:40], v[47:48]
	v_fma_f64 v[39:40], v[17:18], v[29:30], v[19:20]
	v_fma_f64 v[29:30], v[19:20], v[29:30], -v[17:18]
	v_div_fixup_f64 v[37:38], v[37:38], v[31:32], 1.0
	v_mul_f64 v[31:32], v[39:40], v[37:38]
	v_mul_f64 v[29:30], v[29:30], v[37:38]
.LBB51_94:                              ;   in Loop: Header=BB51_4 Depth=1
	s_or_b64 exec, exec, s[10:11]
	v_mul_f64 v[37:38], s[18:19], v[29:30]
	v_mul_f64 v[39:40], s[16:17], v[29:30]
	v_fma_f64 v[29:30], s[16:17], v[31:32], -v[37:38]
	v_fma_f64 v[31:32], s[18:19], v[31:32], v[39:40]
	s_branch .LBB51_82
.LBB51_95:                              ;   in Loop: Header=BB51_4 Depth=1
                                        ; implicit-def: $vgpr31_vgpr32
                                        ; implicit-def: $vgpr29_vgpr30
	s_and_saveexec_b64 s[10:11], s[12:13]
	s_xor_b64 s[12:13], exec, s[10:11]
	s_cbranch_execz .LBB51_101
; %bb.96:                               ;   in Loop: Header=BB51_4 Depth=1
	v_cmp_neq_f64_e32 vcc, 0, v[21:22]
	v_cmp_neq_f64_e64 s[10:11], 0, v[23:24]
                                        ; implicit-def: $vgpr31_vgpr32
                                        ; implicit-def: $vgpr29_vgpr30
	s_or_b64 s[10:11], s[10:11], vcc
	s_and_saveexec_b64 s[14:15], s[10:11]
	s_xor_b64 s[10:11], exec, s[14:15]
	s_cbranch_execz .LBB51_98
; %bb.97:                               ;   in Loop: Header=BB51_4 Depth=1
	v_div_scale_f64 v[25:26], s[14:15], v[21:22], v[21:22], v[23:24]
	v_rcp_f64_e32 v[27:28], v[25:26]
	v_fma_f64 v[29:30], -v[25:26], v[27:28], 1.0
	v_fma_f64 v[27:28], v[27:28], v[29:30], v[27:28]
	v_div_scale_f64 v[29:30], vcc, v[23:24], v[21:22], v[23:24]
	v_fma_f64 v[31:32], -v[25:26], v[27:28], 1.0
	v_fma_f64 v[27:28], v[27:28], v[31:32], v[27:28]
	v_mul_f64 v[31:32], v[29:30], v[27:28]
	v_fma_f64 v[25:26], -v[25:26], v[31:32], v[29:30]
	v_div_fmas_f64 v[25:26], v[25:26], v[27:28], v[31:32]
	v_div_fixup_f64 v[25:26], v[25:26], v[21:22], v[23:24]
	v_fma_f64 v[21:22], v[23:24], v[25:26], v[21:22]
	v_div_scale_f64 v[23:24], s[14:15], v[21:22], v[21:22], 1.0
	v_rcp_f64_e32 v[27:28], v[23:24]
	v_fma_f64 v[29:30], -v[23:24], v[27:28], 1.0
	v_fma_f64 v[27:28], v[27:28], v[29:30], v[27:28]
	v_div_scale_f64 v[29:30], vcc, 1.0, v[21:22], 1.0
	v_fma_f64 v[31:32], -v[23:24], v[27:28], 1.0
	v_fma_f64 v[27:28], v[27:28], v[31:32], v[27:28]
	v_mul_f64 v[31:32], v[29:30], v[27:28]
	v_fma_f64 v[23:24], -v[23:24], v[31:32], v[29:30]
	v_div_fmas_f64 v[23:24], v[23:24], v[27:28], v[31:32]
	v_fma_f64 v[27:28], v[19:20], v[25:26], v[17:18]
	v_fma_f64 v[17:18], -v[17:18], v[25:26], v[19:20]
                                        ; implicit-def: $vgpr25_vgpr26
	v_div_fixup_f64 v[21:22], v[23:24], v[21:22], 1.0
	v_mul_f64 v[29:30], v[27:28], v[21:22]
	v_mul_f64 v[31:32], v[17:18], v[21:22]
                                        ; implicit-def: $vgpr17_vgpr18
                                        ; implicit-def: $vgpr27_vgpr28
.LBB51_98:                              ;   in Loop: Header=BB51_4 Depth=1
	s_andn2_saveexec_b64 s[14:15], s[10:11]
	s_cbranch_execz .LBB51_100
; %bb.99:                               ;   in Loop: Header=BB51_4 Depth=1
	v_div_scale_f64 v[21:22], s[10:11], v[25:26], v[25:26], v[17:18]
	v_div_scale_f64 v[23:24], s[10:11], v[27:28], v[27:28], v[19:20]
	;; [unrolled: 1-line block ×3, first 2 shown]
	v_rcp_f64_e32 v[29:30], v[21:22]
	v_rcp_f64_e32 v[31:32], v[23:24]
	v_fma_f64 v[37:38], -v[21:22], v[29:30], 1.0
	v_fma_f64 v[39:40], -v[23:24], v[31:32], 1.0
	v_fma_f64 v[29:30], v[29:30], v[37:38], v[29:30]
	v_div_scale_f64 v[37:38], vcc, v[17:18], v[25:26], v[17:18]
	v_fma_f64 v[31:32], v[31:32], v[39:40], v[31:32]
	v_fma_f64 v[39:40], -v[21:22], v[29:30], 1.0
	v_fma_f64 v[47:48], -v[23:24], v[31:32], 1.0
	v_fma_f64 v[29:30], v[29:30], v[39:40], v[29:30]
	v_fma_f64 v[31:32], v[31:32], v[47:48], v[31:32]
	v_mul_f64 v[39:40], v[37:38], v[29:30]
	v_mul_f64 v[47:48], v[45:46], v[31:32]
	v_fma_f64 v[21:22], -v[21:22], v[39:40], v[37:38]
	v_fma_f64 v[23:24], -v[23:24], v[47:48], v[45:46]
	v_div_fmas_f64 v[21:22], v[21:22], v[29:30], v[39:40]
	s_mov_b64 vcc, s[10:11]
	v_div_fmas_f64 v[23:24], v[23:24], v[31:32], v[47:48]
	v_div_fixup_f64 v[29:30], v[21:22], v[25:26], v[17:18]
	v_div_fixup_f64 v[31:32], v[23:24], v[27:28], v[19:20]
.LBB51_100:                             ;   in Loop: Header=BB51_4 Depth=1
	s_or_b64 exec, exec, s[14:15]
                                        ; implicit-def: $vgpr23_vgpr24
                                        ; implicit-def: $vgpr17_vgpr18
.LBB51_101:                             ;   in Loop: Header=BB51_4 Depth=1
	s_andn2_saveexec_b64 s[10:11], s[12:13]
	s_cbranch_execz .LBB51_103
; %bb.102:                              ;   in Loop: Header=BB51_4 Depth=1
	v_div_scale_f64 v[25:26], s[12:13], v[23:24], v[23:24], v[21:22]
	v_rcp_f64_e32 v[27:28], v[25:26]
	v_fma_f64 v[29:30], -v[25:26], v[27:28], 1.0
	v_fma_f64 v[27:28], v[27:28], v[29:30], v[27:28]
	v_div_scale_f64 v[29:30], vcc, v[21:22], v[23:24], v[21:22]
	v_fma_f64 v[31:32], -v[25:26], v[27:28], 1.0
	v_fma_f64 v[27:28], v[27:28], v[31:32], v[27:28]
	v_mul_f64 v[31:32], v[29:30], v[27:28]
	v_fma_f64 v[25:26], -v[25:26], v[31:32], v[29:30]
	v_div_fmas_f64 v[25:26], v[25:26], v[27:28], v[31:32]
	v_div_fixup_f64 v[25:26], v[25:26], v[23:24], v[21:22]
	v_fma_f64 v[21:22], v[21:22], v[25:26], v[23:24]
	v_div_scale_f64 v[23:24], s[12:13], v[21:22], v[21:22], 1.0
	v_rcp_f64_e32 v[27:28], v[23:24]
	v_fma_f64 v[29:30], -v[23:24], v[27:28], 1.0
	v_fma_f64 v[27:28], v[27:28], v[29:30], v[27:28]
	v_div_scale_f64 v[29:30], vcc, 1.0, v[21:22], 1.0
	v_fma_f64 v[31:32], -v[23:24], v[27:28], 1.0
	v_fma_f64 v[27:28], v[27:28], v[31:32], v[27:28]
	v_mul_f64 v[31:32], v[29:30], v[27:28]
	v_fma_f64 v[23:24], -v[23:24], v[31:32], v[29:30]
	v_div_fmas_f64 v[23:24], v[23:24], v[27:28], v[31:32]
	v_fma_f64 v[27:28], v[17:18], v[25:26], v[19:20]
	v_fma_f64 v[17:18], v[19:20], v[25:26], -v[17:18]
	v_div_fixup_f64 v[21:22], v[23:24], v[21:22], 1.0
	v_mul_f64 v[29:30], v[27:28], v[21:22]
	v_mul_f64 v[31:32], v[17:18], v[21:22]
.LBB51_103:                             ;   in Loop: Header=BB51_4 Depth=1
	s_or_b64 exec, exec, s[10:11]
	s_and_saveexec_b64 s[10:11], s[0:1]
	s_xor_b64 s[0:1], exec, s[10:11]
	s_cbranch_execz .LBB51_83
.LBB51_104:                             ;   in Loop: Header=BB51_4 Depth=1
	v_add_f64 v[3:4], v[3:4], v[59:60]
	v_add_f64 v[1:2], v[1:2], v[57:58]
	v_lshlrev_b64 v[17:18], 4, v[49:50]
	v_mov_b32_e32 v19, s42
	v_add_co_u32_e32 v17, vcc, s41, v17
	v_addc_co_u32_e32 v18, vcc, v19, v18, vcc
	global_store_dwordx4 v[17:18], v[1:4], off
	s_or_b64 exec, exec, s[0:1]
	s_and_saveexec_b64 s[0:1], s[2:3]
	s_cbranch_execz .LBB51_84
.LBB51_105:                             ;   in Loop: Header=BB51_4 Depth=1
	v_add_f64 v[3:4], v[7:8], v[43:44]
	v_add_f64 v[1:2], v[5:6], v[41:42]
	v_lshlrev_b64 v[5:6], 4, v[51:52]
	v_mov_b32_e32 v7, s42
	v_add_co_u32_e32 v5, vcc, s41, v5
	v_addc_co_u32_e32 v6, vcc, v7, v6, vcc
	global_store_dwordx4 v[5:6], v[1:4], off
	s_or_b64 exec, exec, s[0:1]
	s_and_saveexec_b64 s[0:1], s[6:7]
	s_cbranch_execz .LBB51_85
.LBB51_106:                             ;   in Loop: Header=BB51_4 Depth=1
	v_add_f64 v[3:4], v[11:12], v[35:36]
	v_add_f64 v[1:2], v[9:10], v[33:34]
	v_lshlrev_b64 v[5:6], 4, v[53:54]
	v_mov_b32_e32 v7, s42
	v_add_co_u32_e32 v5, vcc, s41, v5
	v_addc_co_u32_e32 v6, vcc, v7, v6, vcc
	global_store_dwordx4 v[5:6], v[1:4], off
	s_or_b64 exec, exec, s[0:1]
	s_and_saveexec_b64 s[0:1], s[8:9]
	s_cbranch_execz .LBB51_3
.LBB51_107:                             ;   in Loop: Header=BB51_4 Depth=1
	v_add_f64 v[3:4], v[15:16], v[31:32]
	v_add_f64 v[1:2], v[13:14], v[29:30]
	v_lshlrev_b64 v[5:6], 4, v[55:56]
	v_mov_b32_e32 v7, s42
	v_add_co_u32_e32 v5, vcc, s41, v5
	v_addc_co_u32_e32 v6, vcc, v7, v6, vcc
	global_store_dwordx4 v[5:6], v[1:4], off
	s_branch .LBB51_3
.LBB51_108:
	s_mov_b64 s[0:1], 0
.LBB51_109:
	s_andn2_b64 vcc, exec, s[0:1]
	s_cbranch_vccnz .LBB51_193
; %bb.110:
	v_mov_b32_e32 v1, 0x10000
	v_mov_b32_e32 v2, 0
	v_cmp_lt_i64_e32 vcc, s[20:21], v[1:2]
	v_mov_b32_e32 v2, 0
	s_and_b64 s[0:1], vcc, exec
	s_cselect_b32 s7, s21, 0
	s_cselect_b32 s6, s20, 0x10000
	v_lshlrev_b32_e32 v1, 2, v0
	v_cmp_gt_i64_e32 vcc, s[6:7], v[1:2]
	s_and_saveexec_b64 s[0:1], vcc
	s_cbranch_execz .LBB51_193
; %bb.111:
	v_cmp_neq_f64_e64 s[0:1], s[16:17], 1.0
	v_cmp_neq_f64_e64 s[2:3], s[18:19], 0
	s_load_dword s4, s[4:5], 0xc0c
	v_mov_b32_e32 v1, v2
	s_mov_b64 s[8:9], 0
	v_lshlrev_b32_e32 v58, 6, v0
	s_waitcnt lgkmcnt(0)
	s_and_b32 s20, s4, 0xffff
	s_lshl_b32 s21, s20, 6
	s_or_b64 s[10:11], s[0:1], s[2:3]
	s_branch .LBB51_114
.LBB51_112:                             ;   in Loop: Header=BB51_114 Depth=1
	s_or_b64 exec, exec, s[0:1]
.LBB51_113:                             ;   in Loop: Header=BB51_114 Depth=1
	v_add_f64 v[8:9], v[8:9], v[52:53]
	v_add_f64 v[6:7], v[6:7], v[50:51]
	;; [unrolled: 1-line block ×6, first 2 shown]
	v_mov_b32_e32 v19, s42
	v_add_co_u32_e32 v18, vcc, s41, v58
	s_add_u32 s41, s41, s21
	v_add_f64 v[4:5], v[4:5], v[32:33]
	v_add_f64 v[2:3], v[2:3], v[30:31]
	v_addc_co_u32_e32 v19, vcc, 0, v19, vcc
	s_addc_u32 s42, s42, 0
	v_add_co_u32_e32 v0, vcc, s20, v0
	s_add_u32 s33, s33, s21
	v_addc_co_u32_e32 v1, vcc, 0, v1, vcc
	s_addc_u32 s36, s36, 0
	global_store_dwordx4 v[18:19], v[6:9], off
	global_store_dwordx4 v[18:19], v[10:13], off offset:16
	global_store_dwordx4 v[18:19], v[14:17], off offset:32
	v_lshlrev_b64 v[6:7], 2, v[0:1]
	s_add_u32 s39, s39, s21
	s_addc_u32 s40, s40, 0
	s_add_u32 s37, s37, s21
	v_cmp_le_i64_e32 vcc, s[6:7], v[6:7]
	s_addc_u32 s38, s38, 0
	s_or_b64 s[8:9], vcc, s[8:9]
	global_store_dwordx4 v[18:19], v[2:5], off offset:48
	s_andn2_b64 exec, exec, s[8:9]
	s_cbranch_execz .LBB51_193
.LBB51_114:                             ; =>This Inner Loop Header: Depth=1
	v_mov_b32_e32 v2, s40
	v_add_co_u32_e32 v50, vcc, s39, v58
	v_addc_co_u32_e32 v51, vcc, 0, v2, vcc
	global_load_dwordx4 v[46:49], v[50:51], off
	v_mov_b32_e32 v2, s36
	v_add_co_u32_e32 v52, vcc, s33, v58
	v_addc_co_u32_e32 v53, vcc, 0, v2, vcc
	v_mov_b32_e32 v3, s38
	v_add_co_u32_e32 v54, vcc, s37, v58
	v_addc_co_u32_e32 v55, vcc, 0, v3, vcc
	global_load_dwordx4 v[2:5], v[52:53], off offset:48
	global_load_dwordx4 v[14:17], v[52:53], off offset:32
	;; [unrolled: 1-line block ×3, first 2 shown]
	global_load_dwordx4 v[6:9], v[52:53], off
	global_load_dwordx4 v[18:21], v[54:55], off offset:48
	global_load_dwordx4 v[26:29], v[54:55], off offset:32
	;; [unrolled: 1-line block ×3, first 2 shown]
	global_load_dwordx4 v[42:45], v[54:55], off
	global_load_dwordx4 v[38:41], v[50:51], off offset:16
	global_load_dwordx4 v[22:25], v[50:51], off offset:48
	;; [unrolled: 1-line block ×3, first 2 shown]
	s_mov_b64 s[2:3], -1
                                        ; implicit-def: $vgpr52_vgpr53
	s_waitcnt vmcnt(11)
	v_cmp_gt_f64_e32 vcc, 0, v[46:47]
	v_xor_b32_e32 v50, 0x80000000, v47
	v_xor_b32_e32 v51, 0x80000000, v49
	v_mov_b32_e32 v56, v46
	v_mov_b32_e32 v54, v48
	v_cndmask_b32_e32 v57, v47, v50, vcc
	v_cmp_gt_f64_e32 vcc, 0, v[48:49]
	v_cndmask_b32_e32 v55, v49, v51, vcc
	v_cmp_ge_f64_e64 s[0:1], v[56:57], v[54:55]
	s_and_b64 vcc, exec, s[10:11]
                                        ; implicit-def: $vgpr50_vgpr51
	s_cbranch_vccz .LBB51_124
; %bb.115:                              ;   in Loop: Header=BB51_114 Depth=1
                                        ; implicit-def: $vgpr50_vgpr51
                                        ; implicit-def: $vgpr52_vgpr53
	s_and_saveexec_b64 s[2:3], s[0:1]
	s_xor_b64 s[4:5], exec, s[2:3]
	s_cbranch_execz .LBB51_121
; %bb.116:                              ;   in Loop: Header=BB51_114 Depth=1
	v_cmp_neq_f64_e32 vcc, 0, v[46:47]
	v_cmp_neq_f64_e64 s[2:3], 0, v[48:49]
                                        ; implicit-def: $vgpr50_vgpr51
                                        ; implicit-def: $vgpr52_vgpr53
	s_or_b64 s[2:3], vcc, s[2:3]
	s_and_saveexec_b64 s[12:13], s[2:3]
	s_xor_b64 s[2:3], exec, s[12:13]
	s_cbranch_execz .LBB51_118
; %bb.117:                              ;   in Loop: Header=BB51_114 Depth=1
	v_div_scale_f64 v[50:51], s[12:13], v[46:47], v[46:47], v[48:49]
	v_rcp_f64_e32 v[52:53], v[50:51]
	v_fma_f64 v[59:60], -v[50:51], v[52:53], 1.0
	v_fma_f64 v[52:53], v[52:53], v[59:60], v[52:53]
	v_div_scale_f64 v[59:60], vcc, v[48:49], v[46:47], v[48:49]
	v_fma_f64 v[61:62], -v[50:51], v[52:53], 1.0
	v_fma_f64 v[52:53], v[52:53], v[61:62], v[52:53]
	v_mul_f64 v[61:62], v[59:60], v[52:53]
	v_fma_f64 v[50:51], -v[50:51], v[61:62], v[59:60]
	v_div_fmas_f64 v[50:51], v[50:51], v[52:53], v[61:62]
	v_div_fixup_f64 v[50:51], v[50:51], v[46:47], v[48:49]
	v_fma_f64 v[52:53], v[48:49], v[50:51], v[46:47]
	v_div_scale_f64 v[59:60], s[12:13], v[52:53], v[52:53], 1.0
	v_rcp_f64_e32 v[61:62], v[59:60]
	v_fma_f64 v[63:64], -v[59:60], v[61:62], 1.0
	v_fma_f64 v[61:62], v[61:62], v[63:64], v[61:62]
	v_div_scale_f64 v[63:64], vcc, 1.0, v[52:53], 1.0
	v_fma_f64 v[65:66], -v[59:60], v[61:62], 1.0
	v_fma_f64 v[61:62], v[61:62], v[65:66], v[61:62]
	v_mul_f64 v[65:66], v[63:64], v[61:62]
	v_fma_f64 v[59:60], -v[59:60], v[65:66], v[63:64]
	v_div_fmas_f64 v[59:60], v[59:60], v[61:62], v[65:66]
	s_waitcnt vmcnt(3)
	v_fma_f64 v[61:62], v[44:45], v[50:51], v[42:43]
	v_fma_f64 v[50:51], -v[42:43], v[50:51], v[44:45]
	v_div_fixup_f64 v[59:60], v[59:60], v[52:53], 1.0
	v_mul_f64 v[52:53], v[61:62], v[59:60]
	v_mul_f64 v[50:51], v[50:51], v[59:60]
.LBB51_118:                             ;   in Loop: Header=BB51_114 Depth=1
	s_andn2_saveexec_b64 s[12:13], s[2:3]
	s_cbranch_execz .LBB51_120
; %bb.119:                              ;   in Loop: Header=BB51_114 Depth=1
	s_waitcnt vmcnt(3)
	v_div_scale_f64 v[50:51], s[2:3], v[56:57], v[56:57], v[42:43]
	v_div_scale_f64 v[52:53], s[2:3], v[54:55], v[54:55], v[44:45]
	;; [unrolled: 1-line block ×3, first 2 shown]
	v_rcp_f64_e32 v[59:60], v[50:51]
	v_rcp_f64_e32 v[61:62], v[52:53]
	v_fma_f64 v[63:64], -v[50:51], v[59:60], 1.0
	v_fma_f64 v[65:66], -v[52:53], v[61:62], 1.0
	v_fma_f64 v[59:60], v[59:60], v[63:64], v[59:60]
	v_div_scale_f64 v[63:64], vcc, v[42:43], v[56:57], v[42:43]
	v_fma_f64 v[61:62], v[61:62], v[65:66], v[61:62]
	v_fma_f64 v[65:66], -v[50:51], v[59:60], 1.0
	v_fma_f64 v[69:70], -v[52:53], v[61:62], 1.0
	v_fma_f64 v[59:60], v[59:60], v[65:66], v[59:60]
	v_fma_f64 v[61:62], v[61:62], v[69:70], v[61:62]
	v_mul_f64 v[65:66], v[63:64], v[59:60]
	v_mul_f64 v[69:70], v[67:68], v[61:62]
	v_fma_f64 v[50:51], -v[50:51], v[65:66], v[63:64]
	v_fma_f64 v[52:53], -v[52:53], v[69:70], v[67:68]
	v_div_fmas_f64 v[50:51], v[50:51], v[59:60], v[65:66]
	s_mov_b64 vcc, s[2:3]
	v_div_fmas_f64 v[59:60], v[52:53], v[61:62], v[69:70]
	v_div_fixup_f64 v[52:53], v[50:51], v[56:57], v[42:43]
	v_div_fixup_f64 v[50:51], v[59:60], v[54:55], v[44:45]
.LBB51_120:                             ;   in Loop: Header=BB51_114 Depth=1
	s_or_b64 exec, exec, s[12:13]
.LBB51_121:                             ;   in Loop: Header=BB51_114 Depth=1
	s_andn2_saveexec_b64 s[2:3], s[4:5]
	s_cbranch_execz .LBB51_123
; %bb.122:                              ;   in Loop: Header=BB51_114 Depth=1
	v_div_scale_f64 v[50:51], s[4:5], v[48:49], v[48:49], v[46:47]
	v_rcp_f64_e32 v[52:53], v[50:51]
	v_fma_f64 v[59:60], -v[50:51], v[52:53], 1.0
	v_fma_f64 v[52:53], v[52:53], v[59:60], v[52:53]
	v_div_scale_f64 v[59:60], vcc, v[46:47], v[48:49], v[46:47]
	v_fma_f64 v[61:62], -v[50:51], v[52:53], 1.0
	v_fma_f64 v[52:53], v[52:53], v[61:62], v[52:53]
	v_mul_f64 v[61:62], v[59:60], v[52:53]
	v_fma_f64 v[50:51], -v[50:51], v[61:62], v[59:60]
	v_div_fmas_f64 v[50:51], v[50:51], v[52:53], v[61:62]
	v_div_fixup_f64 v[50:51], v[50:51], v[48:49], v[46:47]
	v_fma_f64 v[52:53], v[46:47], v[50:51], v[48:49]
	v_div_scale_f64 v[59:60], s[4:5], v[52:53], v[52:53], 1.0
	v_rcp_f64_e32 v[61:62], v[59:60]
	v_fma_f64 v[63:64], -v[59:60], v[61:62], 1.0
	v_fma_f64 v[61:62], v[61:62], v[63:64], v[61:62]
	v_div_scale_f64 v[63:64], vcc, 1.0, v[52:53], 1.0
	v_fma_f64 v[65:66], -v[59:60], v[61:62], 1.0
	v_fma_f64 v[61:62], v[61:62], v[65:66], v[61:62]
	v_mul_f64 v[65:66], v[63:64], v[61:62]
	v_fma_f64 v[59:60], -v[59:60], v[65:66], v[63:64]
	v_div_fmas_f64 v[59:60], v[59:60], v[61:62], v[65:66]
	s_waitcnt vmcnt(3)
	v_fma_f64 v[61:62], v[42:43], v[50:51], v[44:45]
	v_fma_f64 v[50:51], v[44:45], v[50:51], -v[42:43]
	v_div_fixup_f64 v[59:60], v[59:60], v[52:53], 1.0
	v_mul_f64 v[52:53], v[61:62], v[59:60]
	v_mul_f64 v[50:51], v[50:51], v[59:60]
.LBB51_123:                             ;   in Loop: Header=BB51_114 Depth=1
	s_or_b64 exec, exec, s[2:3]
	v_mul_f64 v[59:60], s[18:19], v[50:51]
	v_mul_f64 v[61:62], s[16:17], v[50:51]
	s_mov_b64 s[2:3], 0
	v_fma_f64 v[50:51], s[16:17], v[52:53], -v[59:60]
	v_fma_f64 v[52:53], s[18:19], v[52:53], v[61:62]
.LBB51_124:                             ;   in Loop: Header=BB51_114 Depth=1
	s_and_b64 vcc, exec, s[2:3]
	s_cbranch_vccz .LBB51_134
; %bb.125:                              ;   in Loop: Header=BB51_114 Depth=1
                                        ; implicit-def: $vgpr52_vgpr53
                                        ; implicit-def: $vgpr50_vgpr51
	s_and_saveexec_b64 s[2:3], s[0:1]
	s_xor_b64 s[2:3], exec, s[2:3]
	s_cbranch_execz .LBB51_131
; %bb.126:                              ;   in Loop: Header=BB51_114 Depth=1
	v_cmp_neq_f64_e32 vcc, 0, v[46:47]
	v_cmp_neq_f64_e64 s[0:1], 0, v[48:49]
                                        ; implicit-def: $vgpr52_vgpr53
                                        ; implicit-def: $vgpr50_vgpr51
	s_or_b64 s[0:1], vcc, s[0:1]
	s_and_saveexec_b64 s[4:5], s[0:1]
	s_xor_b64 s[0:1], exec, s[4:5]
	s_cbranch_execz .LBB51_128
; %bb.127:                              ;   in Loop: Header=BB51_114 Depth=1
	v_div_scale_f64 v[50:51], s[4:5], v[46:47], v[46:47], v[48:49]
	v_rcp_f64_e32 v[52:53], v[50:51]
	v_fma_f64 v[54:55], -v[50:51], v[52:53], 1.0
	v_fma_f64 v[52:53], v[52:53], v[54:55], v[52:53]
	v_div_scale_f64 v[54:55], vcc, v[48:49], v[46:47], v[48:49]
	v_fma_f64 v[56:57], -v[50:51], v[52:53], 1.0
	v_fma_f64 v[52:53], v[52:53], v[56:57], v[52:53]
	v_mul_f64 v[56:57], v[54:55], v[52:53]
	v_fma_f64 v[50:51], -v[50:51], v[56:57], v[54:55]
	v_div_fmas_f64 v[50:51], v[50:51], v[52:53], v[56:57]
	v_div_fixup_f64 v[50:51], v[50:51], v[46:47], v[48:49]
	v_fma_f64 v[46:47], v[48:49], v[50:51], v[46:47]
	v_div_scale_f64 v[48:49], s[4:5], v[46:47], v[46:47], 1.0
	v_rcp_f64_e32 v[52:53], v[48:49]
	v_fma_f64 v[54:55], -v[48:49], v[52:53], 1.0
	v_fma_f64 v[52:53], v[52:53], v[54:55], v[52:53]
	v_div_scale_f64 v[54:55], vcc, 1.0, v[46:47], 1.0
	v_fma_f64 v[56:57], -v[48:49], v[52:53], 1.0
	v_fma_f64 v[52:53], v[52:53], v[56:57], v[52:53]
	v_mul_f64 v[56:57], v[54:55], v[52:53]
	v_fma_f64 v[48:49], -v[48:49], v[56:57], v[54:55]
                                        ; implicit-def: $vgpr54_vgpr55
	v_div_fmas_f64 v[48:49], v[48:49], v[52:53], v[56:57]
	s_waitcnt vmcnt(3)
	v_fma_f64 v[52:53], v[44:45], v[50:51], v[42:43]
	v_fma_f64 v[42:43], -v[42:43], v[50:51], v[44:45]
                                        ; implicit-def: $vgpr56_vgpr57
	v_div_fixup_f64 v[46:47], v[48:49], v[46:47], 1.0
	v_mul_f64 v[50:51], v[52:53], v[46:47]
	v_mul_f64 v[52:53], v[42:43], v[46:47]
                                        ; implicit-def: $vgpr42_vgpr43
.LBB51_128:                             ;   in Loop: Header=BB51_114 Depth=1
	s_andn2_saveexec_b64 s[0:1], s[0:1]
	s_cbranch_execz .LBB51_130
; %bb.129:                              ;   in Loop: Header=BB51_114 Depth=1
	s_waitcnt vmcnt(3)
	v_div_scale_f64 v[46:47], s[4:5], v[56:57], v[56:57], v[42:43]
	v_rcp_f64_e32 v[48:49], v[46:47]
	v_fma_f64 v[50:51], -v[46:47], v[48:49], 1.0
	v_fma_f64 v[48:49], v[48:49], v[50:51], v[48:49]
	v_fma_f64 v[50:51], -v[46:47], v[48:49], 1.0
	v_fma_f64 v[48:49], v[48:49], v[50:51], v[48:49]
	v_div_scale_f64 v[50:51], vcc, v[42:43], v[56:57], v[42:43]
	v_mul_f64 v[52:53], v[50:51], v[48:49]
	v_fma_f64 v[46:47], -v[46:47], v[52:53], v[50:51]
	s_nop 1
	v_div_fmas_f64 v[46:47], v[46:47], v[48:49], v[52:53]
	v_div_fixup_f64 v[50:51], v[46:47], v[56:57], v[42:43]
	v_div_scale_f64 v[42:43], s[4:5], v[54:55], v[54:55], v[44:45]
	v_rcp_f64_e32 v[46:47], v[42:43]
	v_fma_f64 v[48:49], -v[42:43], v[46:47], 1.0
	v_fma_f64 v[46:47], v[46:47], v[48:49], v[46:47]
	v_fma_f64 v[48:49], -v[42:43], v[46:47], 1.0
	v_fma_f64 v[46:47], v[46:47], v[48:49], v[46:47]
	v_div_scale_f64 v[48:49], vcc, v[44:45], v[54:55], v[44:45]
	v_mul_f64 v[52:53], v[48:49], v[46:47]
	v_fma_f64 v[42:43], -v[42:43], v[52:53], v[48:49]
	s_nop 1
	v_div_fmas_f64 v[42:43], v[42:43], v[46:47], v[52:53]
	v_div_fixup_f64 v[52:53], v[42:43], v[54:55], v[44:45]
.LBB51_130:                             ;   in Loop: Header=BB51_114 Depth=1
	s_or_b64 exec, exec, s[0:1]
                                        ; implicit-def: $vgpr48_vgpr49
                                        ; implicit-def: $vgpr42_vgpr43
.LBB51_131:                             ;   in Loop: Header=BB51_114 Depth=1
	s_andn2_saveexec_b64 s[0:1], s[2:3]
	s_cbranch_execz .LBB51_133
; %bb.132:                              ;   in Loop: Header=BB51_114 Depth=1
	v_div_scale_f64 v[50:51], s[2:3], v[48:49], v[48:49], v[46:47]
	v_rcp_f64_e32 v[52:53], v[50:51]
	v_fma_f64 v[54:55], -v[50:51], v[52:53], 1.0
	v_fma_f64 v[52:53], v[52:53], v[54:55], v[52:53]
	v_div_scale_f64 v[54:55], vcc, v[46:47], v[48:49], v[46:47]
	v_fma_f64 v[56:57], -v[50:51], v[52:53], 1.0
	v_fma_f64 v[52:53], v[52:53], v[56:57], v[52:53]
	v_mul_f64 v[56:57], v[54:55], v[52:53]
	v_fma_f64 v[50:51], -v[50:51], v[56:57], v[54:55]
	v_div_fmas_f64 v[50:51], v[50:51], v[52:53], v[56:57]
	v_div_fixup_f64 v[50:51], v[50:51], v[48:49], v[46:47]
	v_fma_f64 v[46:47], v[46:47], v[50:51], v[48:49]
	v_div_scale_f64 v[48:49], s[2:3], v[46:47], v[46:47], 1.0
	v_rcp_f64_e32 v[52:53], v[48:49]
	v_fma_f64 v[54:55], -v[48:49], v[52:53], 1.0
	v_fma_f64 v[52:53], v[52:53], v[54:55], v[52:53]
	v_div_scale_f64 v[54:55], vcc, 1.0, v[46:47], 1.0
	v_fma_f64 v[56:57], -v[48:49], v[52:53], 1.0
	v_fma_f64 v[52:53], v[52:53], v[56:57], v[52:53]
	v_mul_f64 v[56:57], v[54:55], v[52:53]
	v_fma_f64 v[48:49], -v[48:49], v[56:57], v[54:55]
	v_div_fmas_f64 v[48:49], v[48:49], v[52:53], v[56:57]
	s_waitcnt vmcnt(3)
	v_fma_f64 v[52:53], v[42:43], v[50:51], v[44:45]
	v_fma_f64 v[42:43], v[44:45], v[50:51], -v[42:43]
	v_div_fixup_f64 v[46:47], v[48:49], v[46:47], 1.0
	v_mul_f64 v[50:51], v[52:53], v[46:47]
	v_mul_f64 v[52:53], v[42:43], v[46:47]
.LBB51_133:                             ;   in Loop: Header=BB51_114 Depth=1
	s_or_b64 exec, exec, s[0:1]
.LBB51_134:                             ;   in Loop: Header=BB51_114 Depth=1
	s_waitcnt vmcnt(2)
	v_cmp_gt_f64_e32 vcc, 0, v[38:39]
	v_xor_b32_e32 v42, 0x80000000, v39
	v_mov_b32_e32 v46, v38
	v_mov_b32_e32 v48, v40
	s_mov_b64 s[4:5], -1
                                        ; implicit-def: $vgpr44_vgpr45
	v_cndmask_b32_e32 v47, v39, v42, vcc
	v_cmp_gt_f64_e32 vcc, 0, v[40:41]
	v_xor_b32_e32 v42, 0x80000000, v41
	v_cndmask_b32_e32 v49, v41, v42, vcc
	v_cmp_ge_f64_e64 s[2:3], v[46:47], v[48:49]
	v_cndmask_b32_e64 v42, 0, 1, s[10:11]
	v_cmp_ne_u32_e64 s[0:1], 1, v42
	s_andn2_b64 vcc, exec, s[10:11]
                                        ; implicit-def: $vgpr42_vgpr43
	s_cbranch_vccnz .LBB51_144
; %bb.135:                              ;   in Loop: Header=BB51_114 Depth=1
                                        ; implicit-def: $vgpr42_vgpr43
                                        ; implicit-def: $vgpr44_vgpr45
	s_and_saveexec_b64 s[4:5], s[2:3]
	s_xor_b64 s[12:13], exec, s[4:5]
	s_cbranch_execz .LBB51_141
; %bb.136:                              ;   in Loop: Header=BB51_114 Depth=1
	v_cmp_neq_f64_e32 vcc, 0, v[38:39]
	v_cmp_neq_f64_e64 s[4:5], 0, v[40:41]
                                        ; implicit-def: $vgpr42_vgpr43
                                        ; implicit-def: $vgpr44_vgpr45
	s_or_b64 s[4:5], vcc, s[4:5]
	s_and_saveexec_b64 s[14:15], s[4:5]
	s_xor_b64 s[4:5], exec, s[14:15]
	s_cbranch_execz .LBB51_138
; %bb.137:                              ;   in Loop: Header=BB51_114 Depth=1
	v_div_scale_f64 v[42:43], s[14:15], v[38:39], v[38:39], v[40:41]
	v_rcp_f64_e32 v[44:45], v[42:43]
	v_fma_f64 v[54:55], -v[42:43], v[44:45], 1.0
	v_fma_f64 v[44:45], v[44:45], v[54:55], v[44:45]
	v_div_scale_f64 v[54:55], vcc, v[40:41], v[38:39], v[40:41]
	v_fma_f64 v[56:57], -v[42:43], v[44:45], 1.0
	v_fma_f64 v[44:45], v[44:45], v[56:57], v[44:45]
	v_mul_f64 v[56:57], v[54:55], v[44:45]
	v_fma_f64 v[42:43], -v[42:43], v[56:57], v[54:55]
	v_div_fmas_f64 v[42:43], v[42:43], v[44:45], v[56:57]
	v_div_fixup_f64 v[42:43], v[42:43], v[38:39], v[40:41]
	v_fma_f64 v[44:45], v[40:41], v[42:43], v[38:39]
	v_div_scale_f64 v[54:55], s[14:15], v[44:45], v[44:45], 1.0
	v_rcp_f64_e32 v[56:57], v[54:55]
	v_fma_f64 v[59:60], -v[54:55], v[56:57], 1.0
	v_fma_f64 v[56:57], v[56:57], v[59:60], v[56:57]
	v_div_scale_f64 v[59:60], vcc, 1.0, v[44:45], 1.0
	v_fma_f64 v[61:62], -v[54:55], v[56:57], 1.0
	v_fma_f64 v[56:57], v[56:57], v[61:62], v[56:57]
	v_mul_f64 v[61:62], v[59:60], v[56:57]
	v_fma_f64 v[54:55], -v[54:55], v[61:62], v[59:60]
	v_div_fmas_f64 v[54:55], v[54:55], v[56:57], v[61:62]
	v_fma_f64 v[56:57], v[36:37], v[42:43], v[34:35]
	v_fma_f64 v[42:43], -v[34:35], v[42:43], v[36:37]
	v_div_fixup_f64 v[54:55], v[54:55], v[44:45], 1.0
	v_mul_f64 v[44:45], v[56:57], v[54:55]
	v_mul_f64 v[42:43], v[42:43], v[54:55]
.LBB51_138:                             ;   in Loop: Header=BB51_114 Depth=1
	s_andn2_saveexec_b64 s[14:15], s[4:5]
	s_cbranch_execz .LBB51_140
; %bb.139:                              ;   in Loop: Header=BB51_114 Depth=1
	v_div_scale_f64 v[42:43], s[4:5], v[46:47], v[46:47], v[34:35]
	v_div_scale_f64 v[44:45], s[4:5], v[48:49], v[48:49], v[36:37]
	v_div_scale_f64 v[63:64], s[4:5], v[36:37], v[48:49], v[36:37]
	v_rcp_f64_e32 v[54:55], v[42:43]
	v_rcp_f64_e32 v[56:57], v[44:45]
	v_fma_f64 v[59:60], -v[42:43], v[54:55], 1.0
	v_fma_f64 v[61:62], -v[44:45], v[56:57], 1.0
	v_fma_f64 v[54:55], v[54:55], v[59:60], v[54:55]
	v_div_scale_f64 v[59:60], vcc, v[34:35], v[46:47], v[34:35]
	v_fma_f64 v[56:57], v[56:57], v[61:62], v[56:57]
	v_fma_f64 v[61:62], -v[42:43], v[54:55], 1.0
	v_fma_f64 v[65:66], -v[44:45], v[56:57], 1.0
	v_fma_f64 v[54:55], v[54:55], v[61:62], v[54:55]
	v_fma_f64 v[56:57], v[56:57], v[65:66], v[56:57]
	v_mul_f64 v[61:62], v[59:60], v[54:55]
	v_mul_f64 v[65:66], v[63:64], v[56:57]
	v_fma_f64 v[42:43], -v[42:43], v[61:62], v[59:60]
	v_fma_f64 v[44:45], -v[44:45], v[65:66], v[63:64]
	v_div_fmas_f64 v[42:43], v[42:43], v[54:55], v[61:62]
	s_mov_b64 vcc, s[4:5]
	v_div_fmas_f64 v[54:55], v[44:45], v[56:57], v[65:66]
	v_div_fixup_f64 v[44:45], v[42:43], v[46:47], v[34:35]
	v_div_fixup_f64 v[42:43], v[54:55], v[48:49], v[36:37]
.LBB51_140:                             ;   in Loop: Header=BB51_114 Depth=1
	s_or_b64 exec, exec, s[14:15]
.LBB51_141:                             ;   in Loop: Header=BB51_114 Depth=1
	s_andn2_saveexec_b64 s[4:5], s[12:13]
	s_cbranch_execz .LBB51_143
; %bb.142:                              ;   in Loop: Header=BB51_114 Depth=1
	v_div_scale_f64 v[42:43], s[12:13], v[40:41], v[40:41], v[38:39]
	v_rcp_f64_e32 v[44:45], v[42:43]
	v_fma_f64 v[54:55], -v[42:43], v[44:45], 1.0
	v_fma_f64 v[44:45], v[44:45], v[54:55], v[44:45]
	v_div_scale_f64 v[54:55], vcc, v[38:39], v[40:41], v[38:39]
	v_fma_f64 v[56:57], -v[42:43], v[44:45], 1.0
	v_fma_f64 v[44:45], v[44:45], v[56:57], v[44:45]
	v_mul_f64 v[56:57], v[54:55], v[44:45]
	v_fma_f64 v[42:43], -v[42:43], v[56:57], v[54:55]
	v_div_fmas_f64 v[42:43], v[42:43], v[44:45], v[56:57]
	v_div_fixup_f64 v[42:43], v[42:43], v[40:41], v[38:39]
	v_fma_f64 v[44:45], v[38:39], v[42:43], v[40:41]
	v_div_scale_f64 v[54:55], s[12:13], v[44:45], v[44:45], 1.0
	v_rcp_f64_e32 v[56:57], v[54:55]
	v_fma_f64 v[59:60], -v[54:55], v[56:57], 1.0
	v_fma_f64 v[56:57], v[56:57], v[59:60], v[56:57]
	v_div_scale_f64 v[59:60], vcc, 1.0, v[44:45], 1.0
	v_fma_f64 v[61:62], -v[54:55], v[56:57], 1.0
	v_fma_f64 v[56:57], v[56:57], v[61:62], v[56:57]
	v_mul_f64 v[61:62], v[59:60], v[56:57]
	v_fma_f64 v[54:55], -v[54:55], v[61:62], v[59:60]
	v_div_fmas_f64 v[54:55], v[54:55], v[56:57], v[61:62]
	v_fma_f64 v[56:57], v[34:35], v[42:43], v[36:37]
	v_fma_f64 v[42:43], v[36:37], v[42:43], -v[34:35]
	v_div_fixup_f64 v[54:55], v[54:55], v[44:45], 1.0
	v_mul_f64 v[44:45], v[56:57], v[54:55]
	v_mul_f64 v[42:43], v[42:43], v[54:55]
.LBB51_143:                             ;   in Loop: Header=BB51_114 Depth=1
	s_or_b64 exec, exec, s[4:5]
	v_mul_f64 v[54:55], s[18:19], v[42:43]
	v_mul_f64 v[56:57], s[16:17], v[42:43]
	s_mov_b64 s[4:5], 0
	v_fma_f64 v[42:43], s[16:17], v[44:45], -v[54:55]
	v_fma_f64 v[44:45], s[18:19], v[44:45], v[56:57]
.LBB51_144:                             ;   in Loop: Header=BB51_114 Depth=1
	s_and_b64 vcc, exec, s[4:5]
	s_cbranch_vccz .LBB51_154
; %bb.145:                              ;   in Loop: Header=BB51_114 Depth=1
                                        ; implicit-def: $vgpr44_vgpr45
                                        ; implicit-def: $vgpr42_vgpr43
	s_and_saveexec_b64 s[4:5], s[2:3]
	s_xor_b64 s[4:5], exec, s[4:5]
	s_cbranch_execz .LBB51_151
; %bb.146:                              ;   in Loop: Header=BB51_114 Depth=1
	v_cmp_neq_f64_e32 vcc, 0, v[38:39]
	v_cmp_neq_f64_e64 s[2:3], 0, v[40:41]
                                        ; implicit-def: $vgpr44_vgpr45
                                        ; implicit-def: $vgpr42_vgpr43
	s_or_b64 s[2:3], vcc, s[2:3]
	s_and_saveexec_b64 s[12:13], s[2:3]
	s_xor_b64 s[2:3], exec, s[12:13]
	s_cbranch_execz .LBB51_148
; %bb.147:                              ;   in Loop: Header=BB51_114 Depth=1
	v_div_scale_f64 v[42:43], s[12:13], v[38:39], v[38:39], v[40:41]
	v_rcp_f64_e32 v[44:45], v[42:43]
	v_fma_f64 v[46:47], -v[42:43], v[44:45], 1.0
	v_fma_f64 v[44:45], v[44:45], v[46:47], v[44:45]
	v_div_scale_f64 v[46:47], vcc, v[40:41], v[38:39], v[40:41]
	v_fma_f64 v[48:49], -v[42:43], v[44:45], 1.0
	v_fma_f64 v[44:45], v[44:45], v[48:49], v[44:45]
	v_mul_f64 v[48:49], v[46:47], v[44:45]
	v_fma_f64 v[42:43], -v[42:43], v[48:49], v[46:47]
	v_div_fmas_f64 v[42:43], v[42:43], v[44:45], v[48:49]
	v_div_fixup_f64 v[42:43], v[42:43], v[38:39], v[40:41]
	v_fma_f64 v[38:39], v[40:41], v[42:43], v[38:39]
	v_div_scale_f64 v[40:41], s[12:13], v[38:39], v[38:39], 1.0
	v_rcp_f64_e32 v[44:45], v[40:41]
	v_fma_f64 v[46:47], -v[40:41], v[44:45], 1.0
	v_fma_f64 v[44:45], v[44:45], v[46:47], v[44:45]
	v_div_scale_f64 v[46:47], vcc, 1.0, v[38:39], 1.0
	v_fma_f64 v[48:49], -v[40:41], v[44:45], 1.0
	v_fma_f64 v[44:45], v[44:45], v[48:49], v[44:45]
	v_mul_f64 v[48:49], v[46:47], v[44:45]
	v_fma_f64 v[40:41], -v[40:41], v[48:49], v[46:47]
                                        ; implicit-def: $vgpr46_vgpr47
	v_div_fmas_f64 v[40:41], v[40:41], v[44:45], v[48:49]
	v_fma_f64 v[44:45], v[36:37], v[42:43], v[34:35]
	v_fma_f64 v[34:35], -v[34:35], v[42:43], v[36:37]
                                        ; implicit-def: $vgpr48_vgpr49
	v_div_fixup_f64 v[38:39], v[40:41], v[38:39], 1.0
	v_mul_f64 v[42:43], v[44:45], v[38:39]
	v_mul_f64 v[44:45], v[34:35], v[38:39]
                                        ; implicit-def: $vgpr34_vgpr35
.LBB51_148:                             ;   in Loop: Header=BB51_114 Depth=1
	s_andn2_saveexec_b64 s[12:13], s[2:3]
	s_cbranch_execz .LBB51_150
; %bb.149:                              ;   in Loop: Header=BB51_114 Depth=1
	v_div_scale_f64 v[38:39], s[2:3], v[46:47], v[46:47], v[34:35]
	v_div_scale_f64 v[40:41], s[2:3], v[48:49], v[48:49], v[36:37]
	;; [unrolled: 1-line block ×3, first 2 shown]
	v_rcp_f64_e32 v[42:43], v[38:39]
	v_rcp_f64_e32 v[44:45], v[40:41]
	v_fma_f64 v[54:55], -v[38:39], v[42:43], 1.0
	v_fma_f64 v[56:57], -v[40:41], v[44:45], 1.0
	v_fma_f64 v[42:43], v[42:43], v[54:55], v[42:43]
	v_div_scale_f64 v[54:55], vcc, v[34:35], v[46:47], v[34:35]
	v_fma_f64 v[44:45], v[44:45], v[56:57], v[44:45]
	v_fma_f64 v[56:57], -v[38:39], v[42:43], 1.0
	v_fma_f64 v[61:62], -v[40:41], v[44:45], 1.0
	v_fma_f64 v[42:43], v[42:43], v[56:57], v[42:43]
	v_fma_f64 v[44:45], v[44:45], v[61:62], v[44:45]
	v_mul_f64 v[56:57], v[54:55], v[42:43]
	v_mul_f64 v[61:62], v[59:60], v[44:45]
	v_fma_f64 v[38:39], -v[38:39], v[56:57], v[54:55]
	v_fma_f64 v[40:41], -v[40:41], v[61:62], v[59:60]
	v_div_fmas_f64 v[38:39], v[38:39], v[42:43], v[56:57]
	s_mov_b64 vcc, s[2:3]
	v_div_fmas_f64 v[40:41], v[40:41], v[44:45], v[61:62]
	v_div_fixup_f64 v[42:43], v[38:39], v[46:47], v[34:35]
	v_div_fixup_f64 v[44:45], v[40:41], v[48:49], v[36:37]
.LBB51_150:                             ;   in Loop: Header=BB51_114 Depth=1
	s_or_b64 exec, exec, s[12:13]
                                        ; implicit-def: $vgpr40_vgpr41
                                        ; implicit-def: $vgpr34_vgpr35
.LBB51_151:                             ;   in Loop: Header=BB51_114 Depth=1
	s_andn2_saveexec_b64 s[2:3], s[4:5]
	s_cbranch_execz .LBB51_153
; %bb.152:                              ;   in Loop: Header=BB51_114 Depth=1
	v_div_scale_f64 v[42:43], s[4:5], v[40:41], v[40:41], v[38:39]
	v_rcp_f64_e32 v[44:45], v[42:43]
	v_fma_f64 v[46:47], -v[42:43], v[44:45], 1.0
	v_fma_f64 v[44:45], v[44:45], v[46:47], v[44:45]
	v_div_scale_f64 v[46:47], vcc, v[38:39], v[40:41], v[38:39]
	v_fma_f64 v[48:49], -v[42:43], v[44:45], 1.0
	v_fma_f64 v[44:45], v[44:45], v[48:49], v[44:45]
	v_mul_f64 v[48:49], v[46:47], v[44:45]
	v_fma_f64 v[42:43], -v[42:43], v[48:49], v[46:47]
	v_div_fmas_f64 v[42:43], v[42:43], v[44:45], v[48:49]
	v_div_fixup_f64 v[42:43], v[42:43], v[40:41], v[38:39]
	v_fma_f64 v[38:39], v[38:39], v[42:43], v[40:41]
	v_div_scale_f64 v[40:41], s[4:5], v[38:39], v[38:39], 1.0
	v_rcp_f64_e32 v[44:45], v[40:41]
	v_fma_f64 v[46:47], -v[40:41], v[44:45], 1.0
	v_fma_f64 v[44:45], v[44:45], v[46:47], v[44:45]
	v_div_scale_f64 v[46:47], vcc, 1.0, v[38:39], 1.0
	v_fma_f64 v[48:49], -v[40:41], v[44:45], 1.0
	v_fma_f64 v[44:45], v[44:45], v[48:49], v[44:45]
	v_mul_f64 v[48:49], v[46:47], v[44:45]
	v_fma_f64 v[40:41], -v[40:41], v[48:49], v[46:47]
	v_div_fmas_f64 v[40:41], v[40:41], v[44:45], v[48:49]
	v_fma_f64 v[44:45], v[34:35], v[42:43], v[36:37]
	v_fma_f64 v[34:35], v[36:37], v[42:43], -v[34:35]
	v_div_fixup_f64 v[38:39], v[40:41], v[38:39], 1.0
	v_mul_f64 v[42:43], v[44:45], v[38:39]
	v_mul_f64 v[44:45], v[34:35], v[38:39]
.LBB51_153:                             ;   in Loop: Header=BB51_114 Depth=1
	s_or_b64 exec, exec, s[2:3]
.LBB51_154:                             ;   in Loop: Header=BB51_114 Depth=1
	s_waitcnt vmcnt(0)
	v_cmp_gt_f64_e32 vcc, 0, v[30:31]
	v_xor_b32_e32 v34, 0x80000000, v31
	v_mov_b32_e32 v38, v30
	v_mov_b32_e32 v40, v32
	s_mov_b64 s[4:5], -1
                                        ; implicit-def: $vgpr36_vgpr37
	v_cndmask_b32_e32 v39, v31, v34, vcc
	v_cmp_gt_f64_e32 vcc, 0, v[32:33]
	v_xor_b32_e32 v34, 0x80000000, v33
	v_cndmask_b32_e32 v41, v33, v34, vcc
	v_cmp_ge_f64_e64 s[2:3], v[38:39], v[40:41]
	s_and_b64 vcc, exec, s[0:1]
                                        ; implicit-def: $vgpr34_vgpr35
	s_cbranch_vccnz .LBB51_164
; %bb.155:                              ;   in Loop: Header=BB51_114 Depth=1
                                        ; implicit-def: $vgpr34_vgpr35
                                        ; implicit-def: $vgpr36_vgpr37
	s_and_saveexec_b64 s[4:5], s[2:3]
	s_xor_b64 s[12:13], exec, s[4:5]
	s_cbranch_execz .LBB51_161
; %bb.156:                              ;   in Loop: Header=BB51_114 Depth=1
	v_cmp_neq_f64_e32 vcc, 0, v[30:31]
	v_cmp_neq_f64_e64 s[4:5], 0, v[32:33]
                                        ; implicit-def: $vgpr34_vgpr35
                                        ; implicit-def: $vgpr36_vgpr37
	s_or_b64 s[4:5], vcc, s[4:5]
	s_and_saveexec_b64 s[14:15], s[4:5]
	s_xor_b64 s[4:5], exec, s[14:15]
	s_cbranch_execz .LBB51_158
; %bb.157:                              ;   in Loop: Header=BB51_114 Depth=1
	v_div_scale_f64 v[34:35], s[14:15], v[30:31], v[30:31], v[32:33]
	v_rcp_f64_e32 v[36:37], v[34:35]
	v_fma_f64 v[46:47], -v[34:35], v[36:37], 1.0
	v_fma_f64 v[36:37], v[36:37], v[46:47], v[36:37]
	v_div_scale_f64 v[46:47], vcc, v[32:33], v[30:31], v[32:33]
	v_fma_f64 v[48:49], -v[34:35], v[36:37], 1.0
	v_fma_f64 v[36:37], v[36:37], v[48:49], v[36:37]
	v_mul_f64 v[48:49], v[46:47], v[36:37]
	v_fma_f64 v[34:35], -v[34:35], v[48:49], v[46:47]
	v_div_fmas_f64 v[34:35], v[34:35], v[36:37], v[48:49]
	v_div_fixup_f64 v[34:35], v[34:35], v[30:31], v[32:33]
	v_fma_f64 v[36:37], v[32:33], v[34:35], v[30:31]
	v_div_scale_f64 v[46:47], s[14:15], v[36:37], v[36:37], 1.0
	v_rcp_f64_e32 v[48:49], v[46:47]
	v_fma_f64 v[54:55], -v[46:47], v[48:49], 1.0
	v_fma_f64 v[48:49], v[48:49], v[54:55], v[48:49]
	v_div_scale_f64 v[54:55], vcc, 1.0, v[36:37], 1.0
	v_fma_f64 v[56:57], -v[46:47], v[48:49], 1.0
	v_fma_f64 v[48:49], v[48:49], v[56:57], v[48:49]
	v_mul_f64 v[56:57], v[54:55], v[48:49]
	v_fma_f64 v[46:47], -v[46:47], v[56:57], v[54:55]
	v_div_fmas_f64 v[46:47], v[46:47], v[48:49], v[56:57]
	v_fma_f64 v[48:49], v[28:29], v[34:35], v[26:27]
	v_fma_f64 v[34:35], -v[26:27], v[34:35], v[28:29]
	v_div_fixup_f64 v[46:47], v[46:47], v[36:37], 1.0
	v_mul_f64 v[36:37], v[48:49], v[46:47]
	v_mul_f64 v[34:35], v[34:35], v[46:47]
.LBB51_158:                             ;   in Loop: Header=BB51_114 Depth=1
	s_andn2_saveexec_b64 s[14:15], s[4:5]
	s_cbranch_execz .LBB51_160
; %bb.159:                              ;   in Loop: Header=BB51_114 Depth=1
	v_div_scale_f64 v[34:35], s[4:5], v[38:39], v[38:39], v[26:27]
	v_div_scale_f64 v[36:37], s[4:5], v[40:41], v[40:41], v[28:29]
	;; [unrolled: 1-line block ×3, first 2 shown]
	v_rcp_f64_e32 v[46:47], v[34:35]
	v_rcp_f64_e32 v[48:49], v[36:37]
	v_fma_f64 v[54:55], -v[34:35], v[46:47], 1.0
	v_fma_f64 v[56:57], -v[36:37], v[48:49], 1.0
	v_fma_f64 v[46:47], v[46:47], v[54:55], v[46:47]
	v_div_scale_f64 v[54:55], vcc, v[26:27], v[38:39], v[26:27]
	v_fma_f64 v[48:49], v[48:49], v[56:57], v[48:49]
	v_fma_f64 v[56:57], -v[34:35], v[46:47], 1.0
	v_fma_f64 v[61:62], -v[36:37], v[48:49], 1.0
	v_fma_f64 v[46:47], v[46:47], v[56:57], v[46:47]
	v_fma_f64 v[48:49], v[48:49], v[61:62], v[48:49]
	v_mul_f64 v[56:57], v[54:55], v[46:47]
	v_mul_f64 v[61:62], v[59:60], v[48:49]
	v_fma_f64 v[34:35], -v[34:35], v[56:57], v[54:55]
	v_fma_f64 v[36:37], -v[36:37], v[61:62], v[59:60]
	v_div_fmas_f64 v[34:35], v[34:35], v[46:47], v[56:57]
	s_mov_b64 vcc, s[4:5]
	v_div_fmas_f64 v[46:47], v[36:37], v[48:49], v[61:62]
	v_div_fixup_f64 v[36:37], v[34:35], v[38:39], v[26:27]
	v_div_fixup_f64 v[34:35], v[46:47], v[40:41], v[28:29]
.LBB51_160:                             ;   in Loop: Header=BB51_114 Depth=1
	s_or_b64 exec, exec, s[14:15]
.LBB51_161:                             ;   in Loop: Header=BB51_114 Depth=1
	s_andn2_saveexec_b64 s[4:5], s[12:13]
	s_cbranch_execz .LBB51_163
; %bb.162:                              ;   in Loop: Header=BB51_114 Depth=1
	v_div_scale_f64 v[34:35], s[12:13], v[32:33], v[32:33], v[30:31]
	v_rcp_f64_e32 v[36:37], v[34:35]
	v_fma_f64 v[46:47], -v[34:35], v[36:37], 1.0
	v_fma_f64 v[36:37], v[36:37], v[46:47], v[36:37]
	v_div_scale_f64 v[46:47], vcc, v[30:31], v[32:33], v[30:31]
	v_fma_f64 v[48:49], -v[34:35], v[36:37], 1.0
	v_fma_f64 v[36:37], v[36:37], v[48:49], v[36:37]
	v_mul_f64 v[48:49], v[46:47], v[36:37]
	v_fma_f64 v[34:35], -v[34:35], v[48:49], v[46:47]
	v_div_fmas_f64 v[34:35], v[34:35], v[36:37], v[48:49]
	v_div_fixup_f64 v[34:35], v[34:35], v[32:33], v[30:31]
	v_fma_f64 v[36:37], v[30:31], v[34:35], v[32:33]
	v_div_scale_f64 v[46:47], s[12:13], v[36:37], v[36:37], 1.0
	v_rcp_f64_e32 v[48:49], v[46:47]
	v_fma_f64 v[54:55], -v[46:47], v[48:49], 1.0
	v_fma_f64 v[48:49], v[48:49], v[54:55], v[48:49]
	v_div_scale_f64 v[54:55], vcc, 1.0, v[36:37], 1.0
	v_fma_f64 v[56:57], -v[46:47], v[48:49], 1.0
	v_fma_f64 v[48:49], v[48:49], v[56:57], v[48:49]
	v_mul_f64 v[56:57], v[54:55], v[48:49]
	v_fma_f64 v[46:47], -v[46:47], v[56:57], v[54:55]
	v_div_fmas_f64 v[46:47], v[46:47], v[48:49], v[56:57]
	v_fma_f64 v[48:49], v[26:27], v[34:35], v[28:29]
	v_fma_f64 v[34:35], v[28:29], v[34:35], -v[26:27]
	v_div_fixup_f64 v[46:47], v[46:47], v[36:37], 1.0
	v_mul_f64 v[36:37], v[48:49], v[46:47]
	v_mul_f64 v[34:35], v[34:35], v[46:47]
.LBB51_163:                             ;   in Loop: Header=BB51_114 Depth=1
	s_or_b64 exec, exec, s[4:5]
	v_mul_f64 v[46:47], s[18:19], v[34:35]
	v_mul_f64 v[48:49], s[16:17], v[34:35]
	s_mov_b64 s[4:5], 0
	v_fma_f64 v[34:35], s[16:17], v[36:37], -v[46:47]
	v_fma_f64 v[36:37], s[18:19], v[36:37], v[48:49]
.LBB51_164:                             ;   in Loop: Header=BB51_114 Depth=1
	s_and_b64 vcc, exec, s[4:5]
	s_cbranch_vccz .LBB51_174
; %bb.165:                              ;   in Loop: Header=BB51_114 Depth=1
                                        ; implicit-def: $vgpr36_vgpr37
                                        ; implicit-def: $vgpr34_vgpr35
	s_and_saveexec_b64 s[4:5], s[2:3]
	s_xor_b64 s[4:5], exec, s[4:5]
	s_cbranch_execz .LBB51_171
; %bb.166:                              ;   in Loop: Header=BB51_114 Depth=1
	v_cmp_neq_f64_e32 vcc, 0, v[30:31]
	v_cmp_neq_f64_e64 s[2:3], 0, v[32:33]
                                        ; implicit-def: $vgpr36_vgpr37
                                        ; implicit-def: $vgpr34_vgpr35
	s_or_b64 s[2:3], vcc, s[2:3]
	s_and_saveexec_b64 s[12:13], s[2:3]
	s_xor_b64 s[2:3], exec, s[12:13]
	s_cbranch_execz .LBB51_168
; %bb.167:                              ;   in Loop: Header=BB51_114 Depth=1
	v_div_scale_f64 v[34:35], s[12:13], v[30:31], v[30:31], v[32:33]
	v_rcp_f64_e32 v[36:37], v[34:35]
	v_fma_f64 v[38:39], -v[34:35], v[36:37], 1.0
	v_fma_f64 v[36:37], v[36:37], v[38:39], v[36:37]
	v_div_scale_f64 v[38:39], vcc, v[32:33], v[30:31], v[32:33]
	v_fma_f64 v[40:41], -v[34:35], v[36:37], 1.0
	v_fma_f64 v[36:37], v[36:37], v[40:41], v[36:37]
	v_mul_f64 v[40:41], v[38:39], v[36:37]
	v_fma_f64 v[34:35], -v[34:35], v[40:41], v[38:39]
	v_div_fmas_f64 v[34:35], v[34:35], v[36:37], v[40:41]
	v_div_fixup_f64 v[34:35], v[34:35], v[30:31], v[32:33]
	v_fma_f64 v[30:31], v[32:33], v[34:35], v[30:31]
	v_div_scale_f64 v[32:33], s[12:13], v[30:31], v[30:31], 1.0
	v_rcp_f64_e32 v[36:37], v[32:33]
	v_fma_f64 v[38:39], -v[32:33], v[36:37], 1.0
	v_fma_f64 v[36:37], v[36:37], v[38:39], v[36:37]
	v_div_scale_f64 v[38:39], vcc, 1.0, v[30:31], 1.0
	v_fma_f64 v[40:41], -v[32:33], v[36:37], 1.0
	v_fma_f64 v[36:37], v[36:37], v[40:41], v[36:37]
	v_mul_f64 v[40:41], v[38:39], v[36:37]
	v_fma_f64 v[32:33], -v[32:33], v[40:41], v[38:39]
                                        ; implicit-def: $vgpr38_vgpr39
	v_div_fmas_f64 v[32:33], v[32:33], v[36:37], v[40:41]
	v_fma_f64 v[36:37], v[28:29], v[34:35], v[26:27]
	v_fma_f64 v[26:27], -v[26:27], v[34:35], v[28:29]
                                        ; implicit-def: $vgpr40_vgpr41
	v_div_fixup_f64 v[30:31], v[32:33], v[30:31], 1.0
	v_mul_f64 v[34:35], v[36:37], v[30:31]
	v_mul_f64 v[36:37], v[26:27], v[30:31]
                                        ; implicit-def: $vgpr26_vgpr27
.LBB51_168:                             ;   in Loop: Header=BB51_114 Depth=1
	s_andn2_saveexec_b64 s[12:13], s[2:3]
	s_cbranch_execz .LBB51_170
; %bb.169:                              ;   in Loop: Header=BB51_114 Depth=1
	v_div_scale_f64 v[30:31], s[2:3], v[38:39], v[38:39], v[26:27]
	v_div_scale_f64 v[32:33], s[2:3], v[40:41], v[40:41], v[28:29]
	;; [unrolled: 1-line block ×3, first 2 shown]
	v_rcp_f64_e32 v[34:35], v[30:31]
	v_rcp_f64_e32 v[36:37], v[32:33]
	v_fma_f64 v[46:47], -v[30:31], v[34:35], 1.0
	v_fma_f64 v[48:49], -v[32:33], v[36:37], 1.0
	v_fma_f64 v[34:35], v[34:35], v[46:47], v[34:35]
	v_div_scale_f64 v[46:47], vcc, v[26:27], v[38:39], v[26:27]
	v_fma_f64 v[36:37], v[36:37], v[48:49], v[36:37]
	v_fma_f64 v[48:49], -v[30:31], v[34:35], 1.0
	v_fma_f64 v[56:57], -v[32:33], v[36:37], 1.0
	v_fma_f64 v[34:35], v[34:35], v[48:49], v[34:35]
	v_fma_f64 v[36:37], v[36:37], v[56:57], v[36:37]
	v_mul_f64 v[48:49], v[46:47], v[34:35]
	v_mul_f64 v[56:57], v[54:55], v[36:37]
	v_fma_f64 v[30:31], -v[30:31], v[48:49], v[46:47]
	v_fma_f64 v[32:33], -v[32:33], v[56:57], v[54:55]
	v_div_fmas_f64 v[30:31], v[30:31], v[34:35], v[48:49]
	s_mov_b64 vcc, s[2:3]
	v_div_fmas_f64 v[32:33], v[32:33], v[36:37], v[56:57]
	v_div_fixup_f64 v[34:35], v[30:31], v[38:39], v[26:27]
	v_div_fixup_f64 v[36:37], v[32:33], v[40:41], v[28:29]
.LBB51_170:                             ;   in Loop: Header=BB51_114 Depth=1
	s_or_b64 exec, exec, s[12:13]
                                        ; implicit-def: $vgpr32_vgpr33
                                        ; implicit-def: $vgpr26_vgpr27
.LBB51_171:                             ;   in Loop: Header=BB51_114 Depth=1
	s_andn2_saveexec_b64 s[2:3], s[4:5]
	s_cbranch_execz .LBB51_173
; %bb.172:                              ;   in Loop: Header=BB51_114 Depth=1
	v_div_scale_f64 v[34:35], s[4:5], v[32:33], v[32:33], v[30:31]
	v_rcp_f64_e32 v[36:37], v[34:35]
	v_fma_f64 v[38:39], -v[34:35], v[36:37], 1.0
	v_fma_f64 v[36:37], v[36:37], v[38:39], v[36:37]
	v_div_scale_f64 v[38:39], vcc, v[30:31], v[32:33], v[30:31]
	v_fma_f64 v[40:41], -v[34:35], v[36:37], 1.0
	v_fma_f64 v[36:37], v[36:37], v[40:41], v[36:37]
	v_mul_f64 v[40:41], v[38:39], v[36:37]
	v_fma_f64 v[34:35], -v[34:35], v[40:41], v[38:39]
	v_div_fmas_f64 v[34:35], v[34:35], v[36:37], v[40:41]
	v_div_fixup_f64 v[34:35], v[34:35], v[32:33], v[30:31]
	v_fma_f64 v[30:31], v[30:31], v[34:35], v[32:33]
	v_div_scale_f64 v[32:33], s[4:5], v[30:31], v[30:31], 1.0
	v_rcp_f64_e32 v[36:37], v[32:33]
	v_fma_f64 v[38:39], -v[32:33], v[36:37], 1.0
	v_fma_f64 v[36:37], v[36:37], v[38:39], v[36:37]
	v_div_scale_f64 v[38:39], vcc, 1.0, v[30:31], 1.0
	v_fma_f64 v[40:41], -v[32:33], v[36:37], 1.0
	v_fma_f64 v[36:37], v[36:37], v[40:41], v[36:37]
	v_mul_f64 v[40:41], v[38:39], v[36:37]
	v_fma_f64 v[32:33], -v[32:33], v[40:41], v[38:39]
	v_div_fmas_f64 v[32:33], v[32:33], v[36:37], v[40:41]
	v_fma_f64 v[36:37], v[26:27], v[34:35], v[28:29]
	v_fma_f64 v[26:27], v[28:29], v[34:35], -v[26:27]
	v_div_fixup_f64 v[30:31], v[32:33], v[30:31], 1.0
	v_mul_f64 v[34:35], v[36:37], v[30:31]
	v_mul_f64 v[36:37], v[26:27], v[30:31]
.LBB51_173:                             ;   in Loop: Header=BB51_114 Depth=1
	s_or_b64 exec, exec, s[2:3]
.LBB51_174:                             ;   in Loop: Header=BB51_114 Depth=1
	v_cmp_gt_f64_e32 vcc, 0, v[22:23]
	v_xor_b32_e32 v26, 0x80000000, v23
	v_xor_b32_e32 v28, 0x80000000, v25
                                        ; implicit-def: $vgpr32_vgpr33
                                        ; implicit-def: $vgpr30_vgpr31
	v_cndmask_b32_e32 v27, v23, v26, vcc
	v_cmp_gt_f64_e32 vcc, 0, v[24:25]
	v_mov_b32_e32 v26, v22
	v_cndmask_b32_e32 v29, v25, v28, vcc
	v_mov_b32_e32 v28, v24
	v_cmp_ge_f64_e64 s[2:3], v[26:27], v[28:29]
	s_and_b64 vcc, exec, s[0:1]
	s_mov_b64 s[0:1], -1
	s_cbranch_vccnz .LBB51_184
; %bb.175:                              ;   in Loop: Header=BB51_114 Depth=1
                                        ; implicit-def: $vgpr30_vgpr31
                                        ; implicit-def: $vgpr32_vgpr33
	s_and_saveexec_b64 s[0:1], s[2:3]
	s_xor_b64 s[4:5], exec, s[0:1]
	s_cbranch_execz .LBB51_181
; %bb.176:                              ;   in Loop: Header=BB51_114 Depth=1
	v_cmp_neq_f64_e32 vcc, 0, v[22:23]
	v_cmp_neq_f64_e64 s[0:1], 0, v[24:25]
                                        ; implicit-def: $vgpr30_vgpr31
                                        ; implicit-def: $vgpr32_vgpr33
	s_or_b64 s[0:1], vcc, s[0:1]
	s_and_saveexec_b64 s[12:13], s[0:1]
	s_xor_b64 s[0:1], exec, s[12:13]
	s_cbranch_execz .LBB51_178
; %bb.177:                              ;   in Loop: Header=BB51_114 Depth=1
	v_div_scale_f64 v[30:31], s[12:13], v[22:23], v[22:23], v[24:25]
	v_rcp_f64_e32 v[32:33], v[30:31]
	v_fma_f64 v[38:39], -v[30:31], v[32:33], 1.0
	v_fma_f64 v[32:33], v[32:33], v[38:39], v[32:33]
	v_div_scale_f64 v[38:39], vcc, v[24:25], v[22:23], v[24:25]
	v_fma_f64 v[40:41], -v[30:31], v[32:33], 1.0
	v_fma_f64 v[32:33], v[32:33], v[40:41], v[32:33]
	v_mul_f64 v[40:41], v[38:39], v[32:33]
	v_fma_f64 v[30:31], -v[30:31], v[40:41], v[38:39]
	v_div_fmas_f64 v[30:31], v[30:31], v[32:33], v[40:41]
	v_div_fixup_f64 v[30:31], v[30:31], v[22:23], v[24:25]
	v_fma_f64 v[32:33], v[24:25], v[30:31], v[22:23]
	v_div_scale_f64 v[38:39], s[12:13], v[32:33], v[32:33], 1.0
	v_rcp_f64_e32 v[40:41], v[38:39]
	v_fma_f64 v[46:47], -v[38:39], v[40:41], 1.0
	v_fma_f64 v[40:41], v[40:41], v[46:47], v[40:41]
	v_div_scale_f64 v[46:47], vcc, 1.0, v[32:33], 1.0
	v_fma_f64 v[48:49], -v[38:39], v[40:41], 1.0
	v_fma_f64 v[40:41], v[40:41], v[48:49], v[40:41]
	v_mul_f64 v[48:49], v[46:47], v[40:41]
	v_fma_f64 v[38:39], -v[38:39], v[48:49], v[46:47]
	v_div_fmas_f64 v[38:39], v[38:39], v[40:41], v[48:49]
	v_fma_f64 v[40:41], v[20:21], v[30:31], v[18:19]
	v_fma_f64 v[30:31], -v[18:19], v[30:31], v[20:21]
	v_div_fixup_f64 v[38:39], v[38:39], v[32:33], 1.0
	v_mul_f64 v[32:33], v[40:41], v[38:39]
	v_mul_f64 v[30:31], v[30:31], v[38:39]
.LBB51_178:                             ;   in Loop: Header=BB51_114 Depth=1
	s_andn2_saveexec_b64 s[12:13], s[0:1]
	s_cbranch_execz .LBB51_180
; %bb.179:                              ;   in Loop: Header=BB51_114 Depth=1
	v_div_scale_f64 v[30:31], s[0:1], v[26:27], v[26:27], v[18:19]
	v_div_scale_f64 v[32:33], s[0:1], v[28:29], v[28:29], v[20:21]
	;; [unrolled: 1-line block ×3, first 2 shown]
	v_rcp_f64_e32 v[38:39], v[30:31]
	v_rcp_f64_e32 v[40:41], v[32:33]
	v_fma_f64 v[46:47], -v[30:31], v[38:39], 1.0
	v_fma_f64 v[48:49], -v[32:33], v[40:41], 1.0
	v_fma_f64 v[38:39], v[38:39], v[46:47], v[38:39]
	v_div_scale_f64 v[46:47], vcc, v[18:19], v[26:27], v[18:19]
	v_fma_f64 v[40:41], v[40:41], v[48:49], v[40:41]
	v_fma_f64 v[48:49], -v[30:31], v[38:39], 1.0
	v_fma_f64 v[56:57], -v[32:33], v[40:41], 1.0
	v_fma_f64 v[38:39], v[38:39], v[48:49], v[38:39]
	v_fma_f64 v[40:41], v[40:41], v[56:57], v[40:41]
	v_mul_f64 v[48:49], v[46:47], v[38:39]
	v_mul_f64 v[56:57], v[54:55], v[40:41]
	v_fma_f64 v[30:31], -v[30:31], v[48:49], v[46:47]
	v_fma_f64 v[32:33], -v[32:33], v[56:57], v[54:55]
	v_div_fmas_f64 v[30:31], v[30:31], v[38:39], v[48:49]
	s_mov_b64 vcc, s[0:1]
	v_div_fmas_f64 v[38:39], v[32:33], v[40:41], v[56:57]
	v_div_fixup_f64 v[32:33], v[30:31], v[26:27], v[18:19]
	v_div_fixup_f64 v[30:31], v[38:39], v[28:29], v[20:21]
.LBB51_180:                             ;   in Loop: Header=BB51_114 Depth=1
	s_or_b64 exec, exec, s[12:13]
.LBB51_181:                             ;   in Loop: Header=BB51_114 Depth=1
	s_andn2_saveexec_b64 s[0:1], s[4:5]
	s_cbranch_execz .LBB51_183
; %bb.182:                              ;   in Loop: Header=BB51_114 Depth=1
	v_div_scale_f64 v[30:31], s[4:5], v[24:25], v[24:25], v[22:23]
	v_rcp_f64_e32 v[32:33], v[30:31]
	v_fma_f64 v[38:39], -v[30:31], v[32:33], 1.0
	v_fma_f64 v[32:33], v[32:33], v[38:39], v[32:33]
	v_div_scale_f64 v[38:39], vcc, v[22:23], v[24:25], v[22:23]
	v_fma_f64 v[40:41], -v[30:31], v[32:33], 1.0
	v_fma_f64 v[32:33], v[32:33], v[40:41], v[32:33]
	v_mul_f64 v[40:41], v[38:39], v[32:33]
	v_fma_f64 v[30:31], -v[30:31], v[40:41], v[38:39]
	v_div_fmas_f64 v[30:31], v[30:31], v[32:33], v[40:41]
	v_div_fixup_f64 v[30:31], v[30:31], v[24:25], v[22:23]
	v_fma_f64 v[32:33], v[22:23], v[30:31], v[24:25]
	v_div_scale_f64 v[38:39], s[4:5], v[32:33], v[32:33], 1.0
	v_rcp_f64_e32 v[40:41], v[38:39]
	v_fma_f64 v[46:47], -v[38:39], v[40:41], 1.0
	v_fma_f64 v[40:41], v[40:41], v[46:47], v[40:41]
	v_div_scale_f64 v[46:47], vcc, 1.0, v[32:33], 1.0
	v_fma_f64 v[48:49], -v[38:39], v[40:41], 1.0
	v_fma_f64 v[40:41], v[40:41], v[48:49], v[40:41]
	v_mul_f64 v[48:49], v[46:47], v[40:41]
	v_fma_f64 v[38:39], -v[38:39], v[48:49], v[46:47]
	v_div_fmas_f64 v[38:39], v[38:39], v[40:41], v[48:49]
	v_fma_f64 v[40:41], v[18:19], v[30:31], v[20:21]
	v_fma_f64 v[30:31], v[20:21], v[30:31], -v[18:19]
	v_div_fixup_f64 v[38:39], v[38:39], v[32:33], 1.0
	v_mul_f64 v[32:33], v[40:41], v[38:39]
	v_mul_f64 v[30:31], v[30:31], v[38:39]
.LBB51_183:                             ;   in Loop: Header=BB51_114 Depth=1
	s_or_b64 exec, exec, s[0:1]
	v_mul_f64 v[38:39], s[18:19], v[30:31]
	v_mul_f64 v[40:41], s[16:17], v[30:31]
	s_mov_b64 s[0:1], 0
	v_fma_f64 v[30:31], s[16:17], v[32:33], -v[38:39]
	v_fma_f64 v[32:33], s[18:19], v[32:33], v[40:41]
.LBB51_184:                             ;   in Loop: Header=BB51_114 Depth=1
	s_and_b64 vcc, exec, s[0:1]
	s_cbranch_vccz .LBB51_113
; %bb.185:                              ;   in Loop: Header=BB51_114 Depth=1
                                        ; implicit-def: $vgpr32_vgpr33
                                        ; implicit-def: $vgpr30_vgpr31
	s_and_saveexec_b64 s[0:1], s[2:3]
	s_xor_b64 s[2:3], exec, s[0:1]
	s_cbranch_execz .LBB51_191
; %bb.186:                              ;   in Loop: Header=BB51_114 Depth=1
	v_cmp_neq_f64_e32 vcc, 0, v[22:23]
	v_cmp_neq_f64_e64 s[0:1], 0, v[24:25]
                                        ; implicit-def: $vgpr32_vgpr33
                                        ; implicit-def: $vgpr30_vgpr31
	s_or_b64 s[0:1], vcc, s[0:1]
	s_and_saveexec_b64 s[4:5], s[0:1]
	s_xor_b64 s[0:1], exec, s[4:5]
	s_cbranch_execz .LBB51_188
; %bb.187:                              ;   in Loop: Header=BB51_114 Depth=1
	v_div_scale_f64 v[26:27], s[4:5], v[22:23], v[22:23], v[24:25]
	v_rcp_f64_e32 v[28:29], v[26:27]
	v_fma_f64 v[30:31], -v[26:27], v[28:29], 1.0
	v_fma_f64 v[28:29], v[28:29], v[30:31], v[28:29]
	v_div_scale_f64 v[30:31], vcc, v[24:25], v[22:23], v[24:25]
	v_fma_f64 v[32:33], -v[26:27], v[28:29], 1.0
	v_fma_f64 v[28:29], v[28:29], v[32:33], v[28:29]
	v_mul_f64 v[32:33], v[30:31], v[28:29]
	v_fma_f64 v[26:27], -v[26:27], v[32:33], v[30:31]
	v_div_fmas_f64 v[26:27], v[26:27], v[28:29], v[32:33]
	v_div_fixup_f64 v[26:27], v[26:27], v[22:23], v[24:25]
	v_fma_f64 v[22:23], v[24:25], v[26:27], v[22:23]
	v_div_scale_f64 v[24:25], s[4:5], v[22:23], v[22:23], 1.0
	v_rcp_f64_e32 v[28:29], v[24:25]
	v_fma_f64 v[30:31], -v[24:25], v[28:29], 1.0
	v_fma_f64 v[28:29], v[28:29], v[30:31], v[28:29]
	v_div_scale_f64 v[30:31], vcc, 1.0, v[22:23], 1.0
	v_fma_f64 v[32:33], -v[24:25], v[28:29], 1.0
	v_fma_f64 v[28:29], v[28:29], v[32:33], v[28:29]
	v_mul_f64 v[32:33], v[30:31], v[28:29]
	v_fma_f64 v[24:25], -v[24:25], v[32:33], v[30:31]
	v_div_fmas_f64 v[24:25], v[24:25], v[28:29], v[32:33]
	v_fma_f64 v[28:29], v[20:21], v[26:27], v[18:19]
	v_fma_f64 v[18:19], -v[18:19], v[26:27], v[20:21]
                                        ; implicit-def: $vgpr26_vgpr27
	v_div_fixup_f64 v[22:23], v[24:25], v[22:23], 1.0
	v_mul_f64 v[30:31], v[28:29], v[22:23]
	v_mul_f64 v[32:33], v[18:19], v[22:23]
                                        ; implicit-def: $vgpr18_vgpr19
                                        ; implicit-def: $vgpr28_vgpr29
.LBB51_188:                             ;   in Loop: Header=BB51_114 Depth=1
	s_andn2_saveexec_b64 s[4:5], s[0:1]
	s_cbranch_execz .LBB51_190
; %bb.189:                              ;   in Loop: Header=BB51_114 Depth=1
	v_div_scale_f64 v[22:23], s[0:1], v[26:27], v[26:27], v[18:19]
	v_div_scale_f64 v[24:25], s[0:1], v[28:29], v[28:29], v[20:21]
	;; [unrolled: 1-line block ×3, first 2 shown]
	v_rcp_f64_e32 v[30:31], v[22:23]
	v_rcp_f64_e32 v[32:33], v[24:25]
	v_fma_f64 v[38:39], -v[22:23], v[30:31], 1.0
	v_fma_f64 v[40:41], -v[24:25], v[32:33], 1.0
	v_fma_f64 v[30:31], v[30:31], v[38:39], v[30:31]
	v_div_scale_f64 v[38:39], vcc, v[18:19], v[26:27], v[18:19]
	v_fma_f64 v[32:33], v[32:33], v[40:41], v[32:33]
	v_fma_f64 v[40:41], -v[22:23], v[30:31], 1.0
	v_fma_f64 v[48:49], -v[24:25], v[32:33], 1.0
	v_fma_f64 v[30:31], v[30:31], v[40:41], v[30:31]
	v_fma_f64 v[32:33], v[32:33], v[48:49], v[32:33]
	v_mul_f64 v[40:41], v[38:39], v[30:31]
	v_mul_f64 v[48:49], v[46:47], v[32:33]
	v_fma_f64 v[22:23], -v[22:23], v[40:41], v[38:39]
	v_fma_f64 v[24:25], -v[24:25], v[48:49], v[46:47]
	v_div_fmas_f64 v[22:23], v[22:23], v[30:31], v[40:41]
	s_mov_b64 vcc, s[0:1]
	v_div_fmas_f64 v[24:25], v[24:25], v[32:33], v[48:49]
	v_div_fixup_f64 v[30:31], v[22:23], v[26:27], v[18:19]
	v_div_fixup_f64 v[32:33], v[24:25], v[28:29], v[20:21]
.LBB51_190:                             ;   in Loop: Header=BB51_114 Depth=1
	s_or_b64 exec, exec, s[4:5]
                                        ; implicit-def: $vgpr24_vgpr25
                                        ; implicit-def: $vgpr18_vgpr19
.LBB51_191:                             ;   in Loop: Header=BB51_114 Depth=1
	s_andn2_saveexec_b64 s[0:1], s[2:3]
	s_cbranch_execz .LBB51_112
; %bb.192:                              ;   in Loop: Header=BB51_114 Depth=1
	v_div_scale_f64 v[26:27], s[2:3], v[24:25], v[24:25], v[22:23]
	v_rcp_f64_e32 v[28:29], v[26:27]
	v_fma_f64 v[30:31], -v[26:27], v[28:29], 1.0
	v_fma_f64 v[28:29], v[28:29], v[30:31], v[28:29]
	v_div_scale_f64 v[30:31], vcc, v[22:23], v[24:25], v[22:23]
	v_fma_f64 v[32:33], -v[26:27], v[28:29], 1.0
	v_fma_f64 v[28:29], v[28:29], v[32:33], v[28:29]
	v_mul_f64 v[32:33], v[30:31], v[28:29]
	v_fma_f64 v[26:27], -v[26:27], v[32:33], v[30:31]
	v_div_fmas_f64 v[26:27], v[26:27], v[28:29], v[32:33]
	v_div_fixup_f64 v[26:27], v[26:27], v[24:25], v[22:23]
	v_fma_f64 v[22:23], v[22:23], v[26:27], v[24:25]
	v_div_scale_f64 v[24:25], s[2:3], v[22:23], v[22:23], 1.0
	v_rcp_f64_e32 v[28:29], v[24:25]
	v_fma_f64 v[30:31], -v[24:25], v[28:29], 1.0
	v_fma_f64 v[28:29], v[28:29], v[30:31], v[28:29]
	v_div_scale_f64 v[30:31], vcc, 1.0, v[22:23], 1.0
	v_fma_f64 v[32:33], -v[24:25], v[28:29], 1.0
	v_fma_f64 v[28:29], v[28:29], v[32:33], v[28:29]
	v_mul_f64 v[32:33], v[30:31], v[28:29]
	v_fma_f64 v[24:25], -v[24:25], v[32:33], v[30:31]
	v_div_fmas_f64 v[24:25], v[24:25], v[28:29], v[32:33]
	v_fma_f64 v[28:29], v[18:19], v[26:27], v[20:21]
	v_fma_f64 v[18:19], v[20:21], v[26:27], -v[18:19]
	v_div_fixup_f64 v[22:23], v[24:25], v[22:23], 1.0
	v_mul_f64 v[30:31], v[28:29], v[22:23]
	v_mul_f64 v[32:33], v[18:19], v[22:23]
	s_branch .LBB51_112
.LBB51_193:
	s_endpgm
	.section	.rodata,"a",@progbits
	.p2align	6, 0x0
	.amdhsa_kernel _ZN2at6native12_GLOBAL__N_125multi_tensor_apply_kernelINS1_18TensorListMetadataILi4EEENS1_24PointwiseOpScalarFunctorIN3c107complexIdEELi4ELi3ELi3EEEJSt7dividesIS8_ES8_EEEvT_T0_DpT1_
		.amdhsa_group_segment_fixed_size 0
		.amdhsa_private_segment_fixed_size 0
		.amdhsa_kernarg_size 3328
		.amdhsa_user_sgpr_count 6
		.amdhsa_user_sgpr_private_segment_buffer 1
		.amdhsa_user_sgpr_dispatch_ptr 0
		.amdhsa_user_sgpr_queue_ptr 0
		.amdhsa_user_sgpr_kernarg_segment_ptr 1
		.amdhsa_user_sgpr_dispatch_id 0
		.amdhsa_user_sgpr_flat_scratch_init 0
		.amdhsa_user_sgpr_private_segment_size 0
		.amdhsa_uses_dynamic_stack 0
		.amdhsa_system_sgpr_private_segment_wavefront_offset 0
		.amdhsa_system_sgpr_workgroup_id_x 1
		.amdhsa_system_sgpr_workgroup_id_y 0
		.amdhsa_system_sgpr_workgroup_id_z 0
		.amdhsa_system_sgpr_workgroup_info 0
		.amdhsa_system_vgpr_workitem_id 0
		.amdhsa_next_free_vgpr 77
		.amdhsa_next_free_sgpr 47
		.amdhsa_reserve_vcc 1
		.amdhsa_reserve_flat_scratch 0
		.amdhsa_float_round_mode_32 0
		.amdhsa_float_round_mode_16_64 0
		.amdhsa_float_denorm_mode_32 3
		.amdhsa_float_denorm_mode_16_64 3
		.amdhsa_dx10_clamp 1
		.amdhsa_ieee_mode 1
		.amdhsa_fp16_overflow 0
		.amdhsa_exception_fp_ieee_invalid_op 0
		.amdhsa_exception_fp_denorm_src 0
		.amdhsa_exception_fp_ieee_div_zero 0
		.amdhsa_exception_fp_ieee_overflow 0
		.amdhsa_exception_fp_ieee_underflow 0
		.amdhsa_exception_fp_ieee_inexact 0
		.amdhsa_exception_int_div_zero 0
	.end_amdhsa_kernel
	.section	.text._ZN2at6native12_GLOBAL__N_125multi_tensor_apply_kernelINS1_18TensorListMetadataILi4EEENS1_24PointwiseOpScalarFunctorIN3c107complexIdEELi4ELi3ELi3EEEJSt7dividesIS8_ES8_EEEvT_T0_DpT1_,"axG",@progbits,_ZN2at6native12_GLOBAL__N_125multi_tensor_apply_kernelINS1_18TensorListMetadataILi4EEENS1_24PointwiseOpScalarFunctorIN3c107complexIdEELi4ELi3ELi3EEEJSt7dividesIS8_ES8_EEEvT_T0_DpT1_,comdat
.Lfunc_end51:
	.size	_ZN2at6native12_GLOBAL__N_125multi_tensor_apply_kernelINS1_18TensorListMetadataILi4EEENS1_24PointwiseOpScalarFunctorIN3c107complexIdEELi4ELi3ELi3EEEJSt7dividesIS8_ES8_EEEvT_T0_DpT1_, .Lfunc_end51-_ZN2at6native12_GLOBAL__N_125multi_tensor_apply_kernelINS1_18TensorListMetadataILi4EEENS1_24PointwiseOpScalarFunctorIN3c107complexIdEELi4ELi3ELi3EEEJSt7dividesIS8_ES8_EEEvT_T0_DpT1_
                                        ; -- End function
	.set _ZN2at6native12_GLOBAL__N_125multi_tensor_apply_kernelINS1_18TensorListMetadataILi4EEENS1_24PointwiseOpScalarFunctorIN3c107complexIdEELi4ELi3ELi3EEEJSt7dividesIS8_ES8_EEEvT_T0_DpT1_.num_vgpr, 77
	.set _ZN2at6native12_GLOBAL__N_125multi_tensor_apply_kernelINS1_18TensorListMetadataILi4EEENS1_24PointwiseOpScalarFunctorIN3c107complexIdEELi4ELi3ELi3EEEJSt7dividesIS8_ES8_EEEvT_T0_DpT1_.num_agpr, 0
	.set _ZN2at6native12_GLOBAL__N_125multi_tensor_apply_kernelINS1_18TensorListMetadataILi4EEENS1_24PointwiseOpScalarFunctorIN3c107complexIdEELi4ELi3ELi3EEEJSt7dividesIS8_ES8_EEEvT_T0_DpT1_.numbered_sgpr, 47
	.set _ZN2at6native12_GLOBAL__N_125multi_tensor_apply_kernelINS1_18TensorListMetadataILi4EEENS1_24PointwiseOpScalarFunctorIN3c107complexIdEELi4ELi3ELi3EEEJSt7dividesIS8_ES8_EEEvT_T0_DpT1_.num_named_barrier, 0
	.set _ZN2at6native12_GLOBAL__N_125multi_tensor_apply_kernelINS1_18TensorListMetadataILi4EEENS1_24PointwiseOpScalarFunctorIN3c107complexIdEELi4ELi3ELi3EEEJSt7dividesIS8_ES8_EEEvT_T0_DpT1_.private_seg_size, 0
	.set _ZN2at6native12_GLOBAL__N_125multi_tensor_apply_kernelINS1_18TensorListMetadataILi4EEENS1_24PointwiseOpScalarFunctorIN3c107complexIdEELi4ELi3ELi3EEEJSt7dividesIS8_ES8_EEEvT_T0_DpT1_.uses_vcc, 1
	.set _ZN2at6native12_GLOBAL__N_125multi_tensor_apply_kernelINS1_18TensorListMetadataILi4EEENS1_24PointwiseOpScalarFunctorIN3c107complexIdEELi4ELi3ELi3EEEJSt7dividesIS8_ES8_EEEvT_T0_DpT1_.uses_flat_scratch, 0
	.set _ZN2at6native12_GLOBAL__N_125multi_tensor_apply_kernelINS1_18TensorListMetadataILi4EEENS1_24PointwiseOpScalarFunctorIN3c107complexIdEELi4ELi3ELi3EEEJSt7dividesIS8_ES8_EEEvT_T0_DpT1_.has_dyn_sized_stack, 0
	.set _ZN2at6native12_GLOBAL__N_125multi_tensor_apply_kernelINS1_18TensorListMetadataILi4EEENS1_24PointwiseOpScalarFunctorIN3c107complexIdEELi4ELi3ELi3EEEJSt7dividesIS8_ES8_EEEvT_T0_DpT1_.has_recursion, 0
	.set _ZN2at6native12_GLOBAL__N_125multi_tensor_apply_kernelINS1_18TensorListMetadataILi4EEENS1_24PointwiseOpScalarFunctorIN3c107complexIdEELi4ELi3ELi3EEEJSt7dividesIS8_ES8_EEEvT_T0_DpT1_.has_indirect_call, 0
	.section	.AMDGPU.csdata,"",@progbits
; Kernel info:
; codeLenInByte = 13112
; TotalNumSgprs: 51
; NumVgprs: 77
; ScratchSize: 0
; MemoryBound: 1
; FloatMode: 240
; IeeeMode: 1
; LDSByteSize: 0 bytes/workgroup (compile time only)
; SGPRBlocks: 6
; VGPRBlocks: 19
; NumSGPRsForWavesPerEU: 51
; NumVGPRsForWavesPerEU: 77
; Occupancy: 3
; WaveLimiterHint : 0
; COMPUTE_PGM_RSRC2:SCRATCH_EN: 0
; COMPUTE_PGM_RSRC2:USER_SGPR: 6
; COMPUTE_PGM_RSRC2:TRAP_HANDLER: 0
; COMPUTE_PGM_RSRC2:TGID_X_EN: 1
; COMPUTE_PGM_RSRC2:TGID_Y_EN: 0
; COMPUTE_PGM_RSRC2:TGID_Z_EN: 0
; COMPUTE_PGM_RSRC2:TIDIG_COMP_CNT: 0
	.section	.text._ZN2at6native12_GLOBAL__N_125multi_tensor_apply_kernelINS1_18TensorListMetadataILi4EEENS1_24PointwiseOpScalarFunctorIN3c107complexIfEELi4ELi3ELi3EEEJSt7dividesIS8_ES8_EEEvT_T0_DpT1_,"axG",@progbits,_ZN2at6native12_GLOBAL__N_125multi_tensor_apply_kernelINS1_18TensorListMetadataILi4EEENS1_24PointwiseOpScalarFunctorIN3c107complexIfEELi4ELi3ELi3EEEJSt7dividesIS8_ES8_EEEvT_T0_DpT1_,comdat
	.globl	_ZN2at6native12_GLOBAL__N_125multi_tensor_apply_kernelINS1_18TensorListMetadataILi4EEENS1_24PointwiseOpScalarFunctorIN3c107complexIfEELi4ELi3ELi3EEEJSt7dividesIS8_ES8_EEEvT_T0_DpT1_ ; -- Begin function _ZN2at6native12_GLOBAL__N_125multi_tensor_apply_kernelINS1_18TensorListMetadataILi4EEENS1_24PointwiseOpScalarFunctorIN3c107complexIfEELi4ELi3ELi3EEEJSt7dividesIS8_ES8_EEEvT_T0_DpT1_
	.p2align	8
	.type	_ZN2at6native12_GLOBAL__N_125multi_tensor_apply_kernelINS1_18TensorListMetadataILi4EEENS1_24PointwiseOpScalarFunctorIN3c107complexIfEELi4ELi3ELi3EEEJSt7dividesIS8_ES8_EEEvT_T0_DpT1_,@function
_ZN2at6native12_GLOBAL__N_125multi_tensor_apply_kernelINS1_18TensorListMetadataILi4EEENS1_24PointwiseOpScalarFunctorIN3c107complexIfEELi4ELi3ELi3EEEJSt7dividesIS8_ES8_EEEvT_T0_DpT1_: ; @_ZN2at6native12_GLOBAL__N_125multi_tensor_apply_kernelINS1_18TensorListMetadataILi4EEENS1_24PointwiseOpScalarFunctorIN3c107complexIfEELi4ELi3ELi3EEEJSt7dividesIS8_ES8_EEEvT_T0_DpT1_
; %bb.0:
	v_mov_b32_e32 v1, s6
	global_load_ubyte v1, v1, s[4:5] offset:1440
	s_add_u32 s0, s4, s6
	s_mul_hi_u32 s1, s6, 3
	s_mul_i32 s6, s6, 3
	s_addc_u32 s2, s5, 0
	s_add_u32 s0, s0, s6
	s_addc_u32 s1, s2, s1
	s_load_dword s0, s[0:1], 0x6e0
	s_mov_b32 s3, 0
	s_mov_b32 s7, s3
	s_waitcnt lgkmcnt(0)
	s_ashr_i32 s1, s0, 31
	s_lshl_b64 s[8:9], s[0:1], 19
	s_waitcnt vmcnt(0)
	v_readfirstlane_b32 s2, v1
	s_lshl_b32 s2, s2, 3
	s_load_dwordx2 s[10:11], s[4:5], s2 offset:0x0
	s_load_dwordx2 s[16:17], s[4:5], 0xbf0
	s_load_dwordx2 s[12:13], s[4:5], s2 offset:0x480
	s_load_dwordx2 s[14:15], s[4:5], s2 offset:0x120
	;; [unrolled: 1-line block ×4, first 2 shown]
	s_waitcnt lgkmcnt(0)
	s_add_u32 s33, s10, s8
	s_addc_u32 s34, s11, s9
	s_add_u32 s35, s14, s8
	s_addc_u32 s36, s15, s9
	s_and_b32 s2, s35, 31
	s_add_u32 s37, s18, s8
	s_addc_u32 s38, s19, s9
	s_add_u32 s39, s20, s8
	s_addc_u32 s40, s21, s9
	s_or_b32 s6, s39, s37
	s_and_b32 s6, s6, 31
	s_cmp_eq_u32 s6, 0
	s_cselect_b64 s[8:9], -1, 0
	s_and_b32 s6, s33, 31
	s_cmp_eq_u64 s[2:3], 0
	s_cselect_b64 s[10:11], -1, 0
	s_lshl_b64 s[0:1], s[0:1], 16
	s_and_b64 s[8:9], s[8:9], s[10:11]
	s_sub_u32 s18, s12, s0
	s_subb_u32 s19, s13, s1
	s_and_b32 s2, s12, 3
	s_or_b64 s[0:1], s[6:7], s[2:3]
	s_cmp_eq_u64 s[0:1], 0
	s_cselect_b64 s[0:1], -1, 0
	s_and_b64 s[2:3], s[8:9], s[0:1]
	s_mov_b64 s[0:1], -1
	s_and_b64 vcc, exec, s[2:3]
	s_cbranch_vccnz .LBB52_109
; %bb.1:
	v_cmp_lt_i64_e64 s[0:1], s[18:19], 1
	s_and_b64 vcc, exec, s[0:1]
	s_cbranch_vccnz .LBB52_108
; %bb.2:
	v_mov_b32_e32 v1, 0x10000
	s_load_dword s2, s[4:5], 0xc04
	v_mov_b32_e32 v2, 0
	v_cmp_lt_i64_e32 vcc, s[18:19], v[1:2]
	s_mov_b64 s[26:27], 0
	s_and_b64 s[0:1], vcc, exec
	v_cmp_lt_u64_e32 vcc, s[18:19], v[1:2]
	s_cselect_b32 s21, s19, 0
	s_cselect_b32 s20, s18, 0x10000
	s_waitcnt lgkmcnt(0)
	s_and_b32 s41, s2, 0xffff
	s_and_b64 s[0:1], vcc, exec
	s_cselect_b32 s23, s19, 0
	s_cselect_b32 s22, s18, 0x10000
	s_lshl_b32 s42, s41, 1
	s_and_b32 s2, s17, 0x7fffffff
	s_cmp_lg_u32 s2, 0
	v_cmp_neq_f32_e64 s[0:1], s16, 1.0
	s_cselect_b64 s[2:3], -1, 0
	s_mul_i32 s43, s41, 3
	s_or_b64 s[24:25], s[0:1], s[2:3]
	s_lshl_b32 s44, s41, 2
	s_branch .LBB52_4
.LBB52_3:                               ;   in Loop: Header=BB52_4 Depth=1
	s_or_b64 exec, exec, s[0:1]
	s_add_u32 s26, s26, s44
	v_mov_b32_e32 v1, s20
	s_addc_u32 s27, s27, 0
	v_mov_b32_e32 v2, s21
	v_cmp_ge_i64_e32 vcc, s[26:27], v[1:2]
	s_cbranch_vccnz .LBB52_108
.LBB52_4:                               ; =>This Inner Loop Header: Depth=1
	v_mov_b32_e32 v2, s27
	v_add_co_u32_e32 v1, vcc, s26, v0
	v_addc_co_u32_e32 v2, vcc, 0, v2, vcc
	v_cmp_gt_u64_e64 s[0:1], s[22:23], v[1:2]
	v_mov_b32_e32 v30, 0
	v_mov_b32_e32 v29, 0
	;; [unrolled: 1-line block ×4, first 2 shown]
	s_and_saveexec_b64 s[2:3], s[0:1]
	s_cbranch_execz .LBB52_6
; %bb.5:                                ;   in Loop: Header=BB52_4 Depth=1
	v_lshlrev_b64 v[5:6], 3, v[1:2]
	v_mov_b32_e32 v4, s34
	v_add_co_u32_e32 v3, vcc, s33, v5
	v_addc_co_u32_e32 v4, vcc, v4, v6, vcc
	v_mov_b32_e32 v7, s36
	v_add_co_u32_e32 v5, vcc, s35, v5
	v_addc_co_u32_e32 v6, vcc, v7, v6, vcc
	global_load_dwordx2 v[3:4], v[3:4], off
	s_nop 0
	global_load_dwordx2 v[29:30], v[5:6], off
.LBB52_6:                               ;   in Loop: Header=BB52_4 Depth=1
	s_or_b64 exec, exec, s[2:3]
	v_mov_b32_e32 v26, 0
	v_mov_b32_e32 v32, 0
	;; [unrolled: 1-line block ×3, first 2 shown]
	s_and_saveexec_b64 s[2:3], s[0:1]
	s_cbranch_execz .LBB52_8
; %bb.7:                                ;   in Loop: Header=BB52_4 Depth=1
	v_lshlrev_b64 v[5:6], 3, v[1:2]
	v_mov_b32_e32 v7, s38
	v_add_co_u32_e32 v5, vcc, s37, v5
	v_addc_co_u32_e32 v6, vcc, v7, v6, vcc
	global_load_dwordx2 v[31:32], v[5:6], off
.LBB52_8:                               ;   in Loop: Header=BB52_4 Depth=1
	s_or_b64 exec, exec, s[2:3]
	v_add_co_u32_e32 v5, vcc, s41, v1
	v_addc_co_u32_e32 v6, vcc, 0, v2, vcc
	v_cmp_gt_u64_e64 s[2:3], s[22:23], v[5:6]
	v_mov_b32_e32 v25, 0
	v_mov_b32_e32 v8, 0
	;; [unrolled: 1-line block ×3, first 2 shown]
	s_and_saveexec_b64 s[6:7], s[2:3]
	s_cbranch_execz .LBB52_10
; %bb.9:                                ;   in Loop: Header=BB52_4 Depth=1
	v_lshlrev_b64 v[9:10], 3, v[5:6]
	v_mov_b32_e32 v8, s34
	v_add_co_u32_e32 v7, vcc, s33, v9
	v_addc_co_u32_e32 v8, vcc, v8, v10, vcc
	v_mov_b32_e32 v11, s36
	v_add_co_u32_e32 v9, vcc, s35, v9
	v_addc_co_u32_e32 v10, vcc, v11, v10, vcc
	global_load_dwordx2 v[7:8], v[7:8], off
	s_nop 0
	global_load_dwordx2 v[25:26], v[9:10], off
.LBB52_10:                              ;   in Loop: Header=BB52_4 Depth=1
	s_or_b64 exec, exec, s[6:7]
	v_mov_b32_e32 v22, 0
	v_mov_b32_e32 v28, 0
	v_mov_b32_e32 v27, 0
	s_and_saveexec_b64 s[6:7], s[2:3]
	s_cbranch_execz .LBB52_12
; %bb.11:                               ;   in Loop: Header=BB52_4 Depth=1
	v_lshlrev_b64 v[9:10], 3, v[5:6]
	v_mov_b32_e32 v11, s38
	v_add_co_u32_e32 v9, vcc, s37, v9
	v_addc_co_u32_e32 v10, vcc, v11, v10, vcc
	global_load_dwordx2 v[27:28], v[9:10], off
.LBB52_12:                              ;   in Loop: Header=BB52_4 Depth=1
	s_or_b64 exec, exec, s[6:7]
	v_add_co_u32_e32 v9, vcc, s42, v1
	v_addc_co_u32_e32 v10, vcc, 0, v2, vcc
	v_cmp_gt_u64_e64 s[6:7], s[22:23], v[9:10]
	v_mov_b32_e32 v21, 0
	v_mov_b32_e32 v12, 0
	;; [unrolled: 1-line block ×3, first 2 shown]
	s_and_saveexec_b64 s[8:9], s[6:7]
	s_cbranch_execz .LBB52_14
; %bb.13:                               ;   in Loop: Header=BB52_4 Depth=1
	v_lshlrev_b64 v[13:14], 3, v[9:10]
	v_mov_b32_e32 v12, s34
	v_add_co_u32_e32 v11, vcc, s33, v13
	v_addc_co_u32_e32 v12, vcc, v12, v14, vcc
	v_mov_b32_e32 v15, s36
	v_add_co_u32_e32 v13, vcc, s35, v13
	v_addc_co_u32_e32 v14, vcc, v15, v14, vcc
	global_load_dwordx2 v[11:12], v[11:12], off
	s_nop 0
	global_load_dwordx2 v[21:22], v[13:14], off
.LBB52_14:                              ;   in Loop: Header=BB52_4 Depth=1
	s_or_b64 exec, exec, s[8:9]
	v_mov_b32_e32 v18, 0
	v_mov_b32_e32 v24, 0
	;; [unrolled: 1-line block ×3, first 2 shown]
	s_and_saveexec_b64 s[8:9], s[6:7]
	s_cbranch_execz .LBB52_16
; %bb.15:                               ;   in Loop: Header=BB52_4 Depth=1
	v_lshlrev_b64 v[13:14], 3, v[9:10]
	v_mov_b32_e32 v15, s38
	v_add_co_u32_e32 v13, vcc, s37, v13
	v_addc_co_u32_e32 v14, vcc, v15, v14, vcc
	global_load_dwordx2 v[23:24], v[13:14], off
.LBB52_16:                              ;   in Loop: Header=BB52_4 Depth=1
	s_or_b64 exec, exec, s[8:9]
	v_add_co_u32_e32 v13, vcc, s43, v1
	v_addc_co_u32_e32 v14, vcc, 0, v2, vcc
	v_cmp_gt_u64_e64 s[8:9], s[22:23], v[13:14]
	v_mov_b32_e32 v17, 0
	v_mov_b32_e32 v16, 0
	;; [unrolled: 1-line block ×3, first 2 shown]
	s_and_saveexec_b64 s[10:11], s[8:9]
	s_cbranch_execz .LBB52_18
; %bb.17:                               ;   in Loop: Header=BB52_4 Depth=1
	v_lshlrev_b64 v[17:18], 3, v[13:14]
	v_mov_b32_e32 v16, s34
	v_add_co_u32_e32 v15, vcc, s33, v17
	v_addc_co_u32_e32 v16, vcc, v16, v18, vcc
	v_mov_b32_e32 v19, s36
	v_add_co_u32_e32 v17, vcc, s35, v17
	v_addc_co_u32_e32 v18, vcc, v19, v18, vcc
	global_load_dwordx2 v[15:16], v[15:16], off
	s_nop 0
	global_load_dwordx2 v[17:18], v[17:18], off
.LBB52_18:                              ;   in Loop: Header=BB52_4 Depth=1
	s_or_b64 exec, exec, s[10:11]
	v_mov_b32_e32 v20, 0
	v_mov_b32_e32 v19, 0
	s_and_saveexec_b64 s[10:11], s[8:9]
	s_cbranch_execz .LBB52_20
; %bb.19:                               ;   in Loop: Header=BB52_4 Depth=1
	v_lshlrev_b64 v[19:20], 3, v[13:14]
	v_mov_b32_e32 v33, s38
	v_add_co_u32_e32 v19, vcc, s37, v19
	v_addc_co_u32_e32 v20, vcc, v33, v20, vcc
	global_load_dwordx2 v[19:20], v[19:20], off
.LBB52_20:                              ;   in Loop: Header=BB52_4 Depth=1
	s_or_b64 exec, exec, s[10:11]
	s_waitcnt vmcnt(0)
	v_cmp_gt_f32_e32 vcc, 0, v31
	v_cndmask_b32_e64 v35, v31, -v31, vcc
	v_cmp_gt_f32_e32 vcc, 0, v32
	v_cndmask_b32_e64 v36, v32, -v32, vcc
	v_cmp_ge_f32_e64 s[10:11], v35, v36
	s_mov_b64 s[12:13], -1
	s_and_b64 vcc, exec, s[24:25]
                                        ; implicit-def: $vgpr33
                                        ; implicit-def: $vgpr34
	s_cbranch_vccz .LBB52_30
; %bb.21:                               ;   in Loop: Header=BB52_4 Depth=1
                                        ; implicit-def: $vgpr33
                                        ; implicit-def: $vgpr37
	s_and_saveexec_b64 s[12:13], s[10:11]
	s_xor_b64 s[14:15], exec, s[12:13]
	s_cbranch_execz .LBB52_27
; %bb.22:                               ;   in Loop: Header=BB52_4 Depth=1
	v_cmp_neq_f32_e32 vcc, 0, v31
	v_cmp_neq_f32_e64 s[12:13], 0, v32
	s_or_b64 s[12:13], s[12:13], vcc
                                        ; implicit-def: $vgpr33
                                        ; implicit-def: $vgpr37
	s_and_saveexec_b64 s[28:29], s[12:13]
	s_xor_b64 s[12:13], exec, s[28:29]
	s_cbranch_execz .LBB52_24
; %bb.23:                               ;   in Loop: Header=BB52_4 Depth=1
	v_div_scale_f32 v33, s[28:29], v31, v31, v32
	v_div_scale_f32 v34, vcc, v32, v31, v32
	v_rcp_f32_e32 v37, v33
	v_fma_f32 v38, -v33, v37, 1.0
	v_fmac_f32_e32 v37, v38, v37
	v_mul_f32_e32 v38, v34, v37
	v_fma_f32 v39, -v33, v38, v34
	v_fmac_f32_e32 v38, v39, v37
	v_fma_f32 v33, -v33, v38, v34
	v_div_fmas_f32 v33, v33, v37, v38
	v_div_fixup_f32 v33, v33, v31, v32
	v_fma_f32 v34, v32, v33, v31
	v_div_scale_f32 v37, s[28:29], v34, v34, 1.0
	v_div_scale_f32 v38, vcc, 1.0, v34, 1.0
	v_rcp_f32_e32 v39, v37
	v_fma_f32 v40, -v37, v39, 1.0
	v_fmac_f32_e32 v39, v40, v39
	v_mul_f32_e32 v40, v38, v39
	v_fma_f32 v41, -v37, v40, v38
	v_fmac_f32_e32 v40, v41, v39
	v_fma_f32 v37, -v37, v40, v38
	v_div_fmas_f32 v37, v37, v39, v40
	v_fma_f32 v38, v30, v33, v29
	v_fma_f32 v33, -v29, v33, v30
	v_div_fixup_f32 v34, v37, v34, 1.0
	v_mul_f32_e32 v37, v38, v34
	v_mul_f32_e32 v33, v33, v34
.LBB52_24:                              ;   in Loop: Header=BB52_4 Depth=1
	s_andn2_saveexec_b64 s[28:29], s[12:13]
	s_cbranch_execz .LBB52_26
; %bb.25:                               ;   in Loop: Header=BB52_4 Depth=1
	v_div_scale_f32 v33, s[12:13], v35, v35, v29
	v_div_scale_f32 v34, s[12:13], v36, v36, v30
	v_div_scale_f32 v37, vcc, v29, v35, v29
	v_div_scale_f32 v38, s[12:13], v30, v36, v30
	v_rcp_f32_e32 v39, v33
	v_rcp_f32_e32 v40, v34
	v_fma_f32 v41, -v33, v39, 1.0
	v_fmac_f32_e32 v39, v41, v39
	v_fma_f32 v42, -v34, v40, 1.0
	v_fmac_f32_e32 v40, v42, v40
	v_mul_f32_e32 v41, v37, v39
	v_mul_f32_e32 v42, v38, v40
	v_fma_f32 v43, -v33, v41, v37
	v_fma_f32 v44, -v34, v42, v38
	v_fmac_f32_e32 v41, v43, v39
	v_fmac_f32_e32 v42, v44, v40
	v_fma_f32 v33, -v33, v41, v37
	v_fma_f32 v34, -v34, v42, v38
	v_div_fmas_f32 v33, v33, v39, v41
	s_mov_b64 vcc, s[12:13]
	v_div_fmas_f32 v34, v34, v40, v42
	v_div_fixup_f32 v37, v33, v35, v29
	v_div_fixup_f32 v33, v34, v36, v30
.LBB52_26:                              ;   in Loop: Header=BB52_4 Depth=1
	s_or_b64 exec, exec, s[28:29]
.LBB52_27:                              ;   in Loop: Header=BB52_4 Depth=1
	s_andn2_saveexec_b64 s[12:13], s[14:15]
	s_cbranch_execz .LBB52_29
; %bb.28:                               ;   in Loop: Header=BB52_4 Depth=1
	v_div_scale_f32 v33, s[14:15], v32, v32, v31
	v_div_scale_f32 v34, vcc, v31, v32, v31
	v_rcp_f32_e32 v37, v33
	v_fma_f32 v38, -v33, v37, 1.0
	v_fmac_f32_e32 v37, v38, v37
	v_mul_f32_e32 v38, v34, v37
	v_fma_f32 v39, -v33, v38, v34
	v_fmac_f32_e32 v38, v39, v37
	v_fma_f32 v33, -v33, v38, v34
	v_div_fmas_f32 v33, v33, v37, v38
	v_div_fixup_f32 v33, v33, v32, v31
	v_fma_f32 v34, v31, v33, v32
	v_div_scale_f32 v37, s[14:15], v34, v34, 1.0
	v_div_scale_f32 v38, vcc, 1.0, v34, 1.0
	v_rcp_f32_e32 v39, v37
	v_fma_f32 v40, -v37, v39, 1.0
	v_fmac_f32_e32 v39, v40, v39
	v_mul_f32_e32 v40, v38, v39
	v_fma_f32 v41, -v37, v40, v38
	v_fmac_f32_e32 v40, v41, v39
	v_fma_f32 v37, -v37, v40, v38
	v_div_fmas_f32 v37, v37, v39, v40
	v_fma_f32 v38, v29, v33, v30
	v_fma_f32 v33, v30, v33, -v29
	v_div_fixup_f32 v34, v37, v34, 1.0
	v_mul_f32_e32 v37, v38, v34
	v_mul_f32_e32 v33, v33, v34
.LBB52_29:                              ;   in Loop: Header=BB52_4 Depth=1
	s_or_b64 exec, exec, s[12:13]
	v_mul_f32_e32 v34, s17, v33
	v_mul_f32_e32 v33, s16, v33
	v_fma_f32 v34, v37, s16, -v34
	v_fmac_f32_e32 v33, s17, v37
	s_mov_b64 s[12:13], 0
.LBB52_30:                              ;   in Loop: Header=BB52_4 Depth=1
	s_and_b64 vcc, exec, s[12:13]
	s_cbranch_vccz .LBB52_40
; %bb.31:                               ;   in Loop: Header=BB52_4 Depth=1
                                        ; implicit-def: $vgpr33
                                        ; implicit-def: $vgpr34
	s_and_saveexec_b64 s[12:13], s[10:11]
	s_xor_b64 s[12:13], exec, s[12:13]
	s_cbranch_execz .LBB52_37
; %bb.32:                               ;   in Loop: Header=BB52_4 Depth=1
	v_cmp_neq_f32_e32 vcc, 0, v31
	v_cmp_neq_f32_e64 s[10:11], 0, v32
	s_or_b64 s[10:11], s[10:11], vcc
                                        ; implicit-def: $vgpr33
                                        ; implicit-def: $vgpr34
	s_and_saveexec_b64 s[14:15], s[10:11]
	s_xor_b64 s[10:11], exec, s[14:15]
	s_cbranch_execz .LBB52_34
; %bb.33:                               ;   in Loop: Header=BB52_4 Depth=1
	v_div_scale_f32 v33, s[14:15], v31, v31, v32
	v_div_scale_f32 v34, vcc, v32, v31, v32
	v_rcp_f32_e32 v35, v33
	v_fma_f32 v36, -v33, v35, 1.0
	v_fmac_f32_e32 v35, v36, v35
	v_mul_f32_e32 v36, v34, v35
	v_fma_f32 v37, -v33, v36, v34
	v_fmac_f32_e32 v36, v37, v35
	v_fma_f32 v33, -v33, v36, v34
	v_div_fmas_f32 v33, v33, v35, v36
	v_div_fixup_f32 v33, v33, v31, v32
	v_fmac_f32_e32 v31, v32, v33
	v_div_scale_f32 v32, s[14:15], v31, v31, 1.0
	v_div_scale_f32 v34, vcc, 1.0, v31, 1.0
	v_rcp_f32_e32 v35, v32
	v_fma_f32 v36, -v32, v35, 1.0
	v_fmac_f32_e32 v35, v36, v35
	v_mul_f32_e32 v36, v34, v35
	v_fma_f32 v37, -v32, v36, v34
	v_fmac_f32_e32 v36, v37, v35
	v_fma_f32 v32, -v32, v36, v34
	v_div_fmas_f32 v32, v32, v35, v36
	v_fma_f32 v34, v30, v33, v29
	v_fma_f32 v29, -v29, v33, v30
                                        ; implicit-def: $vgpr35
                                        ; implicit-def: $vgpr36
	v_div_fixup_f32 v30, v32, v31, 1.0
	v_mul_f32_e32 v34, v34, v30
	v_mul_f32_e32 v33, v29, v30
                                        ; implicit-def: $vgpr29
.LBB52_34:                              ;   in Loop: Header=BB52_4 Depth=1
	s_andn2_saveexec_b64 s[14:15], s[10:11]
	s_cbranch_execz .LBB52_36
; %bb.35:                               ;   in Loop: Header=BB52_4 Depth=1
	v_div_scale_f32 v31, s[10:11], v35, v35, v29
	v_div_scale_f32 v32, s[10:11], v36, v36, v30
	v_div_scale_f32 v33, vcc, v29, v35, v29
	v_div_scale_f32 v34, s[10:11], v30, v36, v30
	v_rcp_f32_e32 v37, v31
	v_rcp_f32_e32 v38, v32
	v_fma_f32 v39, -v31, v37, 1.0
	v_fmac_f32_e32 v37, v39, v37
	v_fma_f32 v40, -v32, v38, 1.0
	v_fmac_f32_e32 v38, v40, v38
	v_mul_f32_e32 v39, v33, v37
	v_mul_f32_e32 v40, v34, v38
	v_fma_f32 v41, -v31, v39, v33
	v_fma_f32 v42, -v32, v40, v34
	v_fmac_f32_e32 v39, v41, v37
	v_fmac_f32_e32 v40, v42, v38
	v_fma_f32 v31, -v31, v39, v33
	v_fma_f32 v32, -v32, v40, v34
	v_div_fmas_f32 v31, v31, v37, v39
	s_mov_b64 vcc, s[10:11]
	v_div_fmas_f32 v32, v32, v38, v40
	v_div_fixup_f32 v34, v31, v35, v29
	v_div_fixup_f32 v33, v32, v36, v30
.LBB52_36:                              ;   in Loop: Header=BB52_4 Depth=1
	s_or_b64 exec, exec, s[14:15]
                                        ; implicit-def: $vgpr32
                                        ; implicit-def: $vgpr29
.LBB52_37:                              ;   in Loop: Header=BB52_4 Depth=1
	s_andn2_saveexec_b64 s[10:11], s[12:13]
	s_cbranch_execz .LBB52_39
; %bb.38:                               ;   in Loop: Header=BB52_4 Depth=1
	v_div_scale_f32 v33, s[12:13], v32, v32, v31
	v_div_scale_f32 v34, vcc, v31, v32, v31
	v_rcp_f32_e32 v35, v33
	v_fma_f32 v36, -v33, v35, 1.0
	v_fmac_f32_e32 v35, v36, v35
	v_mul_f32_e32 v36, v34, v35
	v_fma_f32 v37, -v33, v36, v34
	v_fmac_f32_e32 v36, v37, v35
	v_fma_f32 v33, -v33, v36, v34
	v_div_fmas_f32 v33, v33, v35, v36
	v_div_fixup_f32 v33, v33, v32, v31
	v_fmac_f32_e32 v32, v31, v33
	v_div_scale_f32 v31, s[12:13], v32, v32, 1.0
	v_div_scale_f32 v34, vcc, 1.0, v32, 1.0
	v_rcp_f32_e32 v35, v31
	v_fma_f32 v36, -v31, v35, 1.0
	v_fmac_f32_e32 v35, v36, v35
	v_mul_f32_e32 v36, v34, v35
	v_fma_f32 v37, -v31, v36, v34
	v_fmac_f32_e32 v36, v37, v35
	v_fma_f32 v31, -v31, v36, v34
	v_div_fmas_f32 v31, v31, v35, v36
	v_fma_f32 v34, v29, v33, v30
	v_fma_f32 v29, v30, v33, -v29
	v_div_fixup_f32 v30, v31, v32, 1.0
	v_mul_f32_e32 v34, v34, v30
	v_mul_f32_e32 v33, v29, v30
.LBB52_39:                              ;   in Loop: Header=BB52_4 Depth=1
	s_or_b64 exec, exec, s[10:11]
.LBB52_40:                              ;   in Loop: Header=BB52_4 Depth=1
	v_cmp_gt_f32_e32 vcc, 0, v27
	v_cndmask_b32_e64 v31, v27, -v27, vcc
	v_cmp_gt_f32_e32 vcc, 0, v28
	v_cndmask_b32_e64 v32, v28, -v28, vcc
	v_cndmask_b32_e64 v29, 0, 1, s[24:25]
	v_cmp_ge_f32_e64 s[12:13], v31, v32
	v_cmp_ne_u32_e64 s[10:11], 1, v29
	s_andn2_b64 vcc, exec, s[24:25]
	s_mov_b64 s[14:15], -1
                                        ; implicit-def: $vgpr29
                                        ; implicit-def: $vgpr30
	s_cbranch_vccnz .LBB52_50
; %bb.41:                               ;   in Loop: Header=BB52_4 Depth=1
                                        ; implicit-def: $vgpr29
                                        ; implicit-def: $vgpr35
	s_and_saveexec_b64 s[14:15], s[12:13]
	s_xor_b64 s[28:29], exec, s[14:15]
	s_cbranch_execz .LBB52_47
; %bb.42:                               ;   in Loop: Header=BB52_4 Depth=1
	v_cmp_neq_f32_e32 vcc, 0, v27
	v_cmp_neq_f32_e64 s[14:15], 0, v28
	s_or_b64 s[14:15], s[14:15], vcc
                                        ; implicit-def: $vgpr29
                                        ; implicit-def: $vgpr35
	s_and_saveexec_b64 s[30:31], s[14:15]
	s_xor_b64 s[14:15], exec, s[30:31]
	s_cbranch_execz .LBB52_44
; %bb.43:                               ;   in Loop: Header=BB52_4 Depth=1
	v_div_scale_f32 v29, s[30:31], v27, v27, v28
	v_div_scale_f32 v30, vcc, v28, v27, v28
	v_rcp_f32_e32 v35, v29
	v_fma_f32 v36, -v29, v35, 1.0
	v_fmac_f32_e32 v35, v36, v35
	v_mul_f32_e32 v36, v30, v35
	v_fma_f32 v37, -v29, v36, v30
	v_fmac_f32_e32 v36, v37, v35
	v_fma_f32 v29, -v29, v36, v30
	v_div_fmas_f32 v29, v29, v35, v36
	v_div_fixup_f32 v29, v29, v27, v28
	v_fma_f32 v30, v28, v29, v27
	v_div_scale_f32 v35, s[30:31], v30, v30, 1.0
	v_div_scale_f32 v36, vcc, 1.0, v30, 1.0
	v_rcp_f32_e32 v37, v35
	v_fma_f32 v38, -v35, v37, 1.0
	v_fmac_f32_e32 v37, v38, v37
	v_mul_f32_e32 v38, v36, v37
	v_fma_f32 v39, -v35, v38, v36
	v_fmac_f32_e32 v38, v39, v37
	v_fma_f32 v35, -v35, v38, v36
	v_div_fmas_f32 v35, v35, v37, v38
	v_fma_f32 v36, v26, v29, v25
	v_fma_f32 v29, -v25, v29, v26
	v_div_fixup_f32 v30, v35, v30, 1.0
	v_mul_f32_e32 v35, v36, v30
	v_mul_f32_e32 v29, v29, v30
.LBB52_44:                              ;   in Loop: Header=BB52_4 Depth=1
	s_andn2_saveexec_b64 s[30:31], s[14:15]
	s_cbranch_execz .LBB52_46
; %bb.45:                               ;   in Loop: Header=BB52_4 Depth=1
	v_div_scale_f32 v29, s[14:15], v31, v31, v25
	v_div_scale_f32 v30, s[14:15], v32, v32, v26
	v_div_scale_f32 v35, vcc, v25, v31, v25
	v_div_scale_f32 v36, s[14:15], v26, v32, v26
	v_rcp_f32_e32 v37, v29
	v_rcp_f32_e32 v38, v30
	v_fma_f32 v39, -v29, v37, 1.0
	v_fmac_f32_e32 v37, v39, v37
	v_fma_f32 v40, -v30, v38, 1.0
	v_fmac_f32_e32 v38, v40, v38
	v_mul_f32_e32 v39, v35, v37
	v_mul_f32_e32 v40, v36, v38
	v_fma_f32 v41, -v29, v39, v35
	v_fma_f32 v42, -v30, v40, v36
	v_fmac_f32_e32 v39, v41, v37
	v_fmac_f32_e32 v40, v42, v38
	v_fma_f32 v29, -v29, v39, v35
	v_fma_f32 v30, -v30, v40, v36
	v_div_fmas_f32 v29, v29, v37, v39
	s_mov_b64 vcc, s[14:15]
	v_div_fmas_f32 v30, v30, v38, v40
	v_div_fixup_f32 v35, v29, v31, v25
	v_div_fixup_f32 v29, v30, v32, v26
.LBB52_46:                              ;   in Loop: Header=BB52_4 Depth=1
	s_or_b64 exec, exec, s[30:31]
.LBB52_47:                              ;   in Loop: Header=BB52_4 Depth=1
	s_andn2_saveexec_b64 s[14:15], s[28:29]
	s_cbranch_execz .LBB52_49
; %bb.48:                               ;   in Loop: Header=BB52_4 Depth=1
	v_div_scale_f32 v29, s[28:29], v28, v28, v27
	v_div_scale_f32 v30, vcc, v27, v28, v27
	v_rcp_f32_e32 v35, v29
	v_fma_f32 v36, -v29, v35, 1.0
	v_fmac_f32_e32 v35, v36, v35
	v_mul_f32_e32 v36, v30, v35
	v_fma_f32 v37, -v29, v36, v30
	v_fmac_f32_e32 v36, v37, v35
	v_fma_f32 v29, -v29, v36, v30
	v_div_fmas_f32 v29, v29, v35, v36
	v_div_fixup_f32 v29, v29, v28, v27
	v_fma_f32 v30, v27, v29, v28
	v_div_scale_f32 v35, s[28:29], v30, v30, 1.0
	v_div_scale_f32 v36, vcc, 1.0, v30, 1.0
	v_rcp_f32_e32 v37, v35
	v_fma_f32 v38, -v35, v37, 1.0
	v_fmac_f32_e32 v37, v38, v37
	v_mul_f32_e32 v38, v36, v37
	v_fma_f32 v39, -v35, v38, v36
	v_fmac_f32_e32 v38, v39, v37
	v_fma_f32 v35, -v35, v38, v36
	v_div_fmas_f32 v35, v35, v37, v38
	v_fma_f32 v36, v25, v29, v26
	v_fma_f32 v29, v26, v29, -v25
	v_div_fixup_f32 v30, v35, v30, 1.0
	v_mul_f32_e32 v35, v36, v30
	v_mul_f32_e32 v29, v29, v30
.LBB52_49:                              ;   in Loop: Header=BB52_4 Depth=1
	s_or_b64 exec, exec, s[14:15]
	v_mul_f32_e32 v30, s17, v29
	v_mul_f32_e32 v29, s16, v29
	v_fma_f32 v30, v35, s16, -v30
	v_fmac_f32_e32 v29, s17, v35
	s_mov_b64 s[14:15], 0
.LBB52_50:                              ;   in Loop: Header=BB52_4 Depth=1
	s_and_b64 vcc, exec, s[14:15]
	s_cbranch_vccz .LBB52_60
; %bb.51:                               ;   in Loop: Header=BB52_4 Depth=1
                                        ; implicit-def: $vgpr29
                                        ; implicit-def: $vgpr30
	s_and_saveexec_b64 s[14:15], s[12:13]
	s_xor_b64 s[14:15], exec, s[14:15]
	s_cbranch_execz .LBB52_57
; %bb.52:                               ;   in Loop: Header=BB52_4 Depth=1
	v_cmp_neq_f32_e32 vcc, 0, v27
	v_cmp_neq_f32_e64 s[12:13], 0, v28
	s_or_b64 s[12:13], s[12:13], vcc
                                        ; implicit-def: $vgpr29
                                        ; implicit-def: $vgpr30
	s_and_saveexec_b64 s[28:29], s[12:13]
	s_xor_b64 s[12:13], exec, s[28:29]
	s_cbranch_execz .LBB52_54
; %bb.53:                               ;   in Loop: Header=BB52_4 Depth=1
	v_div_scale_f32 v29, s[28:29], v27, v27, v28
	v_div_scale_f32 v30, vcc, v28, v27, v28
	v_rcp_f32_e32 v31, v29
	v_fma_f32 v32, -v29, v31, 1.0
	v_fmac_f32_e32 v31, v32, v31
	v_mul_f32_e32 v32, v30, v31
	v_fma_f32 v35, -v29, v32, v30
	v_fmac_f32_e32 v32, v35, v31
	v_fma_f32 v29, -v29, v32, v30
	v_div_fmas_f32 v29, v29, v31, v32
	v_div_fixup_f32 v29, v29, v27, v28
	v_fmac_f32_e32 v27, v28, v29
	v_div_scale_f32 v28, s[28:29], v27, v27, 1.0
	v_div_scale_f32 v30, vcc, 1.0, v27, 1.0
	v_rcp_f32_e32 v31, v28
	v_fma_f32 v32, -v28, v31, 1.0
	v_fmac_f32_e32 v31, v32, v31
	v_mul_f32_e32 v32, v30, v31
	v_fma_f32 v35, -v28, v32, v30
	v_fmac_f32_e32 v32, v35, v31
	v_fma_f32 v28, -v28, v32, v30
	v_div_fmas_f32 v28, v28, v31, v32
	v_fma_f32 v30, v26, v29, v25
	v_fma_f32 v25, -v25, v29, v26
                                        ; implicit-def: $vgpr31
                                        ; implicit-def: $vgpr32
	v_div_fixup_f32 v26, v28, v27, 1.0
	v_mul_f32_e32 v30, v30, v26
	v_mul_f32_e32 v29, v25, v26
                                        ; implicit-def: $vgpr25
.LBB52_54:                              ;   in Loop: Header=BB52_4 Depth=1
	s_andn2_saveexec_b64 s[28:29], s[12:13]
	s_cbranch_execz .LBB52_56
; %bb.55:                               ;   in Loop: Header=BB52_4 Depth=1
	v_div_scale_f32 v27, s[12:13], v31, v31, v25
	v_div_scale_f32 v28, s[12:13], v32, v32, v26
	v_div_scale_f32 v29, vcc, v25, v31, v25
	v_div_scale_f32 v30, s[12:13], v26, v32, v26
	v_rcp_f32_e32 v35, v27
	v_rcp_f32_e32 v36, v28
	v_fma_f32 v37, -v27, v35, 1.0
	v_fmac_f32_e32 v35, v37, v35
	v_fma_f32 v38, -v28, v36, 1.0
	v_fmac_f32_e32 v36, v38, v36
	v_mul_f32_e32 v37, v29, v35
	v_mul_f32_e32 v38, v30, v36
	v_fma_f32 v39, -v27, v37, v29
	v_fma_f32 v40, -v28, v38, v30
	v_fmac_f32_e32 v37, v39, v35
	v_fmac_f32_e32 v38, v40, v36
	v_fma_f32 v27, -v27, v37, v29
	v_fma_f32 v28, -v28, v38, v30
	v_div_fmas_f32 v27, v27, v35, v37
	s_mov_b64 vcc, s[12:13]
	v_div_fmas_f32 v28, v28, v36, v38
	v_div_fixup_f32 v30, v27, v31, v25
	v_div_fixup_f32 v29, v28, v32, v26
.LBB52_56:                              ;   in Loop: Header=BB52_4 Depth=1
	s_or_b64 exec, exec, s[28:29]
                                        ; implicit-def: $vgpr28
                                        ; implicit-def: $vgpr25
.LBB52_57:                              ;   in Loop: Header=BB52_4 Depth=1
	s_andn2_saveexec_b64 s[12:13], s[14:15]
	s_cbranch_execz .LBB52_59
; %bb.58:                               ;   in Loop: Header=BB52_4 Depth=1
	v_div_scale_f32 v29, s[14:15], v28, v28, v27
	v_div_scale_f32 v30, vcc, v27, v28, v27
	v_rcp_f32_e32 v31, v29
	v_fma_f32 v32, -v29, v31, 1.0
	v_fmac_f32_e32 v31, v32, v31
	v_mul_f32_e32 v32, v30, v31
	v_fma_f32 v35, -v29, v32, v30
	v_fmac_f32_e32 v32, v35, v31
	v_fma_f32 v29, -v29, v32, v30
	v_div_fmas_f32 v29, v29, v31, v32
	v_div_fixup_f32 v29, v29, v28, v27
	v_fmac_f32_e32 v28, v27, v29
	v_div_scale_f32 v27, s[14:15], v28, v28, 1.0
	v_div_scale_f32 v30, vcc, 1.0, v28, 1.0
	v_rcp_f32_e32 v31, v27
	v_fma_f32 v32, -v27, v31, 1.0
	v_fmac_f32_e32 v31, v32, v31
	v_mul_f32_e32 v32, v30, v31
	v_fma_f32 v35, -v27, v32, v30
	v_fmac_f32_e32 v32, v35, v31
	v_fma_f32 v27, -v27, v32, v30
	v_div_fmas_f32 v27, v27, v31, v32
	v_fma_f32 v30, v25, v29, v26
	v_fma_f32 v25, v26, v29, -v25
	v_div_fixup_f32 v26, v27, v28, 1.0
	v_mul_f32_e32 v30, v30, v26
	v_mul_f32_e32 v29, v25, v26
.LBB52_59:                              ;   in Loop: Header=BB52_4 Depth=1
	s_or_b64 exec, exec, s[12:13]
.LBB52_60:                              ;   in Loop: Header=BB52_4 Depth=1
	v_cmp_gt_f32_e32 vcc, 0, v23
	v_cndmask_b32_e64 v27, v23, -v23, vcc
	v_cmp_gt_f32_e32 vcc, 0, v24
	v_cndmask_b32_e64 v28, v24, -v24, vcc
	v_cmp_ge_f32_e64 s[12:13], v27, v28
	s_and_b64 vcc, exec, s[10:11]
	s_mov_b64 s[14:15], -1
                                        ; implicit-def: $vgpr25
                                        ; implicit-def: $vgpr26
	s_cbranch_vccnz .LBB52_70
; %bb.61:                               ;   in Loop: Header=BB52_4 Depth=1
                                        ; implicit-def: $vgpr25
                                        ; implicit-def: $vgpr31
	s_and_saveexec_b64 s[14:15], s[12:13]
	s_xor_b64 s[28:29], exec, s[14:15]
	s_cbranch_execz .LBB52_67
; %bb.62:                               ;   in Loop: Header=BB52_4 Depth=1
	v_cmp_neq_f32_e32 vcc, 0, v23
	v_cmp_neq_f32_e64 s[14:15], 0, v24
	s_or_b64 s[14:15], s[14:15], vcc
                                        ; implicit-def: $vgpr25
                                        ; implicit-def: $vgpr31
	s_and_saveexec_b64 s[30:31], s[14:15]
	s_xor_b64 s[14:15], exec, s[30:31]
	s_cbranch_execz .LBB52_64
; %bb.63:                               ;   in Loop: Header=BB52_4 Depth=1
	v_div_scale_f32 v25, s[30:31], v23, v23, v24
	v_div_scale_f32 v26, vcc, v24, v23, v24
	v_rcp_f32_e32 v31, v25
	v_fma_f32 v32, -v25, v31, 1.0
	v_fmac_f32_e32 v31, v32, v31
	v_mul_f32_e32 v32, v26, v31
	v_fma_f32 v35, -v25, v32, v26
	v_fmac_f32_e32 v32, v35, v31
	v_fma_f32 v25, -v25, v32, v26
	v_div_fmas_f32 v25, v25, v31, v32
	v_div_fixup_f32 v25, v25, v23, v24
	v_fma_f32 v26, v24, v25, v23
	v_div_scale_f32 v31, s[30:31], v26, v26, 1.0
	v_div_scale_f32 v32, vcc, 1.0, v26, 1.0
	v_rcp_f32_e32 v35, v31
	v_fma_f32 v36, -v31, v35, 1.0
	v_fmac_f32_e32 v35, v36, v35
	v_mul_f32_e32 v36, v32, v35
	v_fma_f32 v37, -v31, v36, v32
	v_fmac_f32_e32 v36, v37, v35
	v_fma_f32 v31, -v31, v36, v32
	v_div_fmas_f32 v31, v31, v35, v36
	v_fma_f32 v32, v22, v25, v21
	v_fma_f32 v25, -v21, v25, v22
	v_div_fixup_f32 v26, v31, v26, 1.0
	v_mul_f32_e32 v31, v32, v26
	v_mul_f32_e32 v25, v25, v26
.LBB52_64:                              ;   in Loop: Header=BB52_4 Depth=1
	s_andn2_saveexec_b64 s[30:31], s[14:15]
	s_cbranch_execz .LBB52_66
; %bb.65:                               ;   in Loop: Header=BB52_4 Depth=1
	v_div_scale_f32 v25, s[14:15], v27, v27, v21
	v_div_scale_f32 v26, s[14:15], v28, v28, v22
	v_div_scale_f32 v31, vcc, v21, v27, v21
	v_div_scale_f32 v32, s[14:15], v22, v28, v22
	v_rcp_f32_e32 v35, v25
	v_rcp_f32_e32 v36, v26
	v_fma_f32 v37, -v25, v35, 1.0
	v_fmac_f32_e32 v35, v37, v35
	v_fma_f32 v38, -v26, v36, 1.0
	v_fmac_f32_e32 v36, v38, v36
	v_mul_f32_e32 v37, v31, v35
	v_mul_f32_e32 v38, v32, v36
	v_fma_f32 v39, -v25, v37, v31
	v_fma_f32 v40, -v26, v38, v32
	v_fmac_f32_e32 v37, v39, v35
	v_fmac_f32_e32 v38, v40, v36
	v_fma_f32 v25, -v25, v37, v31
	v_fma_f32 v26, -v26, v38, v32
	v_div_fmas_f32 v25, v25, v35, v37
	s_mov_b64 vcc, s[14:15]
	v_div_fmas_f32 v26, v26, v36, v38
	v_div_fixup_f32 v31, v25, v27, v21
	v_div_fixup_f32 v25, v26, v28, v22
.LBB52_66:                              ;   in Loop: Header=BB52_4 Depth=1
	s_or_b64 exec, exec, s[30:31]
.LBB52_67:                              ;   in Loop: Header=BB52_4 Depth=1
	s_andn2_saveexec_b64 s[14:15], s[28:29]
	s_cbranch_execz .LBB52_69
; %bb.68:                               ;   in Loop: Header=BB52_4 Depth=1
	v_div_scale_f32 v25, s[28:29], v24, v24, v23
	v_div_scale_f32 v26, vcc, v23, v24, v23
	v_rcp_f32_e32 v31, v25
	v_fma_f32 v32, -v25, v31, 1.0
	v_fmac_f32_e32 v31, v32, v31
	v_mul_f32_e32 v32, v26, v31
	v_fma_f32 v35, -v25, v32, v26
	v_fmac_f32_e32 v32, v35, v31
	v_fma_f32 v25, -v25, v32, v26
	v_div_fmas_f32 v25, v25, v31, v32
	v_div_fixup_f32 v25, v25, v24, v23
	v_fma_f32 v26, v23, v25, v24
	v_div_scale_f32 v31, s[28:29], v26, v26, 1.0
	v_div_scale_f32 v32, vcc, 1.0, v26, 1.0
	v_rcp_f32_e32 v35, v31
	v_fma_f32 v36, -v31, v35, 1.0
	v_fmac_f32_e32 v35, v36, v35
	v_mul_f32_e32 v36, v32, v35
	v_fma_f32 v37, -v31, v36, v32
	v_fmac_f32_e32 v36, v37, v35
	v_fma_f32 v31, -v31, v36, v32
	v_div_fmas_f32 v31, v31, v35, v36
	v_fma_f32 v32, v21, v25, v22
	v_fma_f32 v25, v22, v25, -v21
	v_div_fixup_f32 v26, v31, v26, 1.0
	v_mul_f32_e32 v31, v32, v26
	v_mul_f32_e32 v25, v25, v26
.LBB52_69:                              ;   in Loop: Header=BB52_4 Depth=1
	s_or_b64 exec, exec, s[14:15]
	v_mul_f32_e32 v26, s17, v25
	v_mul_f32_e32 v25, s16, v25
	v_fma_f32 v26, v31, s16, -v26
	v_fmac_f32_e32 v25, s17, v31
	s_mov_b64 s[14:15], 0
.LBB52_70:                              ;   in Loop: Header=BB52_4 Depth=1
	s_and_b64 vcc, exec, s[14:15]
	s_cbranch_vccz .LBB52_80
; %bb.71:                               ;   in Loop: Header=BB52_4 Depth=1
                                        ; implicit-def: $vgpr25
                                        ; implicit-def: $vgpr26
	s_and_saveexec_b64 s[14:15], s[12:13]
	s_xor_b64 s[14:15], exec, s[14:15]
	s_cbranch_execz .LBB52_77
; %bb.72:                               ;   in Loop: Header=BB52_4 Depth=1
	v_cmp_neq_f32_e32 vcc, 0, v23
	v_cmp_neq_f32_e64 s[12:13], 0, v24
	s_or_b64 s[12:13], s[12:13], vcc
                                        ; implicit-def: $vgpr25
                                        ; implicit-def: $vgpr26
	s_and_saveexec_b64 s[28:29], s[12:13]
	s_xor_b64 s[12:13], exec, s[28:29]
	s_cbranch_execz .LBB52_74
; %bb.73:                               ;   in Loop: Header=BB52_4 Depth=1
	v_div_scale_f32 v25, s[28:29], v23, v23, v24
	v_div_scale_f32 v26, vcc, v24, v23, v24
	v_rcp_f32_e32 v27, v25
	v_fma_f32 v28, -v25, v27, 1.0
	v_fmac_f32_e32 v27, v28, v27
	v_mul_f32_e32 v28, v26, v27
	v_fma_f32 v31, -v25, v28, v26
	v_fmac_f32_e32 v28, v31, v27
	v_fma_f32 v25, -v25, v28, v26
	v_div_fmas_f32 v25, v25, v27, v28
	v_div_fixup_f32 v25, v25, v23, v24
	v_fmac_f32_e32 v23, v24, v25
	v_div_scale_f32 v24, s[28:29], v23, v23, 1.0
	v_div_scale_f32 v26, vcc, 1.0, v23, 1.0
	v_rcp_f32_e32 v27, v24
	v_fma_f32 v28, -v24, v27, 1.0
	v_fmac_f32_e32 v27, v28, v27
	v_mul_f32_e32 v28, v26, v27
	v_fma_f32 v31, -v24, v28, v26
	v_fmac_f32_e32 v28, v31, v27
	v_fma_f32 v24, -v24, v28, v26
	v_div_fmas_f32 v24, v24, v27, v28
	v_fma_f32 v26, v22, v25, v21
	v_fma_f32 v21, -v21, v25, v22
                                        ; implicit-def: $vgpr27
                                        ; implicit-def: $vgpr28
	v_div_fixup_f32 v22, v24, v23, 1.0
	v_mul_f32_e32 v26, v26, v22
	v_mul_f32_e32 v25, v21, v22
                                        ; implicit-def: $vgpr21
.LBB52_74:                              ;   in Loop: Header=BB52_4 Depth=1
	s_andn2_saveexec_b64 s[28:29], s[12:13]
	s_cbranch_execz .LBB52_76
; %bb.75:                               ;   in Loop: Header=BB52_4 Depth=1
	v_div_scale_f32 v23, s[12:13], v27, v27, v21
	v_div_scale_f32 v24, s[12:13], v28, v28, v22
	v_div_scale_f32 v25, vcc, v21, v27, v21
	v_div_scale_f32 v26, s[12:13], v22, v28, v22
	v_rcp_f32_e32 v31, v23
	v_rcp_f32_e32 v32, v24
	v_fma_f32 v35, -v23, v31, 1.0
	v_fmac_f32_e32 v31, v35, v31
	v_fma_f32 v36, -v24, v32, 1.0
	v_fmac_f32_e32 v32, v36, v32
	v_mul_f32_e32 v35, v25, v31
	v_mul_f32_e32 v36, v26, v32
	v_fma_f32 v37, -v23, v35, v25
	v_fma_f32 v38, -v24, v36, v26
	v_fmac_f32_e32 v35, v37, v31
	v_fmac_f32_e32 v36, v38, v32
	v_fma_f32 v23, -v23, v35, v25
	v_fma_f32 v24, -v24, v36, v26
	v_div_fmas_f32 v23, v23, v31, v35
	s_mov_b64 vcc, s[12:13]
	v_div_fmas_f32 v24, v24, v32, v36
	v_div_fixup_f32 v26, v23, v27, v21
	v_div_fixup_f32 v25, v24, v28, v22
.LBB52_76:                              ;   in Loop: Header=BB52_4 Depth=1
	s_or_b64 exec, exec, s[28:29]
                                        ; implicit-def: $vgpr24
                                        ; implicit-def: $vgpr21
.LBB52_77:                              ;   in Loop: Header=BB52_4 Depth=1
	s_andn2_saveexec_b64 s[12:13], s[14:15]
	s_cbranch_execz .LBB52_79
; %bb.78:                               ;   in Loop: Header=BB52_4 Depth=1
	v_div_scale_f32 v25, s[14:15], v24, v24, v23
	v_div_scale_f32 v26, vcc, v23, v24, v23
	v_rcp_f32_e32 v27, v25
	v_fma_f32 v28, -v25, v27, 1.0
	v_fmac_f32_e32 v27, v28, v27
	v_mul_f32_e32 v28, v26, v27
	v_fma_f32 v31, -v25, v28, v26
	v_fmac_f32_e32 v28, v31, v27
	v_fma_f32 v25, -v25, v28, v26
	v_div_fmas_f32 v25, v25, v27, v28
	v_div_fixup_f32 v25, v25, v24, v23
	v_fmac_f32_e32 v24, v23, v25
	v_div_scale_f32 v23, s[14:15], v24, v24, 1.0
	v_div_scale_f32 v26, vcc, 1.0, v24, 1.0
	v_rcp_f32_e32 v27, v23
	v_fma_f32 v28, -v23, v27, 1.0
	v_fmac_f32_e32 v27, v28, v27
	v_mul_f32_e32 v28, v26, v27
	v_fma_f32 v31, -v23, v28, v26
	v_fmac_f32_e32 v28, v31, v27
	v_fma_f32 v23, -v23, v28, v26
	v_div_fmas_f32 v23, v23, v27, v28
	v_fma_f32 v26, v21, v25, v22
	v_fma_f32 v21, v22, v25, -v21
	v_div_fixup_f32 v22, v23, v24, 1.0
	v_mul_f32_e32 v26, v26, v22
	v_mul_f32_e32 v25, v21, v22
.LBB52_79:                              ;   in Loop: Header=BB52_4 Depth=1
	s_or_b64 exec, exec, s[12:13]
.LBB52_80:                              ;   in Loop: Header=BB52_4 Depth=1
	v_cmp_gt_f32_e32 vcc, 0, v19
	v_cndmask_b32_e64 v21, v19, -v19, vcc
	v_cmp_gt_f32_e32 vcc, 0, v20
	v_cndmask_b32_e64 v22, v20, -v20, vcc
	v_cmp_ge_f32_e64 s[12:13], v21, v22
	s_and_b64 vcc, exec, s[10:11]
	s_mov_b64 s[10:11], -1
                                        ; implicit-def: $vgpr23
                                        ; implicit-def: $vgpr24
	s_cbranch_vccz .LBB52_86
; %bb.81:                               ;   in Loop: Header=BB52_4 Depth=1
	s_and_b64 vcc, exec, s[10:11]
	s_cbranch_vccnz .LBB52_95
.LBB52_82:                              ;   in Loop: Header=BB52_4 Depth=1
	s_and_saveexec_b64 s[10:11], s[0:1]
	s_xor_b64 s[0:1], exec, s[10:11]
	s_cbranch_execnz .LBB52_104
.LBB52_83:                              ;   in Loop: Header=BB52_4 Depth=1
	s_or_b64 exec, exec, s[0:1]
	s_and_saveexec_b64 s[0:1], s[2:3]
	s_cbranch_execnz .LBB52_105
.LBB52_84:                              ;   in Loop: Header=BB52_4 Depth=1
	s_or_b64 exec, exec, s[0:1]
	s_and_saveexec_b64 s[0:1], s[6:7]
	s_cbranch_execnz .LBB52_106
.LBB52_85:                              ;   in Loop: Header=BB52_4 Depth=1
	s_or_b64 exec, exec, s[0:1]
	s_and_saveexec_b64 s[0:1], s[8:9]
	s_cbranch_execz .LBB52_3
	s_branch .LBB52_107
.LBB52_86:                              ;   in Loop: Header=BB52_4 Depth=1
                                        ; implicit-def: $vgpr23
                                        ; implicit-def: $vgpr27
	s_and_saveexec_b64 s[10:11], s[12:13]
	s_xor_b64 s[14:15], exec, s[10:11]
	s_cbranch_execz .LBB52_92
; %bb.87:                               ;   in Loop: Header=BB52_4 Depth=1
	v_cmp_neq_f32_e32 vcc, 0, v19
	v_cmp_neq_f32_e64 s[10:11], 0, v20
	s_or_b64 s[10:11], s[10:11], vcc
                                        ; implicit-def: $vgpr23
                                        ; implicit-def: $vgpr27
	s_and_saveexec_b64 s[28:29], s[10:11]
	s_xor_b64 s[10:11], exec, s[28:29]
	s_cbranch_execz .LBB52_89
; %bb.88:                               ;   in Loop: Header=BB52_4 Depth=1
	v_div_scale_f32 v23, s[28:29], v19, v19, v20
	v_div_scale_f32 v24, vcc, v20, v19, v20
	v_rcp_f32_e32 v27, v23
	v_fma_f32 v28, -v23, v27, 1.0
	v_fmac_f32_e32 v27, v28, v27
	v_mul_f32_e32 v28, v24, v27
	v_fma_f32 v31, -v23, v28, v24
	v_fmac_f32_e32 v28, v31, v27
	v_fma_f32 v23, -v23, v28, v24
	v_div_fmas_f32 v23, v23, v27, v28
	v_div_fixup_f32 v23, v23, v19, v20
	v_fma_f32 v24, v20, v23, v19
	v_div_scale_f32 v27, s[28:29], v24, v24, 1.0
	v_div_scale_f32 v28, vcc, 1.0, v24, 1.0
	v_rcp_f32_e32 v31, v27
	v_fma_f32 v32, -v27, v31, 1.0
	v_fmac_f32_e32 v31, v32, v31
	v_mul_f32_e32 v32, v28, v31
	v_fma_f32 v35, -v27, v32, v28
	v_fmac_f32_e32 v32, v35, v31
	v_fma_f32 v27, -v27, v32, v28
	v_div_fmas_f32 v27, v27, v31, v32
	v_fma_f32 v28, v18, v23, v17
	v_fma_f32 v23, -v17, v23, v18
	v_div_fixup_f32 v24, v27, v24, 1.0
	v_mul_f32_e32 v27, v28, v24
	v_mul_f32_e32 v23, v23, v24
.LBB52_89:                              ;   in Loop: Header=BB52_4 Depth=1
	s_andn2_saveexec_b64 s[28:29], s[10:11]
	s_cbranch_execz .LBB52_91
; %bb.90:                               ;   in Loop: Header=BB52_4 Depth=1
	v_div_scale_f32 v23, s[10:11], v21, v21, v17
	v_div_scale_f32 v24, s[10:11], v22, v22, v18
	v_div_scale_f32 v27, vcc, v17, v21, v17
	v_div_scale_f32 v28, s[10:11], v18, v22, v18
	v_rcp_f32_e32 v31, v23
	v_rcp_f32_e32 v32, v24
	v_fma_f32 v35, -v23, v31, 1.0
	v_fmac_f32_e32 v31, v35, v31
	v_fma_f32 v36, -v24, v32, 1.0
	v_fmac_f32_e32 v32, v36, v32
	v_mul_f32_e32 v35, v27, v31
	v_mul_f32_e32 v36, v28, v32
	v_fma_f32 v37, -v23, v35, v27
	v_fma_f32 v38, -v24, v36, v28
	v_fmac_f32_e32 v35, v37, v31
	v_fmac_f32_e32 v36, v38, v32
	v_fma_f32 v23, -v23, v35, v27
	v_fma_f32 v24, -v24, v36, v28
	v_div_fmas_f32 v23, v23, v31, v35
	s_mov_b64 vcc, s[10:11]
	v_div_fmas_f32 v24, v24, v32, v36
	v_div_fixup_f32 v27, v23, v21, v17
	v_div_fixup_f32 v23, v24, v22, v18
.LBB52_91:                              ;   in Loop: Header=BB52_4 Depth=1
	s_or_b64 exec, exec, s[28:29]
.LBB52_92:                              ;   in Loop: Header=BB52_4 Depth=1
	s_andn2_saveexec_b64 s[10:11], s[14:15]
	s_cbranch_execz .LBB52_94
; %bb.93:                               ;   in Loop: Header=BB52_4 Depth=1
	v_div_scale_f32 v23, s[14:15], v20, v20, v19
	v_div_scale_f32 v24, vcc, v19, v20, v19
	v_rcp_f32_e32 v27, v23
	v_fma_f32 v28, -v23, v27, 1.0
	v_fmac_f32_e32 v27, v28, v27
	v_mul_f32_e32 v28, v24, v27
	v_fma_f32 v31, -v23, v28, v24
	v_fmac_f32_e32 v28, v31, v27
	v_fma_f32 v23, -v23, v28, v24
	v_div_fmas_f32 v23, v23, v27, v28
	v_div_fixup_f32 v23, v23, v20, v19
	v_fma_f32 v24, v19, v23, v20
	v_div_scale_f32 v27, s[14:15], v24, v24, 1.0
	v_div_scale_f32 v28, vcc, 1.0, v24, 1.0
	v_rcp_f32_e32 v31, v27
	v_fma_f32 v32, -v27, v31, 1.0
	v_fmac_f32_e32 v31, v32, v31
	v_mul_f32_e32 v32, v28, v31
	v_fma_f32 v35, -v27, v32, v28
	v_fmac_f32_e32 v32, v35, v31
	v_fma_f32 v27, -v27, v32, v28
	v_div_fmas_f32 v27, v27, v31, v32
	v_fma_f32 v28, v17, v23, v18
	v_fma_f32 v23, v18, v23, -v17
	v_div_fixup_f32 v24, v27, v24, 1.0
	v_mul_f32_e32 v27, v28, v24
	v_mul_f32_e32 v23, v23, v24
.LBB52_94:                              ;   in Loop: Header=BB52_4 Depth=1
	s_or_b64 exec, exec, s[10:11]
	v_mul_f32_e32 v24, s17, v23
	v_mul_f32_e32 v23, s16, v23
	v_fma_f32 v24, v27, s16, -v24
	v_fmac_f32_e32 v23, s17, v27
	s_branch .LBB52_82
.LBB52_95:                              ;   in Loop: Header=BB52_4 Depth=1
                                        ; implicit-def: $vgpr23
                                        ; implicit-def: $vgpr24
	s_and_saveexec_b64 s[10:11], s[12:13]
	s_xor_b64 s[12:13], exec, s[10:11]
	s_cbranch_execz .LBB52_101
; %bb.96:                               ;   in Loop: Header=BB52_4 Depth=1
	v_cmp_neq_f32_e32 vcc, 0, v19
	v_cmp_neq_f32_e64 s[10:11], 0, v20
	s_or_b64 s[10:11], s[10:11], vcc
                                        ; implicit-def: $vgpr23
                                        ; implicit-def: $vgpr24
	s_and_saveexec_b64 s[14:15], s[10:11]
	s_xor_b64 s[10:11], exec, s[14:15]
	s_cbranch_execz .LBB52_98
; %bb.97:                               ;   in Loop: Header=BB52_4 Depth=1
	v_div_scale_f32 v21, s[14:15], v19, v19, v20
	v_div_scale_f32 v22, vcc, v20, v19, v20
	v_rcp_f32_e32 v23, v21
	v_fma_f32 v24, -v21, v23, 1.0
	v_fmac_f32_e32 v23, v24, v23
	v_mul_f32_e32 v24, v22, v23
	v_fma_f32 v27, -v21, v24, v22
	v_fmac_f32_e32 v24, v27, v23
	v_fma_f32 v21, -v21, v24, v22
	v_div_fmas_f32 v21, v21, v23, v24
	v_div_fixup_f32 v21, v21, v19, v20
	v_fmac_f32_e32 v19, v20, v21
	v_div_scale_f32 v20, s[14:15], v19, v19, 1.0
	v_div_scale_f32 v22, vcc, 1.0, v19, 1.0
	v_rcp_f32_e32 v23, v20
	v_fma_f32 v24, -v20, v23, 1.0
	v_fmac_f32_e32 v23, v24, v23
	v_mul_f32_e32 v24, v22, v23
	v_fma_f32 v27, -v20, v24, v22
	v_fmac_f32_e32 v24, v27, v23
	v_fma_f32 v20, -v20, v24, v22
	v_div_fmas_f32 v20, v20, v23, v24
	v_fma_f32 v22, v18, v21, v17
	v_fma_f32 v17, -v17, v21, v18
                                        ; implicit-def: $vgpr21
	v_div_fixup_f32 v18, v20, v19, 1.0
	v_mul_f32_e32 v24, v22, v18
	v_mul_f32_e32 v23, v17, v18
                                        ; implicit-def: $vgpr17
                                        ; implicit-def: $vgpr22
.LBB52_98:                              ;   in Loop: Header=BB52_4 Depth=1
	s_andn2_saveexec_b64 s[14:15], s[10:11]
	s_cbranch_execz .LBB52_100
; %bb.99:                               ;   in Loop: Header=BB52_4 Depth=1
	v_div_scale_f32 v19, s[10:11], v21, v21, v17
	v_div_scale_f32 v20, s[10:11], v22, v22, v18
	v_div_scale_f32 v23, vcc, v17, v21, v17
	v_div_scale_f32 v24, s[10:11], v18, v22, v18
	v_rcp_f32_e32 v27, v19
	v_rcp_f32_e32 v28, v20
	v_fma_f32 v31, -v19, v27, 1.0
	v_fmac_f32_e32 v27, v31, v27
	v_fma_f32 v32, -v20, v28, 1.0
	v_fmac_f32_e32 v28, v32, v28
	v_mul_f32_e32 v31, v23, v27
	v_mul_f32_e32 v32, v24, v28
	v_fma_f32 v35, -v19, v31, v23
	v_fma_f32 v36, -v20, v32, v24
	v_fmac_f32_e32 v31, v35, v27
	v_fmac_f32_e32 v32, v36, v28
	v_fma_f32 v19, -v19, v31, v23
	v_fma_f32 v20, -v20, v32, v24
	v_div_fmas_f32 v19, v19, v27, v31
	s_mov_b64 vcc, s[10:11]
	v_div_fmas_f32 v20, v20, v28, v32
	v_div_fixup_f32 v24, v19, v21, v17
	v_div_fixup_f32 v23, v20, v22, v18
.LBB52_100:                             ;   in Loop: Header=BB52_4 Depth=1
	s_or_b64 exec, exec, s[14:15]
                                        ; implicit-def: $vgpr20
                                        ; implicit-def: $vgpr17
.LBB52_101:                             ;   in Loop: Header=BB52_4 Depth=1
	s_andn2_saveexec_b64 s[10:11], s[12:13]
	s_cbranch_execz .LBB52_103
; %bb.102:                              ;   in Loop: Header=BB52_4 Depth=1
	v_div_scale_f32 v21, s[12:13], v20, v20, v19
	v_div_scale_f32 v22, vcc, v19, v20, v19
	v_rcp_f32_e32 v23, v21
	v_fma_f32 v24, -v21, v23, 1.0
	v_fmac_f32_e32 v23, v24, v23
	v_mul_f32_e32 v24, v22, v23
	v_fma_f32 v27, -v21, v24, v22
	v_fmac_f32_e32 v24, v27, v23
	v_fma_f32 v21, -v21, v24, v22
	v_div_fmas_f32 v21, v21, v23, v24
	v_div_fixup_f32 v21, v21, v20, v19
	v_fmac_f32_e32 v20, v19, v21
	v_div_scale_f32 v19, s[12:13], v20, v20, 1.0
	v_div_scale_f32 v22, vcc, 1.0, v20, 1.0
	v_rcp_f32_e32 v23, v19
	v_fma_f32 v24, -v19, v23, 1.0
	v_fmac_f32_e32 v23, v24, v23
	v_mul_f32_e32 v24, v22, v23
	v_fma_f32 v27, -v19, v24, v22
	v_fmac_f32_e32 v24, v27, v23
	v_fma_f32 v19, -v19, v24, v22
	v_div_fmas_f32 v19, v19, v23, v24
	v_fma_f32 v22, v17, v21, v18
	v_fma_f32 v17, v18, v21, -v17
	v_div_fixup_f32 v18, v19, v20, 1.0
	v_mul_f32_e32 v24, v22, v18
	v_mul_f32_e32 v23, v17, v18
.LBB52_103:                             ;   in Loop: Header=BB52_4 Depth=1
	s_or_b64 exec, exec, s[10:11]
	s_and_saveexec_b64 s[10:11], s[0:1]
	s_xor_b64 s[0:1], exec, s[10:11]
	s_cbranch_execz .LBB52_83
.LBB52_104:                             ;   in Loop: Header=BB52_4 Depth=1
	v_lshlrev_b64 v[1:2], 3, v[1:2]
	v_mov_b32_e32 v17, s40
	v_add_co_u32_e32 v1, vcc, s39, v1
	v_add_f32_e32 v3, v3, v34
	v_add_f32_e32 v4, v4, v33
	v_addc_co_u32_e32 v2, vcc, v17, v2, vcc
	global_store_dwordx2 v[1:2], v[3:4], off
	s_or_b64 exec, exec, s[0:1]
	s_and_saveexec_b64 s[0:1], s[2:3]
	s_cbranch_execz .LBB52_84
.LBB52_105:                             ;   in Loop: Header=BB52_4 Depth=1
	v_lshlrev_b64 v[3:4], 3, v[5:6]
	v_mov_b32_e32 v5, s40
	v_add_co_u32_e32 v3, vcc, s39, v3
	v_add_f32_e32 v1, v7, v30
	v_add_f32_e32 v2, v8, v29
	v_addc_co_u32_e32 v4, vcc, v5, v4, vcc
	global_store_dwordx2 v[3:4], v[1:2], off
	s_or_b64 exec, exec, s[0:1]
	s_and_saveexec_b64 s[0:1], s[6:7]
	s_cbranch_execz .LBB52_85
.LBB52_106:                             ;   in Loop: Header=BB52_4 Depth=1
	v_lshlrev_b64 v[3:4], 3, v[9:10]
	v_mov_b32_e32 v5, s40
	v_add_co_u32_e32 v3, vcc, s39, v3
	v_add_f32_e32 v1, v11, v26
	v_add_f32_e32 v2, v12, v25
	v_addc_co_u32_e32 v4, vcc, v5, v4, vcc
	global_store_dwordx2 v[3:4], v[1:2], off
	s_or_b64 exec, exec, s[0:1]
	s_and_saveexec_b64 s[0:1], s[8:9]
	s_cbranch_execz .LBB52_3
.LBB52_107:                             ;   in Loop: Header=BB52_4 Depth=1
	v_lshlrev_b64 v[3:4], 3, v[13:14]
	v_mov_b32_e32 v5, s40
	v_add_co_u32_e32 v3, vcc, s39, v3
	v_add_f32_e32 v1, v15, v24
	v_add_f32_e32 v2, v16, v23
	v_addc_co_u32_e32 v4, vcc, v5, v4, vcc
	global_store_dwordx2 v[3:4], v[1:2], off
	s_branch .LBB52_3
.LBB52_108:
	s_mov_b64 s[0:1], 0
.LBB52_109:
	s_andn2_b64 vcc, exec, s[0:1]
	s_cbranch_vccnz .LBB52_193
; %bb.110:
	v_mov_b32_e32 v1, 0x10000
	v_mov_b32_e32 v2, 0
	v_cmp_lt_i64_e32 vcc, s[18:19], v[1:2]
	v_mov_b32_e32 v2, 0
	s_and_b64 s[0:1], vcc, exec
	s_cselect_b32 s7, s19, 0
	s_cselect_b32 s6, s18, 0x10000
	v_lshlrev_b32_e32 v1, 2, v0
	v_cmp_gt_i64_e32 vcc, s[6:7], v[1:2]
	s_and_saveexec_b64 s[0:1], vcc
	s_cbranch_execz .LBB52_193
; %bb.111:
	s_load_dword s4, s[4:5], 0xc04
	s_and_b32 s2, s17, 0x7fffffff
	s_cmp_lg_u32 s2, 0
	v_cmp_neq_f32_e64 s[0:1], s16, 1.0
	s_cselect_b64 s[2:3], -1, 0
	s_waitcnt lgkmcnt(0)
	s_and_b32 s18, s4, 0xffff
	v_mov_b32_e32 v1, v2
	s_or_b64 s[8:9], s[0:1], s[2:3]
	v_lshlrev_b32_e32 v26, 5, v0
	s_lshl_b32 s19, s18, 5
	s_mov_b64 s[10:11], 0
	s_branch .LBB52_114
.LBB52_112:                             ;   in Loop: Header=BB52_114 Depth=1
	s_or_b64 exec, exec, s[0:1]
.LBB52_113:                             ;   in Loop: Header=BB52_114 Depth=1
	v_mov_b32_e32 v11, s40
	v_add_co_u32_e32 v10, vcc, s39, v26
	s_add_u32 s39, s39, s19
	v_addc_co_u32_e32 v11, vcc, 0, v11, vcc
	s_addc_u32 s40, s40, 0
	v_add_co_u32_e32 v0, vcc, s18, v0
	s_add_u32 s33, s33, s19
	v_add_f32_e32 v8, v8, v30
	v_add_f32_e32 v9, v9, v29
	;; [unrolled: 1-line block ×4, first 2 shown]
	v_addc_co_u32_e32 v1, vcc, 0, v1, vcc
	s_addc_u32 s34, s34, 0
	global_store_dwordx4 v[10:11], v[6:9], off
	s_add_u32 s37, s37, s19
	v_lshlrev_b64 v[6:7], 2, v[0:1]
	s_addc_u32 s38, s38, 0
	s_add_u32 s35, s35, s19
	v_cmp_le_i64_e32 vcc, s[6:7], v[6:7]
	s_addc_u32 s36, s36, 0
	v_add_f32_e32 v2, v2, v19
	v_add_f32_e32 v3, v3, v18
	;; [unrolled: 1-line block ×4, first 2 shown]
	s_or_b64 s[10:11], vcc, s[10:11]
	global_store_dwordx4 v[10:11], v[2:5], off offset:16
	s_andn2_b64 exec, exec, s[10:11]
	s_cbranch_execz .LBB52_193
.LBB52_114:                             ; =>This Inner Loop Header: Depth=1
	v_mov_b32_e32 v3, s38
	v_add_co_u32_e32 v2, vcc, s37, v26
	v_addc_co_u32_e32 v3, vcc, 0, v3, vcc
	global_load_dwordx4 v[22:25], v[2:3], off
	global_load_dwordx4 v[14:17], v[2:3], off offset:16
	v_mov_b32_e32 v2, s34
	v_add_co_u32_e32 v27, vcc, s33, v26
	v_addc_co_u32_e32 v28, vcc, 0, v2, vcc
	v_mov_b32_e32 v3, s36
	v_add_co_u32_e32 v29, vcc, s35, v26
	v_addc_co_u32_e32 v30, vcc, 0, v3, vcc
	global_load_dwordx4 v[2:5], v[27:28], off offset:16
	global_load_dwordx4 v[6:9], v[27:28], off
	global_load_dwordx4 v[10:13], v[29:30], off offset:16
	global_load_dwordx4 v[18:21], v[29:30], off
	s_mov_b64 s[2:3], -1
	s_and_b64 vcc, exec, s[8:9]
                                        ; implicit-def: $vgpr27
                                        ; implicit-def: $vgpr28
	s_waitcnt vmcnt(5)
	v_cmp_gt_f32_e64 s[0:1], 0, v22
	v_cndmask_b32_e64 v29, v22, -v22, s[0:1]
	v_cmp_gt_f32_e64 s[0:1], 0, v23
	v_cndmask_b32_e64 v30, v23, -v23, s[0:1]
	v_cmp_ge_f32_e64 s[0:1], v29, v30
	s_cbranch_vccz .LBB52_124
; %bb.115:                              ;   in Loop: Header=BB52_114 Depth=1
                                        ; implicit-def: $vgpr27
                                        ; implicit-def: $vgpr31
	s_and_saveexec_b64 s[2:3], s[0:1]
	s_xor_b64 s[4:5], exec, s[2:3]
	s_cbranch_execz .LBB52_121
; %bb.116:                              ;   in Loop: Header=BB52_114 Depth=1
	v_cmp_neq_f32_e32 vcc, 0, v22
	v_cmp_neq_f32_e64 s[2:3], 0, v23
	s_or_b64 s[2:3], vcc, s[2:3]
                                        ; implicit-def: $vgpr27
                                        ; implicit-def: $vgpr31
	s_and_saveexec_b64 s[12:13], s[2:3]
	s_xor_b64 s[2:3], exec, s[12:13]
	s_cbranch_execz .LBB52_118
; %bb.117:                              ;   in Loop: Header=BB52_114 Depth=1
	v_div_scale_f32 v27, s[12:13], v22, v22, v23
	v_div_scale_f32 v28, vcc, v23, v22, v23
	v_rcp_f32_e32 v31, v27
	v_fma_f32 v32, -v27, v31, 1.0
	v_fmac_f32_e32 v31, v32, v31
	v_mul_f32_e32 v32, v28, v31
	v_fma_f32 v33, -v27, v32, v28
	v_fmac_f32_e32 v32, v33, v31
	v_fma_f32 v27, -v27, v32, v28
	v_div_fmas_f32 v27, v27, v31, v32
	v_div_fixup_f32 v27, v27, v22, v23
	v_fma_f32 v28, v23, v27, v22
	v_div_scale_f32 v31, s[12:13], v28, v28, 1.0
	v_div_scale_f32 v32, vcc, 1.0, v28, 1.0
	v_rcp_f32_e32 v33, v31
	v_fma_f32 v34, -v31, v33, 1.0
	v_fmac_f32_e32 v33, v34, v33
	v_mul_f32_e32 v34, v32, v33
	v_fma_f32 v35, -v31, v34, v32
	v_fmac_f32_e32 v34, v35, v33
	v_fma_f32 v31, -v31, v34, v32
	v_div_fmas_f32 v31, v31, v33, v34
	s_waitcnt vmcnt(0)
	v_fma_f32 v32, v19, v27, v18
	v_fma_f32 v27, -v18, v27, v19
	v_div_fixup_f32 v28, v31, v28, 1.0
	v_mul_f32_e32 v31, v32, v28
	v_mul_f32_e32 v27, v27, v28
.LBB52_118:                             ;   in Loop: Header=BB52_114 Depth=1
	s_andn2_saveexec_b64 s[12:13], s[2:3]
	s_cbranch_execz .LBB52_120
; %bb.119:                              ;   in Loop: Header=BB52_114 Depth=1
	s_waitcnt vmcnt(0)
	v_div_scale_f32 v27, s[2:3], v29, v29, v18
	v_div_scale_f32 v28, s[2:3], v30, v30, v19
	v_div_scale_f32 v31, vcc, v18, v29, v18
	v_div_scale_f32 v32, s[2:3], v19, v30, v19
	v_rcp_f32_e32 v33, v27
	v_rcp_f32_e32 v34, v28
	v_fma_f32 v35, -v27, v33, 1.0
	v_fmac_f32_e32 v33, v35, v33
	v_fma_f32 v36, -v28, v34, 1.0
	v_fmac_f32_e32 v34, v36, v34
	v_mul_f32_e32 v35, v31, v33
	v_mul_f32_e32 v36, v32, v34
	v_fma_f32 v37, -v27, v35, v31
	v_fma_f32 v38, -v28, v36, v32
	v_fmac_f32_e32 v35, v37, v33
	v_fmac_f32_e32 v36, v38, v34
	v_fma_f32 v27, -v27, v35, v31
	v_fma_f32 v28, -v28, v36, v32
	v_div_fmas_f32 v27, v27, v33, v35
	s_mov_b64 vcc, s[2:3]
	v_div_fmas_f32 v28, v28, v34, v36
	v_div_fixup_f32 v31, v27, v29, v18
	v_div_fixup_f32 v27, v28, v30, v19
.LBB52_120:                             ;   in Loop: Header=BB52_114 Depth=1
	s_or_b64 exec, exec, s[12:13]
.LBB52_121:                             ;   in Loop: Header=BB52_114 Depth=1
	s_andn2_saveexec_b64 s[2:3], s[4:5]
	s_cbranch_execz .LBB52_123
; %bb.122:                              ;   in Loop: Header=BB52_114 Depth=1
	v_div_scale_f32 v27, s[4:5], v23, v23, v22
	v_div_scale_f32 v28, vcc, v22, v23, v22
	v_rcp_f32_e32 v31, v27
	v_fma_f32 v32, -v27, v31, 1.0
	v_fmac_f32_e32 v31, v32, v31
	v_mul_f32_e32 v32, v28, v31
	v_fma_f32 v33, -v27, v32, v28
	v_fmac_f32_e32 v32, v33, v31
	v_fma_f32 v27, -v27, v32, v28
	v_div_fmas_f32 v27, v27, v31, v32
	v_div_fixup_f32 v27, v27, v23, v22
	v_fma_f32 v28, v22, v27, v23
	v_div_scale_f32 v31, s[4:5], v28, v28, 1.0
	v_div_scale_f32 v32, vcc, 1.0, v28, 1.0
	v_rcp_f32_e32 v33, v31
	v_fma_f32 v34, -v31, v33, 1.0
	v_fmac_f32_e32 v33, v34, v33
	v_mul_f32_e32 v34, v32, v33
	v_fma_f32 v35, -v31, v34, v32
	v_fmac_f32_e32 v34, v35, v33
	v_fma_f32 v31, -v31, v34, v32
	v_div_fmas_f32 v31, v31, v33, v34
	s_waitcnt vmcnt(0)
	v_fma_f32 v32, v18, v27, v19
	v_fma_f32 v27, v19, v27, -v18
	v_div_fixup_f32 v28, v31, v28, 1.0
	v_mul_f32_e32 v31, v32, v28
	v_mul_f32_e32 v27, v27, v28
.LBB52_123:                             ;   in Loop: Header=BB52_114 Depth=1
	s_or_b64 exec, exec, s[2:3]
	v_mul_f32_e32 v28, s17, v27
	v_mul_f32_e32 v27, s16, v27
	v_fma_f32 v28, v31, s16, -v28
	v_fmac_f32_e32 v27, s17, v31
	s_mov_b64 s[2:3], 0
.LBB52_124:                             ;   in Loop: Header=BB52_114 Depth=1
	s_and_b64 vcc, exec, s[2:3]
	s_cbranch_vccz .LBB52_134
; %bb.125:                              ;   in Loop: Header=BB52_114 Depth=1
                                        ; implicit-def: $vgpr27
                                        ; implicit-def: $vgpr28
	s_and_saveexec_b64 s[2:3], s[0:1]
	s_xor_b64 s[2:3], exec, s[2:3]
	s_cbranch_execz .LBB52_131
; %bb.126:                              ;   in Loop: Header=BB52_114 Depth=1
	v_cmp_neq_f32_e32 vcc, 0, v22
	v_cmp_neq_f32_e64 s[0:1], 0, v23
	s_or_b64 s[0:1], vcc, s[0:1]
                                        ; implicit-def: $vgpr27
                                        ; implicit-def: $vgpr28
	s_and_saveexec_b64 s[4:5], s[0:1]
	s_xor_b64 s[0:1], exec, s[4:5]
	s_cbranch_execz .LBB52_128
; %bb.127:                              ;   in Loop: Header=BB52_114 Depth=1
	v_div_scale_f32 v27, s[4:5], v22, v22, v23
	v_div_scale_f32 v28, vcc, v23, v22, v23
	v_rcp_f32_e32 v29, v27
	v_fma_f32 v30, -v27, v29, 1.0
	v_fmac_f32_e32 v29, v30, v29
	v_mul_f32_e32 v30, v28, v29
	v_fma_f32 v31, -v27, v30, v28
	v_fmac_f32_e32 v30, v31, v29
	v_fma_f32 v27, -v27, v30, v28
	v_div_fmas_f32 v27, v27, v29, v30
	v_div_fixup_f32 v27, v27, v22, v23
	v_fma_f32 v28, v23, v27, v22
	v_div_scale_f32 v29, s[4:5], v28, v28, 1.0
	v_div_scale_f32 v30, vcc, 1.0, v28, 1.0
	v_rcp_f32_e32 v31, v29
	v_fma_f32 v32, -v29, v31, 1.0
	v_fmac_f32_e32 v31, v32, v31
	v_mul_f32_e32 v32, v30, v31
	v_fma_f32 v33, -v29, v32, v30
	v_fmac_f32_e32 v32, v33, v31
	v_fma_f32 v29, -v29, v32, v30
	v_div_fmas_f32 v29, v29, v31, v32
	s_waitcnt vmcnt(0)
	v_fma_f32 v30, v19, v27, v18
	v_fma_f32 v27, -v18, v27, v19
	v_div_fixup_f32 v29, v29, v28, 1.0
	v_mul_f32_e32 v28, v30, v29
	v_mul_f32_e32 v27, v27, v29
                                        ; implicit-def: $vgpr29
                                        ; implicit-def: $vgpr30
.LBB52_128:                             ;   in Loop: Header=BB52_114 Depth=1
	s_andn2_saveexec_b64 s[4:5], s[0:1]
	s_cbranch_execz .LBB52_130
; %bb.129:                              ;   in Loop: Header=BB52_114 Depth=1
	s_waitcnt vmcnt(0)
	v_div_scale_f32 v27, s[0:1], v29, v29, v18
	v_div_scale_f32 v28, s[0:1], v30, v30, v19
	v_div_scale_f32 v31, vcc, v18, v29, v18
	v_div_scale_f32 v32, s[0:1], v19, v30, v19
	v_rcp_f32_e32 v33, v27
	v_rcp_f32_e32 v34, v28
	v_fma_f32 v35, -v27, v33, 1.0
	v_fmac_f32_e32 v33, v35, v33
	v_fma_f32 v36, -v28, v34, 1.0
	v_fmac_f32_e32 v34, v36, v34
	v_mul_f32_e32 v35, v31, v33
	v_mul_f32_e32 v36, v32, v34
	v_fma_f32 v37, -v27, v35, v31
	v_fma_f32 v38, -v28, v36, v32
	v_fmac_f32_e32 v35, v37, v33
	v_fmac_f32_e32 v36, v38, v34
	v_fma_f32 v27, -v27, v35, v31
	v_fma_f32 v28, -v28, v36, v32
	v_div_fmas_f32 v27, v27, v33, v35
	s_mov_b64 vcc, s[0:1]
	v_div_fmas_f32 v31, v28, v34, v36
	v_div_fixup_f32 v28, v27, v29, v18
	v_div_fixup_f32 v27, v31, v30, v19
.LBB52_130:                             ;   in Loop: Header=BB52_114 Depth=1
	s_or_b64 exec, exec, s[4:5]
.LBB52_131:                             ;   in Loop: Header=BB52_114 Depth=1
	s_andn2_saveexec_b64 s[0:1], s[2:3]
	s_cbranch_execz .LBB52_133
; %bb.132:                              ;   in Loop: Header=BB52_114 Depth=1
	v_div_scale_f32 v27, s[2:3], v23, v23, v22
	v_div_scale_f32 v28, vcc, v22, v23, v22
	v_rcp_f32_e32 v29, v27
	v_fma_f32 v30, -v27, v29, 1.0
	v_fmac_f32_e32 v29, v30, v29
	v_mul_f32_e32 v30, v28, v29
	v_fma_f32 v31, -v27, v30, v28
	v_fmac_f32_e32 v30, v31, v29
	v_fma_f32 v27, -v27, v30, v28
	v_div_fmas_f32 v27, v27, v29, v30
	v_div_fixup_f32 v27, v27, v23, v22
	v_fma_f32 v22, v22, v27, v23
	v_div_scale_f32 v23, s[2:3], v22, v22, 1.0
	v_div_scale_f32 v28, vcc, 1.0, v22, 1.0
	v_rcp_f32_e32 v29, v23
	v_fma_f32 v30, -v23, v29, 1.0
	v_fmac_f32_e32 v29, v30, v29
	v_mul_f32_e32 v30, v28, v29
	v_fma_f32 v31, -v23, v30, v28
	v_fmac_f32_e32 v30, v31, v29
	v_fma_f32 v23, -v23, v30, v28
	v_div_fmas_f32 v23, v23, v29, v30
	s_waitcnt vmcnt(0)
	v_fma_f32 v28, v18, v27, v19
	v_fma_f32 v18, v19, v27, -v18
	v_div_fixup_f32 v19, v23, v22, 1.0
	v_mul_f32_e32 v28, v28, v19
	v_mul_f32_e32 v27, v18, v19
.LBB52_133:                             ;   in Loop: Header=BB52_114 Depth=1
	s_or_b64 exec, exec, s[0:1]
.LBB52_134:                             ;   in Loop: Header=BB52_114 Depth=1
	v_cmp_gt_f32_e32 vcc, 0, v24
	v_cndmask_b32_e64 v22, v24, -v24, vcc
	v_cmp_gt_f32_e32 vcc, 0, v25
	s_waitcnt vmcnt(0)
	v_cndmask_b32_e64 v18, v25, -v25, vcc
	v_cndmask_b32_e64 v19, 0, 1, s[8:9]
	v_cmp_ge_f32_e64 s[2:3], v22, v18
	v_cmp_ne_u32_e64 s[0:1], 1, v19
	s_andn2_b64 vcc, exec, s[8:9]
	s_mov_b64 s[4:5], -1
                                        ; implicit-def: $vgpr29
                                        ; implicit-def: $vgpr30
	s_cbranch_vccnz .LBB52_144
; %bb.135:                              ;   in Loop: Header=BB52_114 Depth=1
                                        ; implicit-def: $vgpr23
                                        ; implicit-def: $vgpr19
	s_and_saveexec_b64 s[4:5], s[2:3]
	s_xor_b64 s[12:13], exec, s[4:5]
	s_cbranch_execz .LBB52_141
; %bb.136:                              ;   in Loop: Header=BB52_114 Depth=1
	v_cmp_neq_f32_e32 vcc, 0, v24
	v_cmp_neq_f32_e64 s[4:5], 0, v25
	s_or_b64 s[4:5], vcc, s[4:5]
                                        ; implicit-def: $vgpr23
                                        ; implicit-def: $vgpr19
	s_and_saveexec_b64 s[14:15], s[4:5]
	s_xor_b64 s[4:5], exec, s[14:15]
	s_cbranch_execz .LBB52_138
; %bb.137:                              ;   in Loop: Header=BB52_114 Depth=1
	v_div_scale_f32 v19, s[14:15], v24, v24, v25
	v_div_scale_f32 v23, vcc, v25, v24, v25
	v_rcp_f32_e32 v29, v19
	v_fma_f32 v30, -v19, v29, 1.0
	v_fmac_f32_e32 v29, v30, v29
	v_mul_f32_e32 v30, v23, v29
	v_fma_f32 v31, -v19, v30, v23
	v_fmac_f32_e32 v30, v31, v29
	v_fma_f32 v19, -v19, v30, v23
	v_div_fmas_f32 v19, v19, v29, v30
	v_div_fixup_f32 v19, v19, v24, v25
	v_fma_f32 v23, v25, v19, v24
	v_div_scale_f32 v29, s[14:15], v23, v23, 1.0
	v_div_scale_f32 v30, vcc, 1.0, v23, 1.0
	v_rcp_f32_e32 v31, v29
	v_fma_f32 v32, -v29, v31, 1.0
	v_fmac_f32_e32 v31, v32, v31
	v_mul_f32_e32 v32, v30, v31
	v_fma_f32 v33, -v29, v32, v30
	v_fmac_f32_e32 v32, v33, v31
	v_fma_f32 v29, -v29, v32, v30
	v_div_fmas_f32 v29, v29, v31, v32
	v_fma_f32 v30, v21, v19, v20
	v_fma_f32 v31, -v20, v19, v21
	v_div_fixup_f32 v23, v29, v23, 1.0
	v_mul_f32_e32 v19, v30, v23
	v_mul_f32_e32 v23, v31, v23
.LBB52_138:                             ;   in Loop: Header=BB52_114 Depth=1
	s_andn2_saveexec_b64 s[14:15], s[4:5]
	s_cbranch_execz .LBB52_140
; %bb.139:                              ;   in Loop: Header=BB52_114 Depth=1
	v_div_scale_f32 v19, s[4:5], v22, v22, v20
	v_div_scale_f32 v23, s[4:5], v18, v18, v21
	v_div_scale_f32 v29, vcc, v20, v22, v20
	v_div_scale_f32 v30, s[4:5], v21, v18, v21
	v_rcp_f32_e32 v31, v19
	v_rcp_f32_e32 v32, v23
	v_fma_f32 v33, -v19, v31, 1.0
	v_fmac_f32_e32 v31, v33, v31
	v_fma_f32 v34, -v23, v32, 1.0
	v_fmac_f32_e32 v32, v34, v32
	v_mul_f32_e32 v33, v29, v31
	v_mul_f32_e32 v34, v30, v32
	v_fma_f32 v35, -v19, v33, v29
	v_fma_f32 v36, -v23, v34, v30
	v_fmac_f32_e32 v33, v35, v31
	v_fmac_f32_e32 v34, v36, v32
	v_fma_f32 v19, -v19, v33, v29
	v_fma_f32 v23, -v23, v34, v30
	v_div_fmas_f32 v19, v19, v31, v33
	s_mov_b64 vcc, s[4:5]
	v_div_fmas_f32 v23, v23, v32, v34
	v_div_fixup_f32 v19, v19, v22, v20
	v_div_fixup_f32 v23, v23, v18, v21
.LBB52_140:                             ;   in Loop: Header=BB52_114 Depth=1
	s_or_b64 exec, exec, s[14:15]
.LBB52_141:                             ;   in Loop: Header=BB52_114 Depth=1
	s_andn2_saveexec_b64 s[4:5], s[12:13]
	s_cbranch_execz .LBB52_143
; %bb.142:                              ;   in Loop: Header=BB52_114 Depth=1
	v_div_scale_f32 v19, s[12:13], v25, v25, v24
	v_div_scale_f32 v23, vcc, v24, v25, v24
	v_rcp_f32_e32 v29, v19
	v_fma_f32 v30, -v19, v29, 1.0
	v_fmac_f32_e32 v29, v30, v29
	v_mul_f32_e32 v30, v23, v29
	v_fma_f32 v31, -v19, v30, v23
	v_fmac_f32_e32 v30, v31, v29
	v_fma_f32 v19, -v19, v30, v23
	v_div_fmas_f32 v19, v19, v29, v30
	v_div_fixup_f32 v19, v19, v25, v24
	v_fma_f32 v23, v24, v19, v25
	v_div_scale_f32 v29, s[12:13], v23, v23, 1.0
	v_div_scale_f32 v30, vcc, 1.0, v23, 1.0
	v_rcp_f32_e32 v31, v29
	v_fma_f32 v32, -v29, v31, 1.0
	v_fmac_f32_e32 v31, v32, v31
	v_mul_f32_e32 v32, v30, v31
	v_fma_f32 v33, -v29, v32, v30
	v_fmac_f32_e32 v32, v33, v31
	v_fma_f32 v29, -v29, v32, v30
	v_div_fmas_f32 v29, v29, v31, v32
	v_fma_f32 v30, v20, v19, v21
	v_fma_f32 v31, v21, v19, -v20
	v_div_fixup_f32 v23, v29, v23, 1.0
	v_mul_f32_e32 v19, v30, v23
	v_mul_f32_e32 v23, v31, v23
.LBB52_143:                             ;   in Loop: Header=BB52_114 Depth=1
	s_or_b64 exec, exec, s[4:5]
	v_mul_f32_e32 v29, s17, v23
	v_fma_f32 v30, v19, s16, -v29
	v_mul_f32_e32 v29, s16, v23
	v_fmac_f32_e32 v29, s17, v19
	s_mov_b64 s[4:5], 0
.LBB52_144:                             ;   in Loop: Header=BB52_114 Depth=1
	s_and_b64 vcc, exec, s[4:5]
	s_cbranch_vccz .LBB52_154
; %bb.145:                              ;   in Loop: Header=BB52_114 Depth=1
                                        ; implicit-def: $vgpr29
                                        ; implicit-def: $vgpr30
	s_and_saveexec_b64 s[4:5], s[2:3]
	s_xor_b64 s[4:5], exec, s[4:5]
	s_cbranch_execz .LBB52_151
; %bb.146:                              ;   in Loop: Header=BB52_114 Depth=1
	v_cmp_neq_f32_e32 vcc, 0, v24
	v_cmp_neq_f32_e64 s[2:3], 0, v25
	s_or_b64 s[2:3], vcc, s[2:3]
                                        ; implicit-def: $vgpr29
                                        ; implicit-def: $vgpr30
	s_and_saveexec_b64 s[12:13], s[2:3]
	s_xor_b64 s[2:3], exec, s[12:13]
	s_cbranch_execz .LBB52_148
; %bb.147:                              ;   in Loop: Header=BB52_114 Depth=1
	v_div_scale_f32 v18, s[12:13], v24, v24, v25
	v_div_scale_f32 v19, vcc, v25, v24, v25
	v_rcp_f32_e32 v22, v18
	v_fma_f32 v23, -v18, v22, 1.0
	v_fmac_f32_e32 v22, v23, v22
	v_mul_f32_e32 v23, v19, v22
	v_fma_f32 v29, -v18, v23, v19
	v_fmac_f32_e32 v23, v29, v22
	v_fma_f32 v18, -v18, v23, v19
	v_div_fmas_f32 v18, v18, v22, v23
	v_div_fixup_f32 v18, v18, v24, v25
	v_fmac_f32_e32 v24, v25, v18
	v_div_scale_f32 v19, s[12:13], v24, v24, 1.0
	v_div_scale_f32 v22, vcc, 1.0, v24, 1.0
	v_rcp_f32_e32 v23, v19
	v_fma_f32 v25, -v19, v23, 1.0
	v_fmac_f32_e32 v23, v25, v23
	v_mul_f32_e32 v25, v22, v23
	v_fma_f32 v29, -v19, v25, v22
	v_fmac_f32_e32 v25, v29, v23
	v_fma_f32 v19, -v19, v25, v22
	v_div_fmas_f32 v19, v19, v23, v25
	v_fma_f32 v22, v21, v18, v20
	v_fma_f32 v18, -v20, v18, v21
	v_div_fixup_f32 v19, v19, v24, 1.0
	v_mul_f32_e32 v30, v22, v19
	v_mul_f32_e32 v29, v18, v19
                                        ; implicit-def: $vgpr18_vgpr19_vgpr20_vgpr21
                                        ; implicit-def: $vgpr22
                                        ; implicit-def: $vgpr18
.LBB52_148:                             ;   in Loop: Header=BB52_114 Depth=1
	s_andn2_saveexec_b64 s[12:13], s[2:3]
	s_cbranch_execz .LBB52_150
; %bb.149:                              ;   in Loop: Header=BB52_114 Depth=1
	v_div_scale_f32 v19, s[2:3], v22, v22, v20
	v_div_scale_f32 v23, s[2:3], v18, v18, v21
	v_div_scale_f32 v24, vcc, v20, v22, v20
	v_div_scale_f32 v25, s[2:3], v21, v18, v21
	v_rcp_f32_e32 v29, v19
	v_rcp_f32_e32 v30, v23
	v_fma_f32 v31, -v19, v29, 1.0
	v_fmac_f32_e32 v29, v31, v29
	v_fma_f32 v32, -v23, v30, 1.0
	v_fmac_f32_e32 v30, v32, v30
	v_mul_f32_e32 v31, v24, v29
	v_mul_f32_e32 v32, v25, v30
	v_fma_f32 v33, -v19, v31, v24
	v_fma_f32 v34, -v23, v32, v25
	v_fmac_f32_e32 v31, v33, v29
	v_fmac_f32_e32 v32, v34, v30
	v_fma_f32 v19, -v19, v31, v24
	v_fma_f32 v23, -v23, v32, v25
	v_div_fmas_f32 v19, v19, v29, v31
	s_mov_b64 vcc, s[2:3]
	v_div_fmas_f32 v23, v23, v30, v32
	v_div_fixup_f32 v30, v19, v22, v20
	v_div_fixup_f32 v29, v23, v18, v21
.LBB52_150:                             ;   in Loop: Header=BB52_114 Depth=1
	s_or_b64 exec, exec, s[12:13]
                                        ; implicit-def: $vgpr22_vgpr23_vgpr24_vgpr25
                                        ; implicit-def: $vgpr18_vgpr19_vgpr20_vgpr21
.LBB52_151:                             ;   in Loop: Header=BB52_114 Depth=1
	s_andn2_saveexec_b64 s[2:3], s[4:5]
	s_cbranch_execz .LBB52_153
; %bb.152:                              ;   in Loop: Header=BB52_114 Depth=1
	v_div_scale_f32 v18, s[4:5], v25, v25, v24
	v_div_scale_f32 v19, vcc, v24, v25, v24
	v_rcp_f32_e32 v22, v18
	v_fma_f32 v23, -v18, v22, 1.0
	v_fmac_f32_e32 v22, v23, v22
	v_mul_f32_e32 v23, v19, v22
	v_fma_f32 v29, -v18, v23, v19
	v_fmac_f32_e32 v23, v29, v22
	v_fma_f32 v18, -v18, v23, v19
	v_div_fmas_f32 v18, v18, v22, v23
	v_div_fixup_f32 v18, v18, v25, v24
	v_fmac_f32_e32 v25, v24, v18
	v_div_scale_f32 v19, s[4:5], v25, v25, 1.0
	v_div_scale_f32 v22, vcc, 1.0, v25, 1.0
	v_rcp_f32_e32 v23, v19
	v_fma_f32 v24, -v19, v23, 1.0
	v_fmac_f32_e32 v23, v24, v23
	v_mul_f32_e32 v24, v22, v23
	v_fma_f32 v29, -v19, v24, v22
	v_fmac_f32_e32 v24, v29, v23
	v_fma_f32 v19, -v19, v24, v22
	v_div_fmas_f32 v19, v19, v23, v24
	v_fma_f32 v22, v20, v18, v21
	v_fma_f32 v18, v21, v18, -v20
	v_div_fixup_f32 v19, v19, v25, 1.0
	v_mul_f32_e32 v30, v22, v19
	v_mul_f32_e32 v29, v18, v19
.LBB52_153:                             ;   in Loop: Header=BB52_114 Depth=1
	s_or_b64 exec, exec, s[2:3]
.LBB52_154:                             ;   in Loop: Header=BB52_114 Depth=1
	v_cmp_gt_f32_e32 vcc, 0, v14
	v_cndmask_b32_e64 v20, v14, -v14, vcc
	v_cmp_gt_f32_e32 vcc, 0, v15
	v_cndmask_b32_e64 v21, v15, -v15, vcc
	v_cmp_ge_f32_e64 s[2:3], v20, v21
	s_and_b64 vcc, exec, s[0:1]
	s_mov_b64 s[4:5], -1
                                        ; implicit-def: $vgpr18
                                        ; implicit-def: $vgpr19
	s_cbranch_vccnz .LBB52_164
; %bb.155:                              ;   in Loop: Header=BB52_114 Depth=1
                                        ; implicit-def: $vgpr18
                                        ; implicit-def: $vgpr22
	s_and_saveexec_b64 s[4:5], s[2:3]
	s_xor_b64 s[12:13], exec, s[4:5]
	s_cbranch_execz .LBB52_161
; %bb.156:                              ;   in Loop: Header=BB52_114 Depth=1
	v_cmp_neq_f32_e32 vcc, 0, v14
	v_cmp_neq_f32_e64 s[4:5], 0, v15
	s_or_b64 s[4:5], vcc, s[4:5]
                                        ; implicit-def: $vgpr18
                                        ; implicit-def: $vgpr22
	s_and_saveexec_b64 s[14:15], s[4:5]
	s_xor_b64 s[4:5], exec, s[14:15]
	s_cbranch_execz .LBB52_158
; %bb.157:                              ;   in Loop: Header=BB52_114 Depth=1
	v_div_scale_f32 v18, s[14:15], v14, v14, v15
	v_div_scale_f32 v19, vcc, v15, v14, v15
	v_rcp_f32_e32 v22, v18
	v_fma_f32 v23, -v18, v22, 1.0
	v_fmac_f32_e32 v22, v23, v22
	v_mul_f32_e32 v23, v19, v22
	v_fma_f32 v24, -v18, v23, v19
	v_fmac_f32_e32 v23, v24, v22
	v_fma_f32 v18, -v18, v23, v19
	v_div_fmas_f32 v18, v18, v22, v23
	v_div_fixup_f32 v18, v18, v14, v15
	v_fma_f32 v19, v15, v18, v14
	v_div_scale_f32 v22, s[14:15], v19, v19, 1.0
	v_div_scale_f32 v23, vcc, 1.0, v19, 1.0
	v_rcp_f32_e32 v24, v22
	v_fma_f32 v25, -v22, v24, 1.0
	v_fmac_f32_e32 v24, v25, v24
	v_mul_f32_e32 v25, v23, v24
	v_fma_f32 v31, -v22, v25, v23
	v_fmac_f32_e32 v25, v31, v24
	v_fma_f32 v22, -v22, v25, v23
	v_div_fmas_f32 v22, v22, v24, v25
	v_fma_f32 v23, v11, v18, v10
	v_fma_f32 v18, -v10, v18, v11
	v_div_fixup_f32 v19, v22, v19, 1.0
	v_mul_f32_e32 v22, v23, v19
	v_mul_f32_e32 v18, v18, v19
.LBB52_158:                             ;   in Loop: Header=BB52_114 Depth=1
	s_andn2_saveexec_b64 s[14:15], s[4:5]
	s_cbranch_execz .LBB52_160
; %bb.159:                              ;   in Loop: Header=BB52_114 Depth=1
	v_div_scale_f32 v18, s[4:5], v20, v20, v10
	v_div_scale_f32 v19, s[4:5], v21, v21, v11
	v_div_scale_f32 v22, vcc, v10, v20, v10
	v_div_scale_f32 v23, s[4:5], v11, v21, v11
	v_rcp_f32_e32 v24, v18
	v_rcp_f32_e32 v25, v19
	v_fma_f32 v31, -v18, v24, 1.0
	v_fmac_f32_e32 v24, v31, v24
	v_fma_f32 v32, -v19, v25, 1.0
	v_fmac_f32_e32 v25, v32, v25
	v_mul_f32_e32 v31, v22, v24
	v_mul_f32_e32 v32, v23, v25
	v_fma_f32 v33, -v18, v31, v22
	v_fma_f32 v34, -v19, v32, v23
	v_fmac_f32_e32 v31, v33, v24
	v_fmac_f32_e32 v32, v34, v25
	v_fma_f32 v18, -v18, v31, v22
	v_fma_f32 v19, -v19, v32, v23
	v_div_fmas_f32 v18, v18, v24, v31
	s_mov_b64 vcc, s[4:5]
	v_div_fmas_f32 v19, v19, v25, v32
	v_div_fixup_f32 v22, v18, v20, v10
	v_div_fixup_f32 v18, v19, v21, v11
.LBB52_160:                             ;   in Loop: Header=BB52_114 Depth=1
	s_or_b64 exec, exec, s[14:15]
.LBB52_161:                             ;   in Loop: Header=BB52_114 Depth=1
	s_andn2_saveexec_b64 s[4:5], s[12:13]
	s_cbranch_execz .LBB52_163
; %bb.162:                              ;   in Loop: Header=BB52_114 Depth=1
	v_div_scale_f32 v18, s[12:13], v15, v15, v14
	v_div_scale_f32 v19, vcc, v14, v15, v14
	v_rcp_f32_e32 v22, v18
	v_fma_f32 v23, -v18, v22, 1.0
	v_fmac_f32_e32 v22, v23, v22
	v_mul_f32_e32 v23, v19, v22
	v_fma_f32 v24, -v18, v23, v19
	v_fmac_f32_e32 v23, v24, v22
	v_fma_f32 v18, -v18, v23, v19
	v_div_fmas_f32 v18, v18, v22, v23
	v_div_fixup_f32 v18, v18, v15, v14
	v_fma_f32 v19, v14, v18, v15
	v_div_scale_f32 v22, s[12:13], v19, v19, 1.0
	v_div_scale_f32 v23, vcc, 1.0, v19, 1.0
	v_rcp_f32_e32 v24, v22
	v_fma_f32 v25, -v22, v24, 1.0
	v_fmac_f32_e32 v24, v25, v24
	v_mul_f32_e32 v25, v23, v24
	v_fma_f32 v31, -v22, v25, v23
	v_fmac_f32_e32 v25, v31, v24
	v_fma_f32 v22, -v22, v25, v23
	v_div_fmas_f32 v22, v22, v24, v25
	v_fma_f32 v23, v10, v18, v11
	v_fma_f32 v18, v11, v18, -v10
	v_div_fixup_f32 v19, v22, v19, 1.0
	v_mul_f32_e32 v22, v23, v19
	v_mul_f32_e32 v18, v18, v19
.LBB52_163:                             ;   in Loop: Header=BB52_114 Depth=1
	s_or_b64 exec, exec, s[4:5]
	v_mul_f32_e32 v19, s17, v18
	v_mul_f32_e32 v18, s16, v18
	v_fma_f32 v19, v22, s16, -v19
	v_fmac_f32_e32 v18, s17, v22
	s_mov_b64 s[4:5], 0
.LBB52_164:                             ;   in Loop: Header=BB52_114 Depth=1
	s_and_b64 vcc, exec, s[4:5]
	s_cbranch_vccz .LBB52_174
; %bb.165:                              ;   in Loop: Header=BB52_114 Depth=1
                                        ; implicit-def: $vgpr18
                                        ; implicit-def: $vgpr19
	s_and_saveexec_b64 s[4:5], s[2:3]
	s_xor_b64 s[4:5], exec, s[4:5]
	s_cbranch_execz .LBB52_171
; %bb.166:                              ;   in Loop: Header=BB52_114 Depth=1
	v_cmp_neq_f32_e32 vcc, 0, v14
	v_cmp_neq_f32_e64 s[2:3], 0, v15
	s_or_b64 s[2:3], vcc, s[2:3]
                                        ; implicit-def: $vgpr18
                                        ; implicit-def: $vgpr19
	s_and_saveexec_b64 s[12:13], s[2:3]
	s_xor_b64 s[2:3], exec, s[12:13]
	s_cbranch_execz .LBB52_168
; %bb.167:                              ;   in Loop: Header=BB52_114 Depth=1
	v_div_scale_f32 v18, s[12:13], v14, v14, v15
	v_div_scale_f32 v19, vcc, v15, v14, v15
	v_rcp_f32_e32 v20, v18
	v_fma_f32 v21, -v18, v20, 1.0
	v_fmac_f32_e32 v20, v21, v20
	v_mul_f32_e32 v21, v19, v20
	v_fma_f32 v22, -v18, v21, v19
	v_fmac_f32_e32 v21, v22, v20
	v_fma_f32 v18, -v18, v21, v19
	v_div_fmas_f32 v18, v18, v20, v21
	v_div_fixup_f32 v18, v18, v14, v15
	v_fma_f32 v19, v15, v18, v14
	v_div_scale_f32 v20, s[12:13], v19, v19, 1.0
	v_div_scale_f32 v21, vcc, 1.0, v19, 1.0
	v_rcp_f32_e32 v22, v20
	v_fma_f32 v23, -v20, v22, 1.0
	v_fmac_f32_e32 v22, v23, v22
	v_mul_f32_e32 v23, v21, v22
	v_fma_f32 v24, -v20, v23, v21
	v_fmac_f32_e32 v23, v24, v22
	v_fma_f32 v20, -v20, v23, v21
	v_div_fmas_f32 v20, v20, v22, v23
	v_fma_f32 v21, v11, v18, v10
	v_fma_f32 v18, -v10, v18, v11
	v_div_fixup_f32 v20, v20, v19, 1.0
	v_mul_f32_e32 v19, v21, v20
	v_mul_f32_e32 v18, v18, v20
                                        ; implicit-def: $vgpr20
                                        ; implicit-def: $vgpr21
.LBB52_168:                             ;   in Loop: Header=BB52_114 Depth=1
	s_andn2_saveexec_b64 s[12:13], s[2:3]
	s_cbranch_execz .LBB52_170
; %bb.169:                              ;   in Loop: Header=BB52_114 Depth=1
	v_div_scale_f32 v18, s[2:3], v20, v20, v10
	v_div_scale_f32 v19, s[2:3], v21, v21, v11
	v_div_scale_f32 v22, vcc, v10, v20, v10
	v_div_scale_f32 v23, s[2:3], v11, v21, v11
	v_rcp_f32_e32 v24, v18
	v_rcp_f32_e32 v25, v19
	v_fma_f32 v31, -v18, v24, 1.0
	v_fmac_f32_e32 v24, v31, v24
	v_fma_f32 v32, -v19, v25, 1.0
	v_fmac_f32_e32 v25, v32, v25
	v_mul_f32_e32 v31, v22, v24
	v_mul_f32_e32 v32, v23, v25
	v_fma_f32 v33, -v18, v31, v22
	v_fma_f32 v34, -v19, v32, v23
	v_fmac_f32_e32 v31, v33, v24
	v_fmac_f32_e32 v32, v34, v25
	v_fma_f32 v18, -v18, v31, v22
	v_fma_f32 v19, -v19, v32, v23
	v_div_fmas_f32 v18, v18, v24, v31
	s_mov_b64 vcc, s[2:3]
	v_div_fmas_f32 v22, v19, v25, v32
	v_div_fixup_f32 v19, v18, v20, v10
	v_div_fixup_f32 v18, v22, v21, v11
.LBB52_170:                             ;   in Loop: Header=BB52_114 Depth=1
	s_or_b64 exec, exec, s[12:13]
.LBB52_171:                             ;   in Loop: Header=BB52_114 Depth=1
	s_andn2_saveexec_b64 s[2:3], s[4:5]
	s_cbranch_execz .LBB52_173
; %bb.172:                              ;   in Loop: Header=BB52_114 Depth=1
	v_div_scale_f32 v18, s[4:5], v15, v15, v14
	v_div_scale_f32 v19, vcc, v14, v15, v14
	v_rcp_f32_e32 v20, v18
	v_fma_f32 v21, -v18, v20, 1.0
	v_fmac_f32_e32 v20, v21, v20
	v_mul_f32_e32 v21, v19, v20
	v_fma_f32 v22, -v18, v21, v19
	v_fmac_f32_e32 v21, v22, v20
	v_fma_f32 v18, -v18, v21, v19
	v_div_fmas_f32 v18, v18, v20, v21
	v_div_fixup_f32 v18, v18, v15, v14
	v_fma_f32 v14, v14, v18, v15
	v_div_scale_f32 v15, s[4:5], v14, v14, 1.0
	v_div_scale_f32 v19, vcc, 1.0, v14, 1.0
	v_rcp_f32_e32 v20, v15
	v_fma_f32 v21, -v15, v20, 1.0
	v_fmac_f32_e32 v20, v21, v20
	v_mul_f32_e32 v21, v19, v20
	v_fma_f32 v22, -v15, v21, v19
	v_fmac_f32_e32 v21, v22, v20
	v_fma_f32 v15, -v15, v21, v19
	v_div_fmas_f32 v15, v15, v20, v21
	v_fma_f32 v19, v10, v18, v11
	v_fma_f32 v10, v11, v18, -v10
	v_div_fixup_f32 v11, v15, v14, 1.0
	v_mul_f32_e32 v19, v19, v11
	v_mul_f32_e32 v18, v10, v11
.LBB52_173:                             ;   in Loop: Header=BB52_114 Depth=1
	s_or_b64 exec, exec, s[2:3]
.LBB52_174:                             ;   in Loop: Header=BB52_114 Depth=1
	v_cmp_gt_f32_e32 vcc, 0, v16
	v_cndmask_b32_e64 v14, v16, -v16, vcc
	v_cmp_gt_f32_e32 vcc, 0, v17
	v_cndmask_b32_e64 v10, v17, -v17, vcc
	v_cmp_ge_f32_e64 s[2:3], v14, v10
	s_and_b64 vcc, exec, s[0:1]
	s_mov_b64 s[0:1], -1
                                        ; implicit-def: $vgpr20
                                        ; implicit-def: $vgpr21
	s_cbranch_vccnz .LBB52_184
; %bb.175:                              ;   in Loop: Header=BB52_114 Depth=1
                                        ; implicit-def: $vgpr15
                                        ; implicit-def: $vgpr11
	s_and_saveexec_b64 s[0:1], s[2:3]
	s_xor_b64 s[4:5], exec, s[0:1]
	s_cbranch_execz .LBB52_181
; %bb.176:                              ;   in Loop: Header=BB52_114 Depth=1
	v_cmp_neq_f32_e32 vcc, 0, v16
	v_cmp_neq_f32_e64 s[0:1], 0, v17
	s_or_b64 s[0:1], vcc, s[0:1]
                                        ; implicit-def: $vgpr15
                                        ; implicit-def: $vgpr11
	s_and_saveexec_b64 s[12:13], s[0:1]
	s_xor_b64 s[0:1], exec, s[12:13]
	s_cbranch_execz .LBB52_178
; %bb.177:                              ;   in Loop: Header=BB52_114 Depth=1
	v_div_scale_f32 v11, s[12:13], v16, v16, v17
	v_div_scale_f32 v15, vcc, v17, v16, v17
	v_rcp_f32_e32 v20, v11
	v_fma_f32 v21, -v11, v20, 1.0
	v_fmac_f32_e32 v20, v21, v20
	v_mul_f32_e32 v21, v15, v20
	v_fma_f32 v22, -v11, v21, v15
	v_fmac_f32_e32 v21, v22, v20
	v_fma_f32 v11, -v11, v21, v15
	v_div_fmas_f32 v11, v11, v20, v21
	v_div_fixup_f32 v11, v11, v16, v17
	v_fma_f32 v15, v17, v11, v16
	v_div_scale_f32 v20, s[12:13], v15, v15, 1.0
	v_div_scale_f32 v21, vcc, 1.0, v15, 1.0
	v_rcp_f32_e32 v22, v20
	v_fma_f32 v23, -v20, v22, 1.0
	v_fmac_f32_e32 v22, v23, v22
	v_mul_f32_e32 v23, v21, v22
	v_fma_f32 v24, -v20, v23, v21
	v_fmac_f32_e32 v23, v24, v22
	v_fma_f32 v20, -v20, v23, v21
	v_div_fmas_f32 v20, v20, v22, v23
	v_fma_f32 v21, v13, v11, v12
	v_fma_f32 v22, -v12, v11, v13
	v_div_fixup_f32 v15, v20, v15, 1.0
	v_mul_f32_e32 v11, v21, v15
	v_mul_f32_e32 v15, v22, v15
.LBB52_178:                             ;   in Loop: Header=BB52_114 Depth=1
	s_andn2_saveexec_b64 s[12:13], s[0:1]
	s_cbranch_execz .LBB52_180
; %bb.179:                              ;   in Loop: Header=BB52_114 Depth=1
	v_div_scale_f32 v11, s[0:1], v14, v14, v12
	v_div_scale_f32 v15, s[0:1], v10, v10, v13
	v_div_scale_f32 v20, vcc, v12, v14, v12
	v_div_scale_f32 v21, s[0:1], v13, v10, v13
	v_rcp_f32_e32 v22, v11
	v_rcp_f32_e32 v23, v15
	v_fma_f32 v24, -v11, v22, 1.0
	v_fmac_f32_e32 v22, v24, v22
	v_fma_f32 v25, -v15, v23, 1.0
	v_fmac_f32_e32 v23, v25, v23
	v_mul_f32_e32 v24, v20, v22
	v_mul_f32_e32 v25, v21, v23
	v_fma_f32 v31, -v11, v24, v20
	v_fma_f32 v32, -v15, v25, v21
	v_fmac_f32_e32 v24, v31, v22
	v_fmac_f32_e32 v25, v32, v23
	v_fma_f32 v11, -v11, v24, v20
	v_fma_f32 v15, -v15, v25, v21
	v_div_fmas_f32 v11, v11, v22, v24
	s_mov_b64 vcc, s[0:1]
	v_div_fmas_f32 v15, v15, v23, v25
	v_div_fixup_f32 v11, v11, v14, v12
	v_div_fixup_f32 v15, v15, v10, v13
.LBB52_180:                             ;   in Loop: Header=BB52_114 Depth=1
	s_or_b64 exec, exec, s[12:13]
.LBB52_181:                             ;   in Loop: Header=BB52_114 Depth=1
	s_andn2_saveexec_b64 s[0:1], s[4:5]
	s_cbranch_execz .LBB52_183
; %bb.182:                              ;   in Loop: Header=BB52_114 Depth=1
	v_div_scale_f32 v11, s[4:5], v17, v17, v16
	v_div_scale_f32 v15, vcc, v16, v17, v16
	v_rcp_f32_e32 v20, v11
	v_fma_f32 v21, -v11, v20, 1.0
	v_fmac_f32_e32 v20, v21, v20
	v_mul_f32_e32 v21, v15, v20
	v_fma_f32 v22, -v11, v21, v15
	v_fmac_f32_e32 v21, v22, v20
	v_fma_f32 v11, -v11, v21, v15
	v_div_fmas_f32 v11, v11, v20, v21
	v_div_fixup_f32 v11, v11, v17, v16
	v_fma_f32 v15, v16, v11, v17
	v_div_scale_f32 v20, s[4:5], v15, v15, 1.0
	v_div_scale_f32 v21, vcc, 1.0, v15, 1.0
	v_rcp_f32_e32 v22, v20
	v_fma_f32 v23, -v20, v22, 1.0
	v_fmac_f32_e32 v22, v23, v22
	v_mul_f32_e32 v23, v21, v22
	v_fma_f32 v24, -v20, v23, v21
	v_fmac_f32_e32 v23, v24, v22
	v_fma_f32 v20, -v20, v23, v21
	v_div_fmas_f32 v20, v20, v22, v23
	v_fma_f32 v21, v12, v11, v13
	v_fma_f32 v22, v13, v11, -v12
	v_div_fixup_f32 v15, v20, v15, 1.0
	v_mul_f32_e32 v11, v21, v15
	v_mul_f32_e32 v15, v22, v15
.LBB52_183:                             ;   in Loop: Header=BB52_114 Depth=1
	s_or_b64 exec, exec, s[0:1]
	v_mul_f32_e32 v20, s17, v15
	v_fma_f32 v21, v11, s16, -v20
	v_mul_f32_e32 v20, s16, v15
	v_fmac_f32_e32 v20, s17, v11
	s_mov_b64 s[0:1], 0
.LBB52_184:                             ;   in Loop: Header=BB52_114 Depth=1
	s_and_b64 vcc, exec, s[0:1]
	s_cbranch_vccz .LBB52_113
; %bb.185:                              ;   in Loop: Header=BB52_114 Depth=1
                                        ; implicit-def: $vgpr20
                                        ; implicit-def: $vgpr21
	s_and_saveexec_b64 s[0:1], s[2:3]
	s_xor_b64 s[2:3], exec, s[0:1]
	s_cbranch_execz .LBB52_191
; %bb.186:                              ;   in Loop: Header=BB52_114 Depth=1
	v_cmp_neq_f32_e32 vcc, 0, v16
	v_cmp_neq_f32_e64 s[0:1], 0, v17
	s_or_b64 s[0:1], vcc, s[0:1]
                                        ; implicit-def: $vgpr20
                                        ; implicit-def: $vgpr21
	s_and_saveexec_b64 s[4:5], s[0:1]
	s_xor_b64 s[0:1], exec, s[4:5]
	s_cbranch_execz .LBB52_188
; %bb.187:                              ;   in Loop: Header=BB52_114 Depth=1
	v_div_scale_f32 v10, s[4:5], v16, v16, v17
	v_div_scale_f32 v11, vcc, v17, v16, v17
	v_rcp_f32_e32 v14, v10
	v_fma_f32 v15, -v10, v14, 1.0
	v_fmac_f32_e32 v14, v15, v14
	v_mul_f32_e32 v15, v11, v14
	v_fma_f32 v20, -v10, v15, v11
	v_fmac_f32_e32 v15, v20, v14
	v_fma_f32 v10, -v10, v15, v11
	v_div_fmas_f32 v10, v10, v14, v15
	v_div_fixup_f32 v10, v10, v16, v17
	v_fmac_f32_e32 v16, v17, v10
	v_div_scale_f32 v11, s[4:5], v16, v16, 1.0
	v_div_scale_f32 v14, vcc, 1.0, v16, 1.0
	v_rcp_f32_e32 v15, v11
	v_fma_f32 v17, -v11, v15, 1.0
	v_fmac_f32_e32 v15, v17, v15
	v_mul_f32_e32 v17, v14, v15
	v_fma_f32 v20, -v11, v17, v14
	v_fmac_f32_e32 v17, v20, v15
	v_fma_f32 v11, -v11, v17, v14
	v_div_fmas_f32 v11, v11, v15, v17
	v_fma_f32 v14, v13, v10, v12
	v_fma_f32 v10, -v12, v10, v13
	v_div_fixup_f32 v11, v11, v16, 1.0
	v_mul_f32_e32 v21, v14, v11
	v_mul_f32_e32 v20, v10, v11
                                        ; implicit-def: $vgpr10_vgpr11_vgpr12_vgpr13
                                        ; implicit-def: $vgpr14
                                        ; implicit-def: $vgpr10
.LBB52_188:                             ;   in Loop: Header=BB52_114 Depth=1
	s_andn2_saveexec_b64 s[4:5], s[0:1]
	s_cbranch_execz .LBB52_190
; %bb.189:                              ;   in Loop: Header=BB52_114 Depth=1
	v_div_scale_f32 v11, s[0:1], v14, v14, v12
	v_div_scale_f32 v15, s[0:1], v10, v10, v13
	v_div_scale_f32 v16, vcc, v12, v14, v12
	v_div_scale_f32 v17, s[0:1], v13, v10, v13
	v_rcp_f32_e32 v20, v11
	v_rcp_f32_e32 v21, v15
	v_fma_f32 v22, -v11, v20, 1.0
	v_fmac_f32_e32 v20, v22, v20
	v_fma_f32 v23, -v15, v21, 1.0
	v_fmac_f32_e32 v21, v23, v21
	v_mul_f32_e32 v22, v16, v20
	v_mul_f32_e32 v23, v17, v21
	v_fma_f32 v24, -v11, v22, v16
	v_fma_f32 v25, -v15, v23, v17
	v_fmac_f32_e32 v22, v24, v20
	v_fmac_f32_e32 v23, v25, v21
	v_fma_f32 v11, -v11, v22, v16
	v_fma_f32 v15, -v15, v23, v17
	v_div_fmas_f32 v11, v11, v20, v22
	s_mov_b64 vcc, s[0:1]
	v_div_fmas_f32 v15, v15, v21, v23
	v_div_fixup_f32 v21, v11, v14, v12
	v_div_fixup_f32 v20, v15, v10, v13
.LBB52_190:                             ;   in Loop: Header=BB52_114 Depth=1
	s_or_b64 exec, exec, s[4:5]
                                        ; implicit-def: $vgpr14_vgpr15_vgpr16_vgpr17
                                        ; implicit-def: $vgpr10_vgpr11_vgpr12_vgpr13
.LBB52_191:                             ;   in Loop: Header=BB52_114 Depth=1
	s_andn2_saveexec_b64 s[0:1], s[2:3]
	s_cbranch_execz .LBB52_112
; %bb.192:                              ;   in Loop: Header=BB52_114 Depth=1
	v_div_scale_f32 v10, s[2:3], v17, v17, v16
	v_div_scale_f32 v11, vcc, v16, v17, v16
	v_rcp_f32_e32 v14, v10
	v_fma_f32 v15, -v10, v14, 1.0
	v_fmac_f32_e32 v14, v15, v14
	v_mul_f32_e32 v15, v11, v14
	v_fma_f32 v20, -v10, v15, v11
	v_fmac_f32_e32 v15, v20, v14
	v_fma_f32 v10, -v10, v15, v11
	v_div_fmas_f32 v10, v10, v14, v15
	v_div_fixup_f32 v10, v10, v17, v16
	v_fmac_f32_e32 v17, v16, v10
	v_div_scale_f32 v11, s[2:3], v17, v17, 1.0
	v_div_scale_f32 v14, vcc, 1.0, v17, 1.0
	v_rcp_f32_e32 v15, v11
	v_fma_f32 v16, -v11, v15, 1.0
	v_fmac_f32_e32 v15, v16, v15
	v_mul_f32_e32 v16, v14, v15
	v_fma_f32 v20, -v11, v16, v14
	v_fmac_f32_e32 v16, v20, v15
	v_fma_f32 v11, -v11, v16, v14
	v_div_fmas_f32 v11, v11, v15, v16
	v_fma_f32 v14, v12, v10, v13
	v_fma_f32 v10, v13, v10, -v12
	v_div_fixup_f32 v11, v11, v17, 1.0
	v_mul_f32_e32 v21, v14, v11
	v_mul_f32_e32 v20, v10, v11
	s_branch .LBB52_112
.LBB52_193:
	s_endpgm
	.section	.rodata,"a",@progbits
	.p2align	6, 0x0
	.amdhsa_kernel _ZN2at6native12_GLOBAL__N_125multi_tensor_apply_kernelINS1_18TensorListMetadataILi4EEENS1_24PointwiseOpScalarFunctorIN3c107complexIfEELi4ELi3ELi3EEEJSt7dividesIS8_ES8_EEEvT_T0_DpT1_
		.amdhsa_group_segment_fixed_size 0
		.amdhsa_private_segment_fixed_size 0
		.amdhsa_kernarg_size 3320
		.amdhsa_user_sgpr_count 6
		.amdhsa_user_sgpr_private_segment_buffer 1
		.amdhsa_user_sgpr_dispatch_ptr 0
		.amdhsa_user_sgpr_queue_ptr 0
		.amdhsa_user_sgpr_kernarg_segment_ptr 1
		.amdhsa_user_sgpr_dispatch_id 0
		.amdhsa_user_sgpr_flat_scratch_init 0
		.amdhsa_user_sgpr_private_segment_size 0
		.amdhsa_uses_dynamic_stack 0
		.amdhsa_system_sgpr_private_segment_wavefront_offset 0
		.amdhsa_system_sgpr_workgroup_id_x 1
		.amdhsa_system_sgpr_workgroup_id_y 0
		.amdhsa_system_sgpr_workgroup_id_z 0
		.amdhsa_system_sgpr_workgroup_info 0
		.amdhsa_system_vgpr_workitem_id 0
		.amdhsa_next_free_vgpr 45
		.amdhsa_next_free_sgpr 45
		.amdhsa_reserve_vcc 1
		.amdhsa_reserve_flat_scratch 0
		.amdhsa_float_round_mode_32 0
		.amdhsa_float_round_mode_16_64 0
		.amdhsa_float_denorm_mode_32 3
		.amdhsa_float_denorm_mode_16_64 3
		.amdhsa_dx10_clamp 1
		.amdhsa_ieee_mode 1
		.amdhsa_fp16_overflow 0
		.amdhsa_exception_fp_ieee_invalid_op 0
		.amdhsa_exception_fp_denorm_src 0
		.amdhsa_exception_fp_ieee_div_zero 0
		.amdhsa_exception_fp_ieee_overflow 0
		.amdhsa_exception_fp_ieee_underflow 0
		.amdhsa_exception_fp_ieee_inexact 0
		.amdhsa_exception_int_div_zero 0
	.end_amdhsa_kernel
	.section	.text._ZN2at6native12_GLOBAL__N_125multi_tensor_apply_kernelINS1_18TensorListMetadataILi4EEENS1_24PointwiseOpScalarFunctorIN3c107complexIfEELi4ELi3ELi3EEEJSt7dividesIS8_ES8_EEEvT_T0_DpT1_,"axG",@progbits,_ZN2at6native12_GLOBAL__N_125multi_tensor_apply_kernelINS1_18TensorListMetadataILi4EEENS1_24PointwiseOpScalarFunctorIN3c107complexIfEELi4ELi3ELi3EEEJSt7dividesIS8_ES8_EEEvT_T0_DpT1_,comdat
.Lfunc_end52:
	.size	_ZN2at6native12_GLOBAL__N_125multi_tensor_apply_kernelINS1_18TensorListMetadataILi4EEENS1_24PointwiseOpScalarFunctorIN3c107complexIfEELi4ELi3ELi3EEEJSt7dividesIS8_ES8_EEEvT_T0_DpT1_, .Lfunc_end52-_ZN2at6native12_GLOBAL__N_125multi_tensor_apply_kernelINS1_18TensorListMetadataILi4EEENS1_24PointwiseOpScalarFunctorIN3c107complexIfEELi4ELi3ELi3EEEJSt7dividesIS8_ES8_EEEvT_T0_DpT1_
                                        ; -- End function
	.set _ZN2at6native12_GLOBAL__N_125multi_tensor_apply_kernelINS1_18TensorListMetadataILi4EEENS1_24PointwiseOpScalarFunctorIN3c107complexIfEELi4ELi3ELi3EEEJSt7dividesIS8_ES8_EEEvT_T0_DpT1_.num_vgpr, 45
	.set _ZN2at6native12_GLOBAL__N_125multi_tensor_apply_kernelINS1_18TensorListMetadataILi4EEENS1_24PointwiseOpScalarFunctorIN3c107complexIfEELi4ELi3ELi3EEEJSt7dividesIS8_ES8_EEEvT_T0_DpT1_.num_agpr, 0
	.set _ZN2at6native12_GLOBAL__N_125multi_tensor_apply_kernelINS1_18TensorListMetadataILi4EEENS1_24PointwiseOpScalarFunctorIN3c107complexIfEELi4ELi3ELi3EEEJSt7dividesIS8_ES8_EEEvT_T0_DpT1_.numbered_sgpr, 45
	.set _ZN2at6native12_GLOBAL__N_125multi_tensor_apply_kernelINS1_18TensorListMetadataILi4EEENS1_24PointwiseOpScalarFunctorIN3c107complexIfEELi4ELi3ELi3EEEJSt7dividesIS8_ES8_EEEvT_T0_DpT1_.num_named_barrier, 0
	.set _ZN2at6native12_GLOBAL__N_125multi_tensor_apply_kernelINS1_18TensorListMetadataILi4EEENS1_24PointwiseOpScalarFunctorIN3c107complexIfEELi4ELi3ELi3EEEJSt7dividesIS8_ES8_EEEvT_T0_DpT1_.private_seg_size, 0
	.set _ZN2at6native12_GLOBAL__N_125multi_tensor_apply_kernelINS1_18TensorListMetadataILi4EEENS1_24PointwiseOpScalarFunctorIN3c107complexIfEELi4ELi3ELi3EEEJSt7dividesIS8_ES8_EEEvT_T0_DpT1_.uses_vcc, 1
	.set _ZN2at6native12_GLOBAL__N_125multi_tensor_apply_kernelINS1_18TensorListMetadataILi4EEENS1_24PointwiseOpScalarFunctorIN3c107complexIfEELi4ELi3ELi3EEEJSt7dividesIS8_ES8_EEEvT_T0_DpT1_.uses_flat_scratch, 0
	.set _ZN2at6native12_GLOBAL__N_125multi_tensor_apply_kernelINS1_18TensorListMetadataILi4EEENS1_24PointwiseOpScalarFunctorIN3c107complexIfEELi4ELi3ELi3EEEJSt7dividesIS8_ES8_EEEvT_T0_DpT1_.has_dyn_sized_stack, 0
	.set _ZN2at6native12_GLOBAL__N_125multi_tensor_apply_kernelINS1_18TensorListMetadataILi4EEENS1_24PointwiseOpScalarFunctorIN3c107complexIfEELi4ELi3ELi3EEEJSt7dividesIS8_ES8_EEEvT_T0_DpT1_.has_recursion, 0
	.set _ZN2at6native12_GLOBAL__N_125multi_tensor_apply_kernelINS1_18TensorListMetadataILi4EEENS1_24PointwiseOpScalarFunctorIN3c107complexIfEELi4ELi3ELi3EEEJSt7dividesIS8_ES8_EEEvT_T0_DpT1_.has_indirect_call, 0
	.section	.AMDGPU.csdata,"",@progbits
; Kernel info:
; codeLenInByte = 11240
; TotalNumSgprs: 49
; NumVgprs: 45
; ScratchSize: 0
; MemoryBound: 1
; FloatMode: 240
; IeeeMode: 1
; LDSByteSize: 0 bytes/workgroup (compile time only)
; SGPRBlocks: 6
; VGPRBlocks: 11
; NumSGPRsForWavesPerEU: 49
; NumVGPRsForWavesPerEU: 45
; Occupancy: 5
; WaveLimiterHint : 0
; COMPUTE_PGM_RSRC2:SCRATCH_EN: 0
; COMPUTE_PGM_RSRC2:USER_SGPR: 6
; COMPUTE_PGM_RSRC2:TRAP_HANDLER: 0
; COMPUTE_PGM_RSRC2:TGID_X_EN: 1
; COMPUTE_PGM_RSRC2:TGID_Y_EN: 0
; COMPUTE_PGM_RSRC2:TGID_Z_EN: 0
; COMPUTE_PGM_RSRC2:TIDIG_COMP_CNT: 0
	.section	.text._ZN2at6native12_GLOBAL__N_125multi_tensor_apply_kernelINS1_18TensorListMetadataILi4EEENS1_24PointwiseOpScalarFunctorIN3c104HalfELi4ELi3ELi3EEEJSt7dividesIfEfEEEvT_T0_DpT1_,"axG",@progbits,_ZN2at6native12_GLOBAL__N_125multi_tensor_apply_kernelINS1_18TensorListMetadataILi4EEENS1_24PointwiseOpScalarFunctorIN3c104HalfELi4ELi3ELi3EEEJSt7dividesIfEfEEEvT_T0_DpT1_,comdat
	.globl	_ZN2at6native12_GLOBAL__N_125multi_tensor_apply_kernelINS1_18TensorListMetadataILi4EEENS1_24PointwiseOpScalarFunctorIN3c104HalfELi4ELi3ELi3EEEJSt7dividesIfEfEEEvT_T0_DpT1_ ; -- Begin function _ZN2at6native12_GLOBAL__N_125multi_tensor_apply_kernelINS1_18TensorListMetadataILi4EEENS1_24PointwiseOpScalarFunctorIN3c104HalfELi4ELi3ELi3EEEJSt7dividesIfEfEEEvT_T0_DpT1_
	.p2align	8
	.type	_ZN2at6native12_GLOBAL__N_125multi_tensor_apply_kernelINS1_18TensorListMetadataILi4EEENS1_24PointwiseOpScalarFunctorIN3c104HalfELi4ELi3ELi3EEEJSt7dividesIfEfEEEvT_T0_DpT1_,@function
_ZN2at6native12_GLOBAL__N_125multi_tensor_apply_kernelINS1_18TensorListMetadataILi4EEENS1_24PointwiseOpScalarFunctorIN3c104HalfELi4ELi3ELi3EEEJSt7dividesIfEfEEEvT_T0_DpT1_: ; @_ZN2at6native12_GLOBAL__N_125multi_tensor_apply_kernelINS1_18TensorListMetadataILi4EEENS1_24PointwiseOpScalarFunctorIN3c104HalfELi4ELi3ELi3EEEJSt7dividesIfEfEEEvT_T0_DpT1_
; %bb.0:
	v_mov_b32_e32 v1, s6
	global_load_ubyte v1, v1, s[4:5] offset:1440
	s_add_u32 s0, s4, s6
	s_mul_hi_u32 s1, s6, 3
	s_mul_i32 s6, s6, 3
	s_addc_u32 s2, s5, 0
	s_add_u32 s0, s0, s6
	s_addc_u32 s1, s2, s1
	s_load_dword s0, s[0:1], 0x6e0
	s_mov_b32 s17, 0
	s_mov_b32 s15, s17
	;; [unrolled: 1-line block ×3, first 2 shown]
	s_waitcnt lgkmcnt(0)
	s_ashr_i32 s1, s0, 31
	s_lshl_b64 s[12:13], s[0:1], 17
	s_waitcnt vmcnt(0)
	v_readfirstlane_b32 s2, v1
	s_lshl_b32 s14, s2, 3
	s_load_dwordx2 s[10:11], s[4:5], s14 offset:0x0
	s_load_dword s24, s[4:5], 0xbec
	s_load_dwordx2 s[20:21], s[4:5], s14 offset:0x480
	s_load_dwordx2 s[8:9], s[4:5], s14 offset:0x120
	;; [unrolled: 1-line block ×4, first 2 shown]
	s_waitcnt lgkmcnt(0)
	s_add_u32 s25, s10, s12
	s_addc_u32 s26, s11, s13
	s_and_b32 s16, s25, 7
	s_add_u32 s27, s8, s12
	s_addc_u32 s28, s9, s13
	s_and_b32 s14, s27, 7
	s_cmp_eq_u64 s[14:15], 0
	s_cselect_b64 s[14:15], -1, 0
	s_add_u32 s29, s6, s12
	s_addc_u32 s30, s7, s13
	s_add_u32 s31, s2, s12
	s_addc_u32 s33, s3, s13
	s_or_b32 s18, s31, s29
	s_and_b32 s18, s18, 7
	s_cmp_eq_u32 s18, 0
	s_cselect_b64 s[22:23], -1, 0
	s_lshl_b64 s[0:1], s[0:1], 16
	s_and_b64 s[22:23], s[22:23], s[14:15]
	s_sub_u32 s14, s20, s0
	s_subb_u32 s15, s21, s1
	s_and_b32 s18, s20, 3
	s_or_b64 s[0:1], s[16:17], s[18:19]
	s_cmp_eq_u64 s[0:1], 0
	s_cselect_b64 s[0:1], -1, 0
	s_and_b64 s[16:17], s[22:23], s[0:1]
	s_mov_b64 s[0:1], -1
	s_and_b64 vcc, exec, s[16:17]
	s_cbranch_vccnz .LBB53_29
; %bb.1:
	v_cmp_lt_i64_e64 s[0:1], s[14:15], 1
	s_and_b64 vcc, exec, s[0:1]
	s_cbranch_vccnz .LBB53_28
; %bb.2:
	v_mov_b32_e32 v1, 0x10000
	s_load_dword s18, s[4:5], 0xbfc
	v_mov_b32_e32 v2, 0
	v_cmp_lt_i64_e32 vcc, s[14:15], v[1:2]
	v_mov_b32_e32 v24, 0
	s_and_b64 s[0:1], vcc, exec
	s_cselect_b32 s17, s15, 0
	s_cselect_b32 s16, s14, 0x10000
	s_waitcnt lgkmcnt(0)
	s_and_b32 s20, s18, 0xffff
	v_lshlrev_b32_e32 v23, 1, v0
	v_mad_u64_u32 v[7:8], s[0:1], s20, 6, v[23:24]
	v_cmp_lt_u64_e32 vcc, s[14:15], v[1:2]
	v_mov_b32_e32 v2, s11
	s_and_b64 s[0:1], vcc, exec
	v_add_co_u32_e32 v1, vcc, s10, v7
	v_addc_co_u32_e32 v2, vcc, v2, v8, vcc
	v_mov_b32_e32 v4, s9
	v_add_co_u32_e32 v3, vcc, s8, v7
	v_addc_co_u32_e32 v4, vcc, v4, v8, vcc
	v_mov_b32_e32 v6, s7
	;; [unrolled: 3-line block ×3, first 2 shown]
	v_add_co_u32_e32 v7, vcc, s2, v7
	s_cselect_b32 s19, s15, 0
	s_cselect_b32 s18, s14, 0x10000
	s_lshl_b32 s34, s20, 2
	v_addc_co_u32_e32 v8, vcc, v9, v8, vcc
	v_add_co_u32_e32 v15, vcc, s34, v23
	v_addc_co_u32_e64 v16, s[0:1], 0, 0, vcc
	v_mov_b32_e32 v10, s11
	v_add_co_u32_e32 v9, vcc, s10, v15
	v_addc_co_u32_e32 v10, vcc, v10, v16, vcc
	v_mov_b32_e32 v12, s9
	v_add_co_u32_e32 v11, vcc, s8, v15
	v_addc_co_u32_e32 v12, vcc, v12, v16, vcc
	;; [unrolled: 3-line block ×8, first 2 shown]
	v_add_co_u32_e32 v25, vcc, s20, v0
	v_lshlrev_b32_e32 v33, 1, v25
	s_lshl_b32 s22, s20, 1
	s_mul_i32 s23, s20, 3
	s_lshl_b32 s35, s20, 3
	v_addc_co_u32_e64 v26, s[20:21], 0, 0, vcc
	v_mov_b32_e32 v28, s11
	v_add_co_u32_e32 v27, vcc, s10, v33
	v_addc_co_u32_e32 v28, vcc, 0, v28, vcc
	v_mov_b32_e32 v30, s9
	v_add_co_u32_e32 v29, vcc, s8, v33
	v_addc_co_u32_e32 v30, vcc, 0, v30, vcc
	;; [unrolled: 3-line block ×4, first 2 shown]
	v_add_co_u32_e32 v35, vcc, s23, v0
	v_addc_co_u32_e64 v36, s[2:3], 0, 0, vcc
	v_add_co_u32_e32 v37, vcc, s22, v0
	v_cmp_eq_f32_e64 s[0:1], s24, 1.0
	s_mov_b64 s[20:21], 0
	v_addc_co_u32_e64 v38, s[2:3], 0, 0, vcc
	s_branch .LBB53_4
.LBB53_3:                               ;   in Loop: Header=BB53_4 Depth=1
	s_or_b64 exec, exec, s[2:3]
	v_add_co_u32_e32 v17, vcc, s35, v17
	v_addc_co_u32_e32 v18, vcc, 0, v18, vcc
	v_add_co_u32_e32 v19, vcc, s35, v19
	v_addc_co_u32_e32 v20, vcc, 0, v20, vcc
	;; [unrolled: 2-line block ×14, first 2 shown]
	s_add_u32 s20, s20, s34
	v_add_co_u32_e32 v31, vcc, s35, v31
	v_mov_b32_e32 v40, s17
	s_addc_u32 s21, s21, 0
	v_addc_co_u32_e32 v32, vcc, 0, v32, vcc
	v_mov_b32_e32 v39, s16
	v_cmp_lt_i64_e32 vcc, s[20:21], v[39:40]
	v_add_co_u32_e64 v33, s[2:3], s35, v33
	v_addc_co_u32_e64 v34, s[2:3], 0, v34, s[2:3]
	s_cbranch_vccz .LBB53_28
.LBB53_4:                               ; =>This Inner Loop Header: Depth=1
	v_mov_b32_e32 v40, s21
	v_add_co_u32_e32 v39, vcc, s20, v0
	v_addc_co_u32_e32 v40, vcc, 0, v40, vcc
	v_cmp_gt_u64_e32 vcc, s[18:19], v[39:40]
	v_mov_b32_e32 v41, 0
	v_mov_b32_e32 v40, 0
	s_and_saveexec_b64 s[6:7], vcc
	s_cbranch_execz .LBB53_6
; %bb.5:                                ;   in Loop: Header=BB53_4 Depth=1
	v_mov_b32_e32 v42, s13
	v_add_co_u32_e64 v39, s[2:3], s12, v19
	v_addc_co_u32_e64 v40, s[2:3], v20, v42, s[2:3]
	v_add_co_u32_e64 v41, s[2:3], s12, v17
	v_addc_co_u32_e64 v42, s[2:3], v18, v42, s[2:3]
	global_load_ushort v43, v[41:42], off
	global_load_ushort v44, v[39:40], off
	s_waitcnt vmcnt(1)
	v_cvt_f32_f16_e32 v40, v43
	s_waitcnt vmcnt(0)
	v_cvt_f32_f16_e32 v41, v44
.LBB53_6:                               ;   in Loop: Header=BB53_4 Depth=1
	s_or_b64 exec, exec, s[6:7]
	v_mov_b32_e32 v39, 0
	v_mov_b32_e32 v45, 0
	s_and_saveexec_b64 s[6:7], vcc
	s_cbranch_execz .LBB53_8
; %bb.7:                                ;   in Loop: Header=BB53_4 Depth=1
	v_mov_b32_e32 v43, s13
	v_add_co_u32_e64 v42, s[2:3], s12, v21
	v_addc_co_u32_e64 v43, s[2:3], v22, v43, s[2:3]
	global_load_ushort v42, v[42:43], off
	s_waitcnt vmcnt(0)
	v_cvt_f32_f16_e32 v45, v42
.LBB53_8:                               ;   in Loop: Header=BB53_4 Depth=1
	s_or_b64 exec, exec, s[6:7]
	v_mov_b32_e32 v43, s21
	v_add_co_u32_e64 v42, s[2:3], s20, v25
	v_addc_co_u32_e64 v43, s[2:3], v26, v43, s[2:3]
	v_cmp_gt_u64_e64 s[2:3], s[18:19], v[42:43]
	v_mov_b32_e32 v43, 0
	s_and_saveexec_b64 s[8:9], s[2:3]
	s_cbranch_execz .LBB53_10
; %bb.9:                                ;   in Loop: Header=BB53_4 Depth=1
	v_mov_b32_e32 v39, s13
	v_add_co_u32_e64 v42, s[6:7], s12, v29
	v_addc_co_u32_e64 v43, s[6:7], v30, v39, s[6:7]
	v_add_co_u32_e64 v46, s[6:7], s12, v27
	v_addc_co_u32_e64 v47, s[6:7], v28, v39, s[6:7]
	global_load_ushort v39, v[46:47], off
	global_load_ushort v44, v[42:43], off
	s_waitcnt vmcnt(1)
	v_cvt_f32_f16_e32 v43, v39
	s_waitcnt vmcnt(0)
	v_cvt_f32_f16_e32 v39, v44
.LBB53_10:                              ;   in Loop: Header=BB53_4 Depth=1
	s_or_b64 exec, exec, s[8:9]
	v_mov_b32_e32 v42, 0
	v_mov_b32_e32 v47, 0
	s_and_saveexec_b64 s[8:9], s[2:3]
	s_cbranch_execz .LBB53_12
; %bb.11:                               ;   in Loop: Header=BB53_4 Depth=1
	v_mov_b32_e32 v44, s13
	v_add_co_u32_e64 v46, s[6:7], s12, v31
	v_addc_co_u32_e64 v47, s[6:7], v32, v44, s[6:7]
	global_load_ushort v44, v[46:47], off
	s_waitcnt vmcnt(0)
	v_cvt_f32_f16_e32 v47, v44
.LBB53_12:                              ;   in Loop: Header=BB53_4 Depth=1
	s_or_b64 exec, exec, s[8:9]
	v_mov_b32_e32 v44, s21
	v_add_co_u32_e64 v48, s[6:7], s20, v37
	v_addc_co_u32_e64 v49, s[6:7], v38, v44, s[6:7]
	v_cmp_gt_u64_e64 s[6:7], s[18:19], v[48:49]
	v_mov_b32_e32 v46, 0
	s_and_saveexec_b64 s[10:11], s[6:7]
	s_cbranch_execz .LBB53_14
; %bb.13:                               ;   in Loop: Header=BB53_4 Depth=1
	v_mov_b32_e32 v42, s13
	v_add_co_u32_e64 v48, s[8:9], s12, v11
	v_addc_co_u32_e64 v49, s[8:9], v12, v42, s[8:9]
	v_add_co_u32_e64 v50, s[8:9], s12, v9
	v_addc_co_u32_e64 v51, s[8:9], v10, v42, s[8:9]
	global_load_ushort v42, v[50:51], off
	global_load_ushort v44, v[48:49], off
	s_waitcnt vmcnt(1)
	v_cvt_f32_f16_e32 v46, v42
	s_waitcnt vmcnt(0)
	v_cvt_f32_f16_e32 v42, v44
.LBB53_14:                              ;   in Loop: Header=BB53_4 Depth=1
	s_or_b64 exec, exec, s[10:11]
	v_mov_b32_e32 v44, 0
	v_mov_b32_e32 v49, 0
	s_and_saveexec_b64 s[10:11], s[6:7]
	s_cbranch_execz .LBB53_16
; %bb.15:                               ;   in Loop: Header=BB53_4 Depth=1
	v_mov_b32_e32 v49, s13
	v_add_co_u32_e64 v48, s[8:9], s12, v13
	v_addc_co_u32_e64 v49, s[8:9], v14, v49, s[8:9]
	global_load_ushort v48, v[48:49], off
	s_waitcnt vmcnt(0)
	v_cvt_f32_f16_e32 v49, v48
.LBB53_16:                              ;   in Loop: Header=BB53_4 Depth=1
	s_or_b64 exec, exec, s[10:11]
	v_mov_b32_e32 v48, s21
	v_add_co_u32_e64 v50, s[8:9], s20, v35
	v_addc_co_u32_e64 v51, s[8:9], v36, v48, s[8:9]
	v_cmp_gt_u64_e64 s[8:9], s[18:19], v[50:51]
	v_mov_b32_e32 v48, 0
	s_and_saveexec_b64 s[22:23], s[8:9]
	s_cbranch_execnz .LBB53_22
; %bb.17:                               ;   in Loop: Header=BB53_4 Depth=1
	s_or_b64 exec, exec, s[22:23]
	v_mov_b32_e32 v50, 0
	s_and_saveexec_b64 s[22:23], s[8:9]
	s_cbranch_execnz .LBB53_23
.LBB53_18:                              ;   in Loop: Header=BB53_4 Depth=1
	s_or_b64 exec, exec, s[22:23]
	s_and_saveexec_b64 s[10:11], vcc
	s_cbranch_execnz .LBB53_24
.LBB53_19:                              ;   in Loop: Header=BB53_4 Depth=1
	s_or_b64 exec, exec, s[10:11]
	s_and_saveexec_b64 s[10:11], s[2:3]
	s_cbranch_execnz .LBB53_25
.LBB53_20:                              ;   in Loop: Header=BB53_4 Depth=1
	s_or_b64 exec, exec, s[10:11]
	s_and_saveexec_b64 s[2:3], s[6:7]
	s_cbranch_execnz .LBB53_26
.LBB53_21:                              ;   in Loop: Header=BB53_4 Depth=1
	s_or_b64 exec, exec, s[2:3]
	s_and_saveexec_b64 s[2:3], s[8:9]
	s_cbranch_execz .LBB53_3
	s_branch .LBB53_27
.LBB53_22:                              ;   in Loop: Header=BB53_4 Depth=1
	v_mov_b32_e32 v44, s13
	v_add_co_u32_e64 v50, s[10:11], s12, v3
	v_addc_co_u32_e64 v51, s[10:11], v4, v44, s[10:11]
	v_add_co_u32_e64 v52, s[10:11], s12, v1
	v_addc_co_u32_e64 v53, s[10:11], v2, v44, s[10:11]
	global_load_ushort v44, v[52:53], off
	global_load_ushort v54, v[50:51], off
	s_waitcnt vmcnt(1)
	v_cvt_f32_f16_e32 v48, v44
	s_waitcnt vmcnt(0)
	v_cvt_f32_f16_e32 v44, v54
	s_or_b64 exec, exec, s[22:23]
	v_mov_b32_e32 v50, 0
	s_and_saveexec_b64 s[22:23], s[8:9]
	s_cbranch_execz .LBB53_18
.LBB53_23:                              ;   in Loop: Header=BB53_4 Depth=1
	v_mov_b32_e32 v51, s13
	v_add_co_u32_e64 v50, s[10:11], s12, v5
	v_addc_co_u32_e64 v51, s[10:11], v6, v51, s[10:11]
	global_load_ushort v50, v[50:51], off
	s_waitcnt vmcnt(0)
	v_cvt_f32_f16_e32 v50, v50
	s_or_b64 exec, exec, s[22:23]
	s_and_saveexec_b64 s[10:11], vcc
	s_cbranch_execz .LBB53_19
.LBB53_24:                              ;   in Loop: Header=BB53_4 Depth=1
	v_div_scale_f32 v51, s[22:23], v45, v45, v41
	v_div_scale_f32 v52, vcc, v41, v45, v41
	v_rcp_f32_e32 v53, v51
	v_fma_f32 v54, -v51, v53, 1.0
	v_fmac_f32_e32 v53, v54, v53
	v_mul_f32_e32 v54, v52, v53
	v_fma_f32 v55, -v51, v54, v52
	v_fmac_f32_e32 v54, v55, v53
	v_fma_f32 v51, -v51, v54, v52
	v_div_fmas_f32 v51, v51, v53, v54
	v_mov_b32_e32 v52, s13
	v_div_fixup_f32 v41, v51, v45, v41
	v_add_f32_e32 v45, v40, v41
	v_fmac_f32_e32 v40, s24, v41
	v_cndmask_b32_e64 v40, v40, v45, s[0:1]
	v_cvt_f16_f32_e32 v45, v40
	v_add_co_u32_e32 v40, vcc, s12, v23
	v_addc_co_u32_e32 v41, vcc, v24, v52, vcc
	global_store_short v[40:41], v45, off
	s_or_b64 exec, exec, s[10:11]
	s_and_saveexec_b64 s[10:11], s[2:3]
	s_cbranch_execz .LBB53_20
.LBB53_25:                              ;   in Loop: Header=BB53_4 Depth=1
	v_div_scale_f32 v40, s[2:3], v47, v47, v39
	v_div_scale_f32 v41, vcc, v39, v47, v39
	v_rcp_f32_e32 v45, v40
	v_fma_f32 v51, -v40, v45, 1.0
	v_fmac_f32_e32 v45, v51, v45
	v_mul_f32_e32 v51, v41, v45
	v_fma_f32 v52, -v40, v51, v41
	v_fmac_f32_e32 v51, v52, v45
	v_fma_f32 v40, -v40, v51, v41
	v_div_fmas_f32 v40, v40, v45, v51
	v_mov_b32_e32 v41, s13
	v_div_fixup_f32 v39, v40, v47, v39
	v_add_f32_e32 v40, v43, v39
	v_fmac_f32_e32 v43, s24, v39
	v_cndmask_b32_e64 v39, v43, v40, s[0:1]
	v_cvt_f16_f32_e32 v43, v39
	v_add_co_u32_e32 v39, vcc, s12, v33
	v_addc_co_u32_e32 v40, vcc, v34, v41, vcc
	global_store_short v[39:40], v43, off
	s_or_b64 exec, exec, s[10:11]
	s_and_saveexec_b64 s[2:3], s[6:7]
	s_cbranch_execz .LBB53_21
.LBB53_26:                              ;   in Loop: Header=BB53_4 Depth=1
	v_div_scale_f32 v39, s[6:7], v49, v49, v42
	v_div_scale_f32 v40, vcc, v42, v49, v42
	v_rcp_f32_e32 v41, v39
	v_fma_f32 v43, -v39, v41, 1.0
	v_fmac_f32_e32 v41, v43, v41
	v_mul_f32_e32 v43, v40, v41
	v_fma_f32 v45, -v39, v43, v40
	v_fmac_f32_e32 v43, v45, v41
	v_fma_f32 v39, -v39, v43, v40
	v_div_fmas_f32 v39, v39, v41, v43
	v_mov_b32_e32 v40, s13
	v_div_fixup_f32 v39, v39, v49, v42
	v_add_f32_e32 v41, v46, v39
	v_fmac_f32_e32 v46, s24, v39
	v_cndmask_b32_e64 v39, v46, v41, s[0:1]
	v_cvt_f16_f32_e32 v41, v39
	v_add_co_u32_e32 v39, vcc, s12, v15
	v_addc_co_u32_e32 v40, vcc, v16, v40, vcc
	global_store_short v[39:40], v41, off
	s_or_b64 exec, exec, s[2:3]
	s_and_saveexec_b64 s[2:3], s[8:9]
	s_cbranch_execz .LBB53_3
.LBB53_27:                              ;   in Loop: Header=BB53_4 Depth=1
	v_div_scale_f32 v39, s[6:7], v50, v50, v44
	v_div_scale_f32 v40, vcc, v44, v50, v44
	v_rcp_f32_e32 v41, v39
	v_fma_f32 v42, -v39, v41, 1.0
	v_fmac_f32_e32 v41, v42, v41
	v_mul_f32_e32 v42, v40, v41
	v_fma_f32 v43, -v39, v42, v40
	v_fmac_f32_e32 v42, v43, v41
	v_fma_f32 v39, -v39, v42, v40
	v_div_fmas_f32 v39, v39, v41, v42
	v_mov_b32_e32 v40, s13
	v_div_fixup_f32 v39, v39, v50, v44
	v_add_f32_e32 v41, v48, v39
	v_fmac_f32_e32 v48, s24, v39
	v_cndmask_b32_e64 v39, v48, v41, s[0:1]
	v_cvt_f16_f32_e32 v41, v39
	v_add_co_u32_e32 v39, vcc, s12, v7
	v_addc_co_u32_e32 v40, vcc, v8, v40, vcc
	global_store_short v[39:40], v41, off
	s_branch .LBB53_3
.LBB53_28:
	s_mov_b64 s[0:1], 0
.LBB53_29:
	s_andn2_b64 vcc, exec, s[0:1]
	s_cbranch_vccnz .LBB53_33
; %bb.30:
	v_mov_b32_e32 v1, 0x10000
	v_mov_b32_e32 v2, 0
	v_cmp_lt_i64_e32 vcc, s[14:15], v[1:2]
	v_mov_b32_e32 v2, 0
	s_and_b64 s[0:1], vcc, exec
	s_cselect_b32 s11, s15, 0
	s_cselect_b32 s10, s14, 0x10000
	v_lshlrev_b32_e32 v1, 2, v0
	v_cmp_gt_i64_e32 vcc, s[10:11], v[1:2]
	s_and_saveexec_b64 s[0:1], vcc
	s_cbranch_execz .LBB53_33
; %bb.31:
	s_load_dword s2, s[4:5], 0xbfc
	v_mov_b32_e32 v1, v2
	v_cmp_eq_f32_e64 s[0:1], s24, 1.0
	s_mov_b32 s14, s24
	v_lshlrev_b32_e32 v2, 3, v0
	s_waitcnt lgkmcnt(0)
	s_and_b32 s15, s2, 0xffff
	s_lshl_b32 s16, s15, 3
	s_mov_b64 s[12:13], 0
.LBB53_32:                              ; =>This Inner Loop Header: Depth=1
	v_mov_b32_e32 v4, s26
	v_add_co_u32_e32 v3, vcc, s25, v2
	v_mov_b32_e32 v6, s28
	v_add_co_u32_e64 v5, s[2:3], s27, v2
	v_mov_b32_e32 v8, s30
	v_add_co_u32_e64 v7, s[4:5], s29, v2
	v_addc_co_u32_e32 v4, vcc, 0, v4, vcc
	v_addc_co_u32_e64 v6, vcc, 0, v6, s[2:3]
	v_addc_co_u32_e64 v8, vcc, 0, v8, s[4:5]
	global_load_dwordx2 v[13:14], v[5:6], off
	global_load_dwordx2 v[15:16], v[7:8], off
	;; [unrolled: 1-line block ×3, first 2 shown]
	v_mov_b32_e32 v10, s33
	v_add_co_u32_e64 v9, s[6:7], s31, v2
	v_addc_co_u32_e64 v10, vcc, 0, v10, s[6:7]
	v_add_co_u32_e64 v0, s[8:9], s15, v0
	v_addc_co_u32_e64 v1, s[8:9], 0, v1, s[8:9]
	v_lshlrev_b64 v[11:12], 2, v[0:1]
	s_add_u32 s25, s25, s16
	v_cmp_le_i64_e64 s[2:3], s[10:11], v[11:12]
	s_addc_u32 s26, s26, 0
	s_add_u32 s27, s27, s16
	s_addc_u32 s28, s28, 0
	s_add_u32 s29, s29, s16
	;; [unrolled: 2-line block ×3, first 2 shown]
	s_addc_u32 s33, s33, 0
	s_or_b64 s[12:13], s[2:3], s[12:13]
	s_waitcnt vmcnt(2)
	v_cvt_f32_f16_e32 v4, v13
	s_waitcnt vmcnt(1)
	v_cvt_f32_f16_e32 v5, v15
	v_cvt_f32_f16_sdwa v7, v14 dst_sel:DWORD dst_unused:UNUSED_PAD src0_sel:WORD_1
	v_cvt_f32_f16_sdwa v8, v16 dst_sel:DWORD dst_unused:UNUSED_PAD src0_sel:WORD_1
	v_cvt_f32_f16_e32 v14, v14
	v_cvt_f32_f16_e32 v16, v16
	v_cvt_f32_f16_sdwa v13, v13 dst_sel:DWORD dst_unused:UNUSED_PAD src0_sel:WORD_1
	v_cvt_f32_f16_sdwa v15, v15 dst_sel:DWORD dst_unused:UNUSED_PAD src0_sel:WORD_1
	v_div_scale_f32 v19, s[4:5], v5, v5, v4
	v_div_scale_f32 v20, s[4:5], v8, v8, v7
	;; [unrolled: 1-line block ×4, first 2 shown]
	v_div_scale_f32 v23, vcc, v4, v5, v4
	v_div_scale_f32 v24, s[4:5], v7, v8, v7
	v_div_scale_f32 v25, s[6:7], v14, v16, v14
	;; [unrolled: 1-line block ×3, first 2 shown]
	v_rcp_f32_e32 v27, v19
	s_waitcnt vmcnt(0)
	v_cvt_f32_f16_e32 v3, v17
	v_rcp_f32_e32 v28, v20
	v_cvt_f32_f16_sdwa v6, v18 dst_sel:DWORD dst_unused:UNUSED_PAD src0_sel:WORD_1
	v_rcp_f32_e32 v29, v21
	v_fma_f32 v31, -v19, v27, 1.0
	v_rcp_f32_e32 v30, v22
	v_fma_f32 v32, -v20, v28, 1.0
	v_fmac_f32_e32 v27, v31, v27
	v_fma_f32 v33, -v21, v29, 1.0
	v_fmac_f32_e32 v28, v32, v28
	v_mul_f32_e32 v31, v23, v27
	v_fma_f32 v34, -v22, v30, 1.0
	v_fmac_f32_e32 v29, v33, v29
	v_mul_f32_e32 v32, v24, v28
	v_fma_f32 v35, -v19, v31, v23
	v_fmac_f32_e32 v30, v34, v30
	v_mul_f32_e32 v33, v25, v29
	v_fma_f32 v36, -v20, v32, v24
	;; [unrolled: 3-line block ×3, first 2 shown]
	v_fmac_f32_e32 v32, v36, v28
	v_fma_f32 v19, -v19, v31, v23
	v_fma_f32 v38, -v22, v34, v26
	v_fmac_f32_e32 v33, v37, v29
	v_fma_f32 v20, -v20, v32, v24
	v_div_fmas_f32 v19, v19, v27, v31
	s_mov_b64 vcc, s[4:5]
	v_fmac_f32_e32 v34, v38, v30
	v_fma_f32 v21, -v21, v33, v25
	v_div_fmas_f32 v20, v20, v28, v32
	s_mov_b64 vcc, s[6:7]
	v_fma_f32 v22, -v22, v34, v26
	v_div_fmas_f32 v21, v21, v29, v33
	s_mov_b64 vcc, s[8:9]
	v_div_fmas_f32 v22, v22, v30, v34
	v_cvt_f32_f16_e32 v11, v18
	v_cvt_f32_f16_sdwa v12, v17 dst_sel:DWORD dst_unused:UNUSED_PAD src0_sel:WORD_1
	v_div_fixup_f32 v4, v19, v5, v4
	v_add_f32_e32 v3, v4, v3
	v_fma_mix_f32 v4, s24, v4, v17 op_sel_hi:[0,0,1]
	v_cndmask_b32_e64 v3, v4, v3, s[0:1]
	v_div_fixup_f32 v5, v20, v8, v7
	v_add_f32_e32 v4, v5, v6
	v_fma_mix_f32 v5, s24, v5, v18 op_sel:[0,0,1] op_sel_hi:[0,0,1]
	v_div_fixup_f32 v6, v21, v16, v14
	v_cndmask_b32_e64 v4, v5, v4, s[0:1]
	v_div_fixup_f32 v5, v22, v15, v13
	v_add_f32_e32 v7, v6, v11
	v_fma_mix_f32 v6, s14, v6, v18 op_sel_hi:[0,0,1]
	v_add_f32_e32 v8, v5, v12
	v_fma_mix_f32 v5, s24, v5, v17 op_sel:[0,0,1] op_sel_hi:[0,0,1]
	v_cndmask_b32_e64 v6, v6, v7, s[0:1]
	v_cndmask_b32_e64 v5, v5, v8, s[0:1]
	v_cvt_f16_f32_e32 v3, v3
	v_cvt_f16_f32_e32 v4, v4
	;; [unrolled: 1-line block ×4, first 2 shown]
	v_pack_b32_f16 v4, v6, v4
	v_pack_b32_f16 v3, v3, v5
	global_store_dwordx2 v[9:10], v[3:4], off
	s_andn2_b64 exec, exec, s[12:13]
	s_cbranch_execnz .LBB53_32
.LBB53_33:
	s_endpgm
	.section	.rodata,"a",@progbits
	.p2align	6, 0x0
	.amdhsa_kernel _ZN2at6native12_GLOBAL__N_125multi_tensor_apply_kernelINS1_18TensorListMetadataILi4EEENS1_24PointwiseOpScalarFunctorIN3c104HalfELi4ELi3ELi3EEEJSt7dividesIfEfEEEvT_T0_DpT1_
		.amdhsa_group_segment_fixed_size 0
		.amdhsa_private_segment_fixed_size 0
		.amdhsa_kernarg_size 3312
		.amdhsa_user_sgpr_count 6
		.amdhsa_user_sgpr_private_segment_buffer 1
		.amdhsa_user_sgpr_dispatch_ptr 0
		.amdhsa_user_sgpr_queue_ptr 0
		.amdhsa_user_sgpr_kernarg_segment_ptr 1
		.amdhsa_user_sgpr_dispatch_id 0
		.amdhsa_user_sgpr_flat_scratch_init 0
		.amdhsa_user_sgpr_private_segment_size 0
		.amdhsa_uses_dynamic_stack 0
		.amdhsa_system_sgpr_private_segment_wavefront_offset 0
		.amdhsa_system_sgpr_workgroup_id_x 1
		.amdhsa_system_sgpr_workgroup_id_y 0
		.amdhsa_system_sgpr_workgroup_id_z 0
		.amdhsa_system_sgpr_workgroup_info 0
		.amdhsa_system_vgpr_workitem_id 0
		.amdhsa_next_free_vgpr 56
		.amdhsa_next_free_sgpr 36
		.amdhsa_reserve_vcc 1
		.amdhsa_reserve_flat_scratch 0
		.amdhsa_float_round_mode_32 0
		.amdhsa_float_round_mode_16_64 0
		.amdhsa_float_denorm_mode_32 3
		.amdhsa_float_denorm_mode_16_64 3
		.amdhsa_dx10_clamp 1
		.amdhsa_ieee_mode 1
		.amdhsa_fp16_overflow 0
		.amdhsa_exception_fp_ieee_invalid_op 0
		.amdhsa_exception_fp_denorm_src 0
		.amdhsa_exception_fp_ieee_div_zero 0
		.amdhsa_exception_fp_ieee_overflow 0
		.amdhsa_exception_fp_ieee_underflow 0
		.amdhsa_exception_fp_ieee_inexact 0
		.amdhsa_exception_int_div_zero 0
	.end_amdhsa_kernel
	.section	.text._ZN2at6native12_GLOBAL__N_125multi_tensor_apply_kernelINS1_18TensorListMetadataILi4EEENS1_24PointwiseOpScalarFunctorIN3c104HalfELi4ELi3ELi3EEEJSt7dividesIfEfEEEvT_T0_DpT1_,"axG",@progbits,_ZN2at6native12_GLOBAL__N_125multi_tensor_apply_kernelINS1_18TensorListMetadataILi4EEENS1_24PointwiseOpScalarFunctorIN3c104HalfELi4ELi3ELi3EEEJSt7dividesIfEfEEEvT_T0_DpT1_,comdat
.Lfunc_end53:
	.size	_ZN2at6native12_GLOBAL__N_125multi_tensor_apply_kernelINS1_18TensorListMetadataILi4EEENS1_24PointwiseOpScalarFunctorIN3c104HalfELi4ELi3ELi3EEEJSt7dividesIfEfEEEvT_T0_DpT1_, .Lfunc_end53-_ZN2at6native12_GLOBAL__N_125multi_tensor_apply_kernelINS1_18TensorListMetadataILi4EEENS1_24PointwiseOpScalarFunctorIN3c104HalfELi4ELi3ELi3EEEJSt7dividesIfEfEEEvT_T0_DpT1_
                                        ; -- End function
	.set _ZN2at6native12_GLOBAL__N_125multi_tensor_apply_kernelINS1_18TensorListMetadataILi4EEENS1_24PointwiseOpScalarFunctorIN3c104HalfELi4ELi3ELi3EEEJSt7dividesIfEfEEEvT_T0_DpT1_.num_vgpr, 56
	.set _ZN2at6native12_GLOBAL__N_125multi_tensor_apply_kernelINS1_18TensorListMetadataILi4EEENS1_24PointwiseOpScalarFunctorIN3c104HalfELi4ELi3ELi3EEEJSt7dividesIfEfEEEvT_T0_DpT1_.num_agpr, 0
	.set _ZN2at6native12_GLOBAL__N_125multi_tensor_apply_kernelINS1_18TensorListMetadataILi4EEENS1_24PointwiseOpScalarFunctorIN3c104HalfELi4ELi3ELi3EEEJSt7dividesIfEfEEEvT_T0_DpT1_.numbered_sgpr, 36
	.set _ZN2at6native12_GLOBAL__N_125multi_tensor_apply_kernelINS1_18TensorListMetadataILi4EEENS1_24PointwiseOpScalarFunctorIN3c104HalfELi4ELi3ELi3EEEJSt7dividesIfEfEEEvT_T0_DpT1_.num_named_barrier, 0
	.set _ZN2at6native12_GLOBAL__N_125multi_tensor_apply_kernelINS1_18TensorListMetadataILi4EEENS1_24PointwiseOpScalarFunctorIN3c104HalfELi4ELi3ELi3EEEJSt7dividesIfEfEEEvT_T0_DpT1_.private_seg_size, 0
	.set _ZN2at6native12_GLOBAL__N_125multi_tensor_apply_kernelINS1_18TensorListMetadataILi4EEENS1_24PointwiseOpScalarFunctorIN3c104HalfELi4ELi3ELi3EEEJSt7dividesIfEfEEEvT_T0_DpT1_.uses_vcc, 1
	.set _ZN2at6native12_GLOBAL__N_125multi_tensor_apply_kernelINS1_18TensorListMetadataILi4EEENS1_24PointwiseOpScalarFunctorIN3c104HalfELi4ELi3ELi3EEEJSt7dividesIfEfEEEvT_T0_DpT1_.uses_flat_scratch, 0
	.set _ZN2at6native12_GLOBAL__N_125multi_tensor_apply_kernelINS1_18TensorListMetadataILi4EEENS1_24PointwiseOpScalarFunctorIN3c104HalfELi4ELi3ELi3EEEJSt7dividesIfEfEEEvT_T0_DpT1_.has_dyn_sized_stack, 0
	.set _ZN2at6native12_GLOBAL__N_125multi_tensor_apply_kernelINS1_18TensorListMetadataILi4EEENS1_24PointwiseOpScalarFunctorIN3c104HalfELi4ELi3ELi3EEEJSt7dividesIfEfEEEvT_T0_DpT1_.has_recursion, 0
	.set _ZN2at6native12_GLOBAL__N_125multi_tensor_apply_kernelINS1_18TensorListMetadataILi4EEENS1_24PointwiseOpScalarFunctorIN3c104HalfELi4ELi3ELi3EEEJSt7dividesIfEfEEEvT_T0_DpT1_.has_indirect_call, 0
	.section	.AMDGPU.csdata,"",@progbits
; Kernel info:
; codeLenInByte = 2804
; TotalNumSgprs: 40
; NumVgprs: 56
; ScratchSize: 0
; MemoryBound: 0
; FloatMode: 240
; IeeeMode: 1
; LDSByteSize: 0 bytes/workgroup (compile time only)
; SGPRBlocks: 4
; VGPRBlocks: 13
; NumSGPRsForWavesPerEU: 40
; NumVGPRsForWavesPerEU: 56
; Occupancy: 4
; WaveLimiterHint : 0
; COMPUTE_PGM_RSRC2:SCRATCH_EN: 0
; COMPUTE_PGM_RSRC2:USER_SGPR: 6
; COMPUTE_PGM_RSRC2:TRAP_HANDLER: 0
; COMPUTE_PGM_RSRC2:TGID_X_EN: 1
; COMPUTE_PGM_RSRC2:TGID_Y_EN: 0
; COMPUTE_PGM_RSRC2:TGID_Z_EN: 0
; COMPUTE_PGM_RSRC2:TIDIG_COMP_CNT: 0
	.section	.text._ZN2at6native12_GLOBAL__N_125multi_tensor_apply_kernelINS1_18TensorListMetadataILi4EEENS1_24PointwiseOpScalarFunctorIN3c108BFloat16ELi4ELi3ELi3EEEJSt7dividesIfEfEEEvT_T0_DpT1_,"axG",@progbits,_ZN2at6native12_GLOBAL__N_125multi_tensor_apply_kernelINS1_18TensorListMetadataILi4EEENS1_24PointwiseOpScalarFunctorIN3c108BFloat16ELi4ELi3ELi3EEEJSt7dividesIfEfEEEvT_T0_DpT1_,comdat
	.globl	_ZN2at6native12_GLOBAL__N_125multi_tensor_apply_kernelINS1_18TensorListMetadataILi4EEENS1_24PointwiseOpScalarFunctorIN3c108BFloat16ELi4ELi3ELi3EEEJSt7dividesIfEfEEEvT_T0_DpT1_ ; -- Begin function _ZN2at6native12_GLOBAL__N_125multi_tensor_apply_kernelINS1_18TensorListMetadataILi4EEENS1_24PointwiseOpScalarFunctorIN3c108BFloat16ELi4ELi3ELi3EEEJSt7dividesIfEfEEEvT_T0_DpT1_
	.p2align	8
	.type	_ZN2at6native12_GLOBAL__N_125multi_tensor_apply_kernelINS1_18TensorListMetadataILi4EEENS1_24PointwiseOpScalarFunctorIN3c108BFloat16ELi4ELi3ELi3EEEJSt7dividesIfEfEEEvT_T0_DpT1_,@function
_ZN2at6native12_GLOBAL__N_125multi_tensor_apply_kernelINS1_18TensorListMetadataILi4EEENS1_24PointwiseOpScalarFunctorIN3c108BFloat16ELi4ELi3ELi3EEEJSt7dividesIfEfEEEvT_T0_DpT1_: ; @_ZN2at6native12_GLOBAL__N_125multi_tensor_apply_kernelINS1_18TensorListMetadataILi4EEENS1_24PointwiseOpScalarFunctorIN3c108BFloat16ELi4ELi3ELi3EEEJSt7dividesIfEfEEEvT_T0_DpT1_
; %bb.0:
	v_mov_b32_e32 v1, s6
	global_load_ubyte v1, v1, s[4:5] offset:1440
	s_add_u32 s0, s4, s6
	s_mul_hi_u32 s1, s6, 3
	s_mul_i32 s6, s6, 3
	s_addc_u32 s2, s5, 0
	s_add_u32 s0, s0, s6
	s_addc_u32 s1, s2, s1
	s_load_dword s0, s[0:1], 0x6e0
	s_mov_b32 s3, 0
	s_mov_b32 s7, s3
	;; [unrolled: 1-line block ×3, first 2 shown]
	s_waitcnt lgkmcnt(0)
	s_ashr_i32 s1, s0, 31
	s_lshl_b64 s[20:21], s[0:1], 17
	s_waitcnt vmcnt(0)
	v_readfirstlane_b32 s2, v1
	s_lshl_b32 s2, s2, 3
	s_load_dwordx2 s[12:13], s[4:5], s2 offset:0x0
	s_load_dwordx2 s[14:15], s[4:5], s2 offset:0x120
	s_load_dword s33, s[4:5], 0xbec
	s_load_dwordx2 s[10:11], s[4:5], s2 offset:0x480
	s_load_dwordx2 s[16:17], s[4:5], s2 offset:0x240
	;; [unrolled: 1-line block ×3, first 2 shown]
	s_waitcnt lgkmcnt(0)
	s_add_u32 s6, s14, s20
	s_and_b32 s2, s12, 7
	s_and_b32 s6, s6, 7
	s_cmp_eq_u64 s[6:7], 0
	s_cselect_b64 s[6:7], -1, 0
	s_add_u32 s8, s16, s20
	s_or_b32 s8, s18, s8
	s_and_b32 s8, s8, 7
	s_cmp_eq_u32 s8, 0
	s_cselect_b64 s[22:23], -1, 0
	s_lshl_b64 s[0:1], s[0:1], 16
	s_and_b64 s[6:7], s[22:23], s[6:7]
	s_sub_u32 s22, s10, s0
	s_subb_u32 s23, s11, s1
	s_and_b32 s8, s10, 3
	s_or_b64 s[0:1], s[2:3], s[8:9]
	s_cmp_eq_u64 s[0:1], 0
	s_cselect_b64 s[0:1], -1, 0
	s_and_b64 s[2:3], s[6:7], s[0:1]
	s_mov_b64 s[0:1], -1
	s_and_b64 vcc, exec, s[2:3]
	s_cbranch_vccnz .LBB54_29
; %bb.1:
	v_cmp_lt_i64_e64 s[0:1], s[22:23], 1
	s_and_b64 vcc, exec, s[0:1]
	s_cbranch_vccnz .LBB54_28
; %bb.2:
	v_mov_b32_e32 v1, 0x10000
	s_load_dword s2, s[4:5], 0xbfc
	v_mov_b32_e32 v2, 0
	v_cmp_lt_i64_e32 vcc, s[22:23], v[1:2]
	v_mov_b32_e32 v24, 0
	s_and_b64 s[0:1], vcc, exec
	s_cselect_b32 s25, s23, 0
	s_cselect_b32 s24, s22, 0x10000
	s_waitcnt lgkmcnt(0)
	s_and_b32 s2, s2, 0xffff
	v_lshlrev_b32_e32 v23, 1, v0
	v_mad_u64_u32 v[7:8], s[0:1], s2, 6, v[23:24]
	v_cmp_lt_u64_e32 vcc, s[22:23], v[1:2]
	v_mov_b32_e32 v2, s13
	s_and_b64 s[0:1], vcc, exec
	v_add_co_u32_e32 v1, vcc, s12, v7
	v_addc_co_u32_e32 v2, vcc, v2, v8, vcc
	v_mov_b32_e32 v4, s15
	v_add_co_u32_e32 v3, vcc, s14, v7
	v_addc_co_u32_e32 v4, vcc, v4, v8, vcc
	v_mov_b32_e32 v6, s17
	;; [unrolled: 3-line block ×3, first 2 shown]
	v_add_co_u32_e32 v7, vcc, s18, v7
	s_cselect_b32 s27, s23, 0
	s_cselect_b32 s26, s22, 0x10000
	s_lshl_b32 s34, s2, 2
	v_addc_co_u32_e32 v8, vcc, v9, v8, vcc
	v_add_co_u32_e32 v15, vcc, s34, v23
	v_addc_co_u32_e64 v16, s[0:1], 0, 0, vcc
	v_mov_b32_e32 v10, s13
	v_add_co_u32_e32 v9, vcc, s12, v15
	v_addc_co_u32_e32 v10, vcc, v10, v16, vcc
	v_mov_b32_e32 v12, s15
	v_add_co_u32_e32 v11, vcc, s14, v15
	v_addc_co_u32_e32 v12, vcc, v12, v16, vcc
	;; [unrolled: 3-line block ×8, first 2 shown]
	v_add_co_u32_e32 v25, vcc, s2, v0
	v_lshlrev_b32_e32 v33, 1, v25
	s_lshl_b32 s6, s2, 1
	s_mul_i32 s7, s2, 3
	s_lshl_b32 s35, s2, 3
	v_addc_co_u32_e64 v26, s[2:3], 0, 0, vcc
	v_mov_b32_e32 v28, s13
	v_add_co_u32_e32 v27, vcc, s12, v33
	v_addc_co_u32_e32 v28, vcc, 0, v28, vcc
	v_mov_b32_e32 v30, s15
	v_add_co_u32_e32 v29, vcc, s14, v33
	v_addc_co_u32_e32 v30, vcc, 0, v30, vcc
	;; [unrolled: 3-line block ×4, first 2 shown]
	v_add_co_u32_e32 v35, vcc, s7, v0
	v_addc_co_u32_e64 v36, s[2:3], 0, 0, vcc
	v_add_co_u32_e32 v37, vcc, s6, v0
	v_cmp_eq_f32_e64 s[0:1], s33, 1.0
	s_mov_b64 s[28:29], 0
	s_movk_i32 s36, 0x7fff
	v_addc_co_u32_e64 v38, s[2:3], 0, 0, vcc
	v_mov_b32_e32 v39, 0x7fc0
	s_branch .LBB54_4
.LBB54_3:                               ;   in Loop: Header=BB54_4 Depth=1
	s_or_b64 exec, exec, s[2:3]
	v_add_co_u32_e32 v17, vcc, s35, v17
	v_addc_co_u32_e32 v18, vcc, 0, v18, vcc
	v_add_co_u32_e32 v19, vcc, s35, v19
	v_addc_co_u32_e32 v20, vcc, 0, v20, vcc
	v_add_co_u32_e32 v21, vcc, s35, v21
	v_addc_co_u32_e32 v22, vcc, 0, v22, vcc
	v_add_co_u32_e32 v23, vcc, s35, v23
	v_addc_co_u32_e32 v24, vcc, 0, v24, vcc
	v_add_co_u32_e32 v1, vcc, s35, v1
	v_addc_co_u32_e32 v2, vcc, 0, v2, vcc
	v_add_co_u32_e32 v3, vcc, s35, v3
	v_addc_co_u32_e32 v4, vcc, 0, v4, vcc
	v_add_co_u32_e32 v5, vcc, s35, v5
	v_addc_co_u32_e32 v6, vcc, 0, v6, vcc
	v_add_co_u32_e32 v7, vcc, s35, v7
	v_addc_co_u32_e32 v8, vcc, 0, v8, vcc
	v_add_co_u32_e32 v9, vcc, s35, v9
	v_addc_co_u32_e32 v10, vcc, 0, v10, vcc
	v_add_co_u32_e32 v11, vcc, s35, v11
	v_addc_co_u32_e32 v12, vcc, 0, v12, vcc
	v_add_co_u32_e32 v13, vcc, s35, v13
	v_addc_co_u32_e32 v14, vcc, 0, v14, vcc
	v_add_co_u32_e32 v15, vcc, s35, v15
	v_addc_co_u32_e32 v16, vcc, 0, v16, vcc
	v_add_co_u32_e32 v27, vcc, s35, v27
	v_addc_co_u32_e32 v28, vcc, 0, v28, vcc
	v_add_co_u32_e32 v29, vcc, s35, v29
	v_addc_co_u32_e32 v30, vcc, 0, v30, vcc
	s_add_u32 s28, s28, s34
	v_add_co_u32_e32 v31, vcc, s35, v31
	v_mov_b32_e32 v41, s25
	s_addc_u32 s29, s29, 0
	v_addc_co_u32_e32 v32, vcc, 0, v32, vcc
	v_mov_b32_e32 v40, s24
	v_cmp_lt_i64_e32 vcc, s[28:29], v[40:41]
	v_add_co_u32_e64 v33, s[2:3], s35, v33
	v_addc_co_u32_e64 v34, s[2:3], 0, v34, s[2:3]
	s_cbranch_vccz .LBB54_28
.LBB54_4:                               ; =>This Inner Loop Header: Depth=1
	v_mov_b32_e32 v41, s29
	v_add_co_u32_e32 v40, vcc, s28, v0
	v_addc_co_u32_e32 v41, vcc, 0, v41, vcc
	v_cmp_gt_u64_e32 vcc, s[26:27], v[40:41]
	v_mov_b32_e32 v43, 0
	v_mov_b32_e32 v42, 0
	s_and_saveexec_b64 s[6:7], vcc
	s_cbranch_execz .LBB54_6
; %bb.5:                                ;   in Loop: Header=BB54_4 Depth=1
	v_mov_b32_e32 v43, s21
	v_add_co_u32_e64 v40, s[2:3], s20, v17
	v_addc_co_u32_e64 v41, s[2:3], v18, v43, s[2:3]
	v_add_co_u32_e64 v42, s[2:3], s20, v19
	v_addc_co_u32_e64 v43, s[2:3], v20, v43, s[2:3]
	global_load_ushort v44, v[42:43], off
	global_load_ushort v45, v[40:41], off
	s_waitcnt vmcnt(1)
	v_lshlrev_b32_e32 v43, 16, v44
	s_waitcnt vmcnt(0)
	v_lshlrev_b32_e32 v42, 16, v45
.LBB54_6:                               ;   in Loop: Header=BB54_4 Depth=1
	s_or_b64 exec, exec, s[6:7]
	v_mov_b32_e32 v40, 0
	v_mov_b32_e32 v47, 0
	s_and_saveexec_b64 s[6:7], vcc
	s_cbranch_execz .LBB54_8
; %bb.7:                                ;   in Loop: Header=BB54_4 Depth=1
	v_mov_b32_e32 v41, s21
	v_add_co_u32_e64 v44, s[2:3], s20, v21
	v_addc_co_u32_e64 v45, s[2:3], v22, v41, s[2:3]
	global_load_ushort v41, v[44:45], off
	s_waitcnt vmcnt(0)
	v_lshlrev_b32_e32 v47, 16, v41
.LBB54_8:                               ;   in Loop: Header=BB54_4 Depth=1
	s_or_b64 exec, exec, s[6:7]
	v_mov_b32_e32 v41, s29
	v_add_co_u32_e64 v44, s[2:3], s28, v25
	v_addc_co_u32_e64 v45, s[2:3], v26, v41, s[2:3]
	v_cmp_gt_u64_e64 s[2:3], s[26:27], v[44:45]
	v_mov_b32_e32 v45, 0
	s_and_saveexec_b64 s[8:9], s[2:3]
	s_cbranch_execz .LBB54_10
; %bb.9:                                ;   in Loop: Header=BB54_4 Depth=1
	v_mov_b32_e32 v45, s21
	v_add_co_u32_e64 v40, s[6:7], s20, v27
	v_addc_co_u32_e64 v41, s[6:7], v28, v45, s[6:7]
	v_add_co_u32_e64 v44, s[6:7], s20, v29
	v_addc_co_u32_e64 v45, s[6:7], v30, v45, s[6:7]
	global_load_ushort v46, v[44:45], off
	global_load_ushort v48, v[40:41], off
	s_waitcnt vmcnt(1)
	v_lshlrev_b32_e32 v40, 16, v46
	s_waitcnt vmcnt(0)
	v_lshlrev_b32_e32 v45, 16, v48
.LBB54_10:                              ;   in Loop: Header=BB54_4 Depth=1
	s_or_b64 exec, exec, s[8:9]
	v_mov_b32_e32 v41, 0
	v_mov_b32_e32 v49, 0
	s_and_saveexec_b64 s[8:9], s[2:3]
	s_cbranch_execz .LBB54_12
; %bb.11:                               ;   in Loop: Header=BB54_4 Depth=1
	v_mov_b32_e32 v44, s21
	v_add_co_u32_e64 v48, s[6:7], s20, v31
	v_addc_co_u32_e64 v49, s[6:7], v32, v44, s[6:7]
	global_load_ushort v44, v[48:49], off
	s_waitcnt vmcnt(0)
	v_lshlrev_b32_e32 v49, 16, v44
.LBB54_12:                              ;   in Loop: Header=BB54_4 Depth=1
	s_or_b64 exec, exec, s[8:9]
	v_mov_b32_e32 v44, s29
	v_add_co_u32_e64 v50, s[6:7], s28, v37
	v_addc_co_u32_e64 v51, s[6:7], v38, v44, s[6:7]
	v_cmp_gt_u64_e64 s[6:7], s[26:27], v[50:51]
	v_mov_b32_e32 v46, 0
	s_and_saveexec_b64 s[10:11], s[6:7]
	s_cbranch_execz .LBB54_14
; %bb.13:                               ;   in Loop: Header=BB54_4 Depth=1
	v_mov_b32_e32 v41, s21
	v_add_co_u32_e64 v50, s[8:9], s20, v9
	v_addc_co_u32_e64 v51, s[8:9], v10, v41, s[8:9]
	v_add_co_u32_e64 v52, s[8:9], s20, v11
	v_addc_co_u32_e64 v53, s[8:9], v12, v41, s[8:9]
	global_load_ushort v41, v[52:53], off
	global_load_ushort v44, v[50:51], off
	s_waitcnt vmcnt(1)
	v_lshlrev_b32_e32 v41, 16, v41
	s_waitcnt vmcnt(0)
	v_lshlrev_b32_e32 v46, 16, v44
.LBB54_14:                              ;   in Loop: Header=BB54_4 Depth=1
	s_or_b64 exec, exec, s[10:11]
	v_mov_b32_e32 v44, 0
	v_mov_b32_e32 v50, 0
	s_and_saveexec_b64 s[10:11], s[6:7]
	s_cbranch_execz .LBB54_16
; %bb.15:                               ;   in Loop: Header=BB54_4 Depth=1
	v_mov_b32_e32 v48, s21
	v_add_co_u32_e64 v50, s[8:9], s20, v13
	v_addc_co_u32_e64 v51, s[8:9], v14, v48, s[8:9]
	global_load_ushort v48, v[50:51], off
	s_waitcnt vmcnt(0)
	v_lshlrev_b32_e32 v50, 16, v48
.LBB54_16:                              ;   in Loop: Header=BB54_4 Depth=1
	s_or_b64 exec, exec, s[10:11]
	v_mov_b32_e32 v48, s29
	v_add_co_u32_e64 v51, s[8:9], s28, v35
	v_addc_co_u32_e64 v52, s[8:9], v36, v48, s[8:9]
	v_cmp_gt_u64_e64 s[8:9], s[26:27], v[51:52]
	v_mov_b32_e32 v48, 0
	s_and_saveexec_b64 s[30:31], s[8:9]
	s_cbranch_execnz .LBB54_22
; %bb.17:                               ;   in Loop: Header=BB54_4 Depth=1
	s_or_b64 exec, exec, s[30:31]
	v_mov_b32_e32 v51, 0
	s_and_saveexec_b64 s[30:31], s[8:9]
	s_cbranch_execnz .LBB54_23
.LBB54_18:                              ;   in Loop: Header=BB54_4 Depth=1
	s_or_b64 exec, exec, s[30:31]
	s_and_saveexec_b64 s[10:11], vcc
	s_cbranch_execnz .LBB54_24
.LBB54_19:                              ;   in Loop: Header=BB54_4 Depth=1
	s_or_b64 exec, exec, s[10:11]
	s_and_saveexec_b64 s[10:11], s[2:3]
	s_cbranch_execnz .LBB54_25
.LBB54_20:                              ;   in Loop: Header=BB54_4 Depth=1
	s_or_b64 exec, exec, s[10:11]
	s_and_saveexec_b64 s[2:3], s[6:7]
	s_cbranch_execnz .LBB54_26
.LBB54_21:                              ;   in Loop: Header=BB54_4 Depth=1
	s_or_b64 exec, exec, s[2:3]
	s_and_saveexec_b64 s[2:3], s[8:9]
	s_cbranch_execz .LBB54_3
	s_branch .LBB54_27
.LBB54_22:                              ;   in Loop: Header=BB54_4 Depth=1
	v_mov_b32_e32 v44, s21
	v_add_co_u32_e64 v51, s[10:11], s20, v1
	v_addc_co_u32_e64 v52, s[10:11], v2, v44, s[10:11]
	v_add_co_u32_e64 v53, s[10:11], s20, v3
	v_addc_co_u32_e64 v54, s[10:11], v4, v44, s[10:11]
	global_load_ushort v44, v[53:54], off
	global_load_ushort v48, v[51:52], off
	s_waitcnt vmcnt(1)
	v_lshlrev_b32_e32 v44, 16, v44
	s_waitcnt vmcnt(0)
	v_lshlrev_b32_e32 v48, 16, v48
	s_or_b64 exec, exec, s[30:31]
	v_mov_b32_e32 v51, 0
	s_and_saveexec_b64 s[30:31], s[8:9]
	s_cbranch_execz .LBB54_18
.LBB54_23:                              ;   in Loop: Header=BB54_4 Depth=1
	v_mov_b32_e32 v52, s21
	v_add_co_u32_e64 v51, s[10:11], s20, v5
	v_addc_co_u32_e64 v52, s[10:11], v6, v52, s[10:11]
	global_load_ushort v51, v[51:52], off
	s_waitcnt vmcnt(0)
	v_lshlrev_b32_e32 v51, 16, v51
	s_or_b64 exec, exec, s[30:31]
	s_and_saveexec_b64 s[10:11], vcc
	s_cbranch_execz .LBB54_19
.LBB54_24:                              ;   in Loop: Header=BB54_4 Depth=1
	v_div_scale_f32 v52, s[30:31], v47, v47, v43
	v_div_scale_f32 v53, vcc, v43, v47, v43
	v_rcp_f32_e32 v54, v52
	v_fma_f32 v55, -v52, v54, 1.0
	v_fmac_f32_e32 v54, v55, v54
	v_mul_f32_e32 v55, v53, v54
	v_fma_f32 v56, -v52, v55, v53
	v_fmac_f32_e32 v55, v56, v54
	v_fma_f32 v52, -v52, v55, v53
	v_div_fmas_f32 v52, v52, v54, v55
	v_mov_b32_e32 v53, s21
	v_div_fixup_f32 v43, v52, v47, v43
	v_add_f32_e32 v47, v42, v43
	v_fmac_f32_e32 v42, s33, v43
	v_cndmask_b32_e64 v42, v42, v47, s[0:1]
	v_bfe_u32 v43, v42, 16, 1
	v_cmp_o_f32_e32 vcc, v42, v42
	v_add3_u32 v42, v42, v43, s36
	v_cndmask_b32_sdwa v47, v39, v42, vcc dst_sel:DWORD dst_unused:UNUSED_PAD src0_sel:DWORD src1_sel:WORD_1
	v_add_co_u32_e32 v42, vcc, s20, v23
	v_addc_co_u32_e32 v43, vcc, v24, v53, vcc
	global_store_short v[42:43], v47, off
	s_or_b64 exec, exec, s[10:11]
	s_and_saveexec_b64 s[10:11], s[2:3]
	s_cbranch_execz .LBB54_20
.LBB54_25:                              ;   in Loop: Header=BB54_4 Depth=1
	v_div_scale_f32 v42, s[2:3], v49, v49, v40
	v_div_scale_f32 v43, vcc, v40, v49, v40
	v_rcp_f32_e32 v47, v42
	v_fma_f32 v52, -v42, v47, 1.0
	v_fmac_f32_e32 v47, v52, v47
	v_mul_f32_e32 v52, v43, v47
	v_fma_f32 v53, -v42, v52, v43
	v_fmac_f32_e32 v52, v53, v47
	v_fma_f32 v42, -v42, v52, v43
	v_div_fmas_f32 v47, v42, v47, v52
	v_mov_b32_e32 v43, s21
	v_add_co_u32_e32 v42, vcc, s20, v33
	v_addc_co_u32_e32 v43, vcc, v34, v43, vcc
	v_div_fixup_f32 v40, v47, v49, v40
	v_add_f32_e32 v47, v45, v40
	v_fmac_f32_e32 v45, s33, v40
	v_cndmask_b32_e64 v40, v45, v47, s[0:1]
	v_bfe_u32 v45, v40, 16, 1
	v_cmp_o_f32_e32 vcc, v40, v40
	v_add3_u32 v40, v40, v45, s36
	v_cndmask_b32_sdwa v40, v39, v40, vcc dst_sel:DWORD dst_unused:UNUSED_PAD src0_sel:DWORD src1_sel:WORD_1
	global_store_short v[42:43], v40, off
	s_or_b64 exec, exec, s[10:11]
	s_and_saveexec_b64 s[2:3], s[6:7]
	s_cbranch_execz .LBB54_21
.LBB54_26:                              ;   in Loop: Header=BB54_4 Depth=1
	v_div_scale_f32 v40, s[6:7], v50, v50, v41
	v_div_scale_f32 v42, vcc, v41, v50, v41
	v_rcp_f32_e32 v43, v40
	v_fma_f32 v45, -v40, v43, 1.0
	v_fmac_f32_e32 v43, v45, v43
	v_mul_f32_e32 v45, v42, v43
	v_fma_f32 v47, -v40, v45, v42
	v_fmac_f32_e32 v45, v47, v43
	v_fma_f32 v40, -v40, v45, v42
	v_div_fmas_f32 v40, v40, v43, v45
	v_mov_b32_e32 v43, s21
	v_add_co_u32_e32 v42, vcc, s20, v15
	v_addc_co_u32_e32 v43, vcc, v16, v43, vcc
	v_div_fixup_f32 v40, v40, v50, v41
	v_add_f32_e32 v41, v46, v40
	v_fmac_f32_e32 v46, s33, v40
	v_cndmask_b32_e64 v40, v46, v41, s[0:1]
	v_bfe_u32 v41, v40, 16, 1
	v_cmp_o_f32_e32 vcc, v40, v40
	v_add3_u32 v40, v40, v41, s36
	v_cndmask_b32_sdwa v40, v39, v40, vcc dst_sel:DWORD dst_unused:UNUSED_PAD src0_sel:DWORD src1_sel:WORD_1
	global_store_short v[42:43], v40, off
	s_or_b64 exec, exec, s[2:3]
	s_and_saveexec_b64 s[2:3], s[8:9]
	s_cbranch_execz .LBB54_3
.LBB54_27:                              ;   in Loop: Header=BB54_4 Depth=1
	v_div_scale_f32 v40, s[6:7], v51, v51, v44
	v_div_scale_f32 v41, vcc, v44, v51, v44
	v_rcp_f32_e32 v42, v40
	v_fma_f32 v43, -v40, v42, 1.0
	v_fmac_f32_e32 v42, v43, v42
	v_mul_f32_e32 v43, v41, v42
	v_fma_f32 v45, -v40, v43, v41
	v_fmac_f32_e32 v43, v45, v42
	v_fma_f32 v40, -v40, v43, v41
	v_div_fmas_f32 v42, v40, v42, v43
	v_mov_b32_e32 v41, s21
	v_add_co_u32_e32 v40, vcc, s20, v7
	v_addc_co_u32_e32 v41, vcc, v8, v41, vcc
	v_div_fixup_f32 v42, v42, v51, v44
	v_add_f32_e32 v43, v48, v42
	v_fmac_f32_e32 v48, s33, v42
	v_cndmask_b32_e64 v42, v48, v43, s[0:1]
	v_bfe_u32 v43, v42, 16, 1
	v_cmp_o_f32_e32 vcc, v42, v42
	v_add3_u32 v42, v42, v43, s36
	v_cndmask_b32_sdwa v42, v39, v42, vcc dst_sel:DWORD dst_unused:UNUSED_PAD src0_sel:DWORD src1_sel:WORD_1
	global_store_short v[40:41], v42, off
	s_branch .LBB54_3
.LBB54_28:
	s_mov_b64 s[0:1], 0
.LBB54_29:
	s_andn2_b64 vcc, exec, s[0:1]
	s_cbranch_vccnz .LBB54_33
; %bb.30:
	v_mov_b32_e32 v1, 0x10000
	v_mov_b32_e32 v2, 0
	v_cmp_lt_i64_e32 vcc, s[22:23], v[1:2]
	v_mov_b32_e32 v2, 0
	s_and_b64 s[0:1], vcc, exec
	s_cselect_b32 s9, s23, 0
	s_cselect_b32 s8, s22, 0x10000
	v_lshlrev_b32_e32 v1, 2, v0
	v_cmp_gt_i64_e32 vcc, s[8:9], v[1:2]
	s_and_saveexec_b64 s[0:1], vcc
	s_cbranch_execz .LBB54_33
; %bb.31:
	s_load_dword s2, s[4:5], 0xbfc
	v_mov_b32_e32 v1, v2
	v_lshlrev_b32_e32 v2, 3, v0
	v_mov_b32_e32 v3, s21
	v_add_co_u32_e32 v2, vcc, s20, v2
	s_waitcnt lgkmcnt(0)
	s_and_b32 s21, s2, 0xffff
	v_cmp_eq_f32_e64 s[0:1], s33, 1.0
	v_addc_co_u32_e32 v3, vcc, 0, v3, vcc
	s_lshl_b32 s20, s21, 3
	s_mov_b64 s[10:11], 0
	v_mov_b32_e32 v4, s13
	v_mov_b32_e32 v5, s15
	;; [unrolled: 1-line block ×3, first 2 shown]
	s_movk_i32 s13, 0x7fff
	v_mov_b32_e32 v7, 0x7fc0
	v_mov_b32_e32 v8, 0x7fc00000
	;; [unrolled: 1-line block ×3, first 2 shown]
.LBB54_32:                              ; =>This Inner Loop Header: Depth=1
	v_add_co_u32_e32 v10, vcc, s12, v2
	v_addc_co_u32_e32 v11, vcc, v4, v3, vcc
	v_add_co_u32_e32 v12, vcc, s14, v2
	v_addc_co_u32_e32 v13, vcc, v5, v3, vcc
	;; [unrolled: 2-line block ×3, first 2 shown]
	global_load_dwordx2 v[18:19], v[12:13], off
	global_load_dwordx2 v[20:21], v[14:15], off
	;; [unrolled: 1-line block ×3, first 2 shown]
	v_add_co_u32_e32 v0, vcc, s21, v0
	v_addc_co_u32_e32 v1, vcc, 0, v1, vcc
	v_add_co_u32_e32 v16, vcc, s18, v2
	v_addc_co_u32_e32 v17, vcc, v9, v3, vcc
	v_add_co_u32_e32 v2, vcc, s20, v2
	v_lshlrev_b64 v[10:11], 2, v[0:1]
	v_addc_co_u32_e32 v3, vcc, 0, v3, vcc
	v_cmp_le_i64_e32 vcc, s[8:9], v[10:11]
	s_or_b64 s[10:11], vcc, s[10:11]
	s_waitcnt vmcnt(2)
	v_lshlrev_b32_e32 v11, 16, v18
	s_waitcnt vmcnt(1)
	v_lshlrev_b32_e32 v12, 16, v20
	v_and_b32_e32 v14, 0xffff0000, v18
	v_and_b32_e32 v15, 0xffff0000, v20
	v_alignbit_b32 v18, v19, v18, 16
	v_alignbit_b32 v20, v21, v20, 16
	v_div_scale_f32 v24, s[2:3], v12, v12, v11
	v_and_b32_e32 v19, 0xffff0000, v19
	v_and_b32_e32 v21, 0xffff0000, v21
	v_div_scale_f32 v26, s[2:3], v15, v15, v14
	v_and_b32_e32 v18, 0xffff0000, v18
	v_and_b32_e32 v20, 0xffff0000, v20
	v_div_scale_f32 v28, s[4:5], v21, v21, v19
	v_div_scale_f32 v30, s[6:7], v20, v20, v18
	v_div_scale_f32 v25, vcc, v11, v12, v11
	v_div_scale_f32 v27, s[2:3], v14, v15, v14
	v_div_scale_f32 v31, s[6:7], v18, v20, v18
	v_div_scale_f32 v29, s[4:5], v19, v21, v19
	v_rcp_f32_e32 v32, v24
	v_rcp_f32_e32 v33, v26
	s_waitcnt vmcnt(0)
	v_lshlrev_b32_e32 v10, 16, v22
	v_and_b32_e32 v13, 0xffff0000, v22
	v_rcp_f32_e32 v34, v28
	v_fma_f32 v36, -v24, v32, 1.0
	v_rcp_f32_e32 v35, v30
	v_fma_f32 v37, -v26, v33, 1.0
	v_fmac_f32_e32 v32, v36, v32
	v_fma_f32 v38, -v28, v34, 1.0
	v_fmac_f32_e32 v33, v37, v33
	v_fma_f32 v36, -v30, v35, 1.0
	v_mul_f32_e32 v37, v25, v32
	v_fmac_f32_e32 v34, v38, v34
	v_mul_f32_e32 v38, v27, v33
	v_fmac_f32_e32 v35, v36, v35
	v_fma_f32 v39, -v24, v37, v25
	v_fma_f32 v40, -v26, v38, v27
	v_mul_f32_e32 v42, v31, v35
	v_fmac_f32_e32 v37, v39, v32
	v_mul_f32_e32 v36, v29, v34
	v_fmac_f32_e32 v38, v40, v33
	v_fma_f32 v39, -v30, v42, v31
	v_fma_f32 v24, -v24, v37, v25
	;; [unrolled: 1-line block ×4, first 2 shown]
	v_fmac_f32_e32 v42, v39, v35
	v_div_fmas_f32 v24, v24, v32, v37
	s_mov_b64 vcc, s[2:3]
	v_fmac_f32_e32 v36, v41, v34
	v_fma_f32 v27, -v30, v42, v31
	v_div_fmas_f32 v25, v25, v33, v38
	s_mov_b64 vcc, s[6:7]
	v_fma_f32 v26, -v28, v36, v29
	v_div_fmas_f32 v27, v27, v35, v42
	s_mov_b64 vcc, s[4:5]
	v_div_fmas_f32 v26, v26, v34, v36
	v_alignbit_b32 v22, v23, v22, 16
	v_and_b32_e32 v22, 0xffff0000, v22
	v_and_b32_e32 v23, 0xffff0000, v23
	v_div_fixup_f32 v11, v24, v12, v11
	v_add_f32_e32 v12, v11, v10
	v_fmac_f32_e32 v10, s33, v11
	v_cndmask_b32_e64 v10, v10, v12, s[0:1]
	v_div_fixup_f32 v11, v25, v15, v14
	v_add_f32_e32 v12, v11, v13
	v_fmac_f32_e32 v13, s33, v11
	v_div_fixup_f32 v11, v27, v20, v18
	v_bfe_u32 v14, v10, 16, 1
	v_cndmask_b32_e64 v12, v13, v12, s[0:1]
	v_add_f32_e32 v13, v11, v22
	v_fmac_f32_e32 v22, s33, v11
	v_div_fixup_f32 v11, v26, v21, v19
	v_add3_u32 v14, v10, v14, s13
	v_bfe_u32 v15, v12, 16, 1
	v_cndmask_b32_e64 v13, v22, v13, s[0:1]
	v_add_f32_e32 v18, v11, v23
	v_fmac_f32_e32 v23, s33, v11
	v_lshrrev_b32_e32 v11, 16, v14
	v_add3_u32 v14, v12, v15, s13
	v_bfe_u32 v15, v13, 16, 1
	v_cndmask_b32_e64 v18, v23, v18, s[0:1]
	v_cmp_o_f32_e32 vcc, v10, v10
	v_cndmask_b32_e32 v10, v7, v11, vcc
	v_and_b32_e32 v11, 0xffff0000, v14
	v_add3_u32 v14, v13, v15, s13
	v_bfe_u32 v15, v18, 16, 1
	v_cmp_o_f32_e32 vcc, v12, v12
	v_cndmask_b32_e32 v11, v8, v11, vcc
	v_lshrrev_b32_e32 v12, 16, v14
	v_add3_u32 v14, v18, v15, s13
	v_cmp_o_f32_e32 vcc, v13, v13
	v_cndmask_b32_e32 v12, v7, v12, vcc
	v_and_b32_e32 v13, 0xffff0000, v14
	v_cmp_o_f32_e32 vcc, v18, v18
	v_or_b32_e32 v10, v10, v11
	v_cndmask_b32_e32 v11, v8, v13, vcc
	v_or3_b32 v10, v10, 0, 0
	v_or3_b32 v11, 0, v12, v11
	global_store_dwordx2 v[16:17], v[10:11], off
	s_andn2_b64 exec, exec, s[10:11]
	s_cbranch_execnz .LBB54_32
.LBB54_33:
	s_endpgm
	.section	.rodata,"a",@progbits
	.p2align	6, 0x0
	.amdhsa_kernel _ZN2at6native12_GLOBAL__N_125multi_tensor_apply_kernelINS1_18TensorListMetadataILi4EEENS1_24PointwiseOpScalarFunctorIN3c108BFloat16ELi4ELi3ELi3EEEJSt7dividesIfEfEEEvT_T0_DpT1_
		.amdhsa_group_segment_fixed_size 0
		.amdhsa_private_segment_fixed_size 0
		.amdhsa_kernarg_size 3312
		.amdhsa_user_sgpr_count 6
		.amdhsa_user_sgpr_private_segment_buffer 1
		.amdhsa_user_sgpr_dispatch_ptr 0
		.amdhsa_user_sgpr_queue_ptr 0
		.amdhsa_user_sgpr_kernarg_segment_ptr 1
		.amdhsa_user_sgpr_dispatch_id 0
		.amdhsa_user_sgpr_flat_scratch_init 0
		.amdhsa_user_sgpr_private_segment_size 0
		.amdhsa_uses_dynamic_stack 0
		.amdhsa_system_sgpr_private_segment_wavefront_offset 0
		.amdhsa_system_sgpr_workgroup_id_x 1
		.amdhsa_system_sgpr_workgroup_id_y 0
		.amdhsa_system_sgpr_workgroup_id_z 0
		.amdhsa_system_sgpr_workgroup_info 0
		.amdhsa_system_vgpr_workitem_id 0
		.amdhsa_next_free_vgpr 57
		.amdhsa_next_free_sgpr 37
		.amdhsa_reserve_vcc 1
		.amdhsa_reserve_flat_scratch 0
		.amdhsa_float_round_mode_32 0
		.amdhsa_float_round_mode_16_64 0
		.amdhsa_float_denorm_mode_32 3
		.amdhsa_float_denorm_mode_16_64 3
		.amdhsa_dx10_clamp 1
		.amdhsa_ieee_mode 1
		.amdhsa_fp16_overflow 0
		.amdhsa_exception_fp_ieee_invalid_op 0
		.amdhsa_exception_fp_denorm_src 0
		.amdhsa_exception_fp_ieee_div_zero 0
		.amdhsa_exception_fp_ieee_overflow 0
		.amdhsa_exception_fp_ieee_underflow 0
		.amdhsa_exception_fp_ieee_inexact 0
		.amdhsa_exception_int_div_zero 0
	.end_amdhsa_kernel
	.section	.text._ZN2at6native12_GLOBAL__N_125multi_tensor_apply_kernelINS1_18TensorListMetadataILi4EEENS1_24PointwiseOpScalarFunctorIN3c108BFloat16ELi4ELi3ELi3EEEJSt7dividesIfEfEEEvT_T0_DpT1_,"axG",@progbits,_ZN2at6native12_GLOBAL__N_125multi_tensor_apply_kernelINS1_18TensorListMetadataILi4EEENS1_24PointwiseOpScalarFunctorIN3c108BFloat16ELi4ELi3ELi3EEEJSt7dividesIfEfEEEvT_T0_DpT1_,comdat
.Lfunc_end54:
	.size	_ZN2at6native12_GLOBAL__N_125multi_tensor_apply_kernelINS1_18TensorListMetadataILi4EEENS1_24PointwiseOpScalarFunctorIN3c108BFloat16ELi4ELi3ELi3EEEJSt7dividesIfEfEEEvT_T0_DpT1_, .Lfunc_end54-_ZN2at6native12_GLOBAL__N_125multi_tensor_apply_kernelINS1_18TensorListMetadataILi4EEENS1_24PointwiseOpScalarFunctorIN3c108BFloat16ELi4ELi3ELi3EEEJSt7dividesIfEfEEEvT_T0_DpT1_
                                        ; -- End function
	.set _ZN2at6native12_GLOBAL__N_125multi_tensor_apply_kernelINS1_18TensorListMetadataILi4EEENS1_24PointwiseOpScalarFunctorIN3c108BFloat16ELi4ELi3ELi3EEEJSt7dividesIfEfEEEvT_T0_DpT1_.num_vgpr, 57
	.set _ZN2at6native12_GLOBAL__N_125multi_tensor_apply_kernelINS1_18TensorListMetadataILi4EEENS1_24PointwiseOpScalarFunctorIN3c108BFloat16ELi4ELi3ELi3EEEJSt7dividesIfEfEEEvT_T0_DpT1_.num_agpr, 0
	.set _ZN2at6native12_GLOBAL__N_125multi_tensor_apply_kernelINS1_18TensorListMetadataILi4EEENS1_24PointwiseOpScalarFunctorIN3c108BFloat16ELi4ELi3ELi3EEEJSt7dividesIfEfEEEvT_T0_DpT1_.numbered_sgpr, 37
	.set _ZN2at6native12_GLOBAL__N_125multi_tensor_apply_kernelINS1_18TensorListMetadataILi4EEENS1_24PointwiseOpScalarFunctorIN3c108BFloat16ELi4ELi3ELi3EEEJSt7dividesIfEfEEEvT_T0_DpT1_.num_named_barrier, 0
	.set _ZN2at6native12_GLOBAL__N_125multi_tensor_apply_kernelINS1_18TensorListMetadataILi4EEENS1_24PointwiseOpScalarFunctorIN3c108BFloat16ELi4ELi3ELi3EEEJSt7dividesIfEfEEEvT_T0_DpT1_.private_seg_size, 0
	.set _ZN2at6native12_GLOBAL__N_125multi_tensor_apply_kernelINS1_18TensorListMetadataILi4EEENS1_24PointwiseOpScalarFunctorIN3c108BFloat16ELi4ELi3ELi3EEEJSt7dividesIfEfEEEvT_T0_DpT1_.uses_vcc, 1
	.set _ZN2at6native12_GLOBAL__N_125multi_tensor_apply_kernelINS1_18TensorListMetadataILi4EEENS1_24PointwiseOpScalarFunctorIN3c108BFloat16ELi4ELi3ELi3EEEJSt7dividesIfEfEEEvT_T0_DpT1_.uses_flat_scratch, 0
	.set _ZN2at6native12_GLOBAL__N_125multi_tensor_apply_kernelINS1_18TensorListMetadataILi4EEENS1_24PointwiseOpScalarFunctorIN3c108BFloat16ELi4ELi3ELi3EEEJSt7dividesIfEfEEEvT_T0_DpT1_.has_dyn_sized_stack, 0
	.set _ZN2at6native12_GLOBAL__N_125multi_tensor_apply_kernelINS1_18TensorListMetadataILi4EEENS1_24PointwiseOpScalarFunctorIN3c108BFloat16ELi4ELi3ELi3EEEJSt7dividesIfEfEEEvT_T0_DpT1_.has_recursion, 0
	.set _ZN2at6native12_GLOBAL__N_125multi_tensor_apply_kernelINS1_18TensorListMetadataILi4EEENS1_24PointwiseOpScalarFunctorIN3c108BFloat16ELi4ELi3ELi3EEEJSt7dividesIfEfEEEvT_T0_DpT1_.has_indirect_call, 0
	.section	.AMDGPU.csdata,"",@progbits
; Kernel info:
; codeLenInByte = 2984
; TotalNumSgprs: 41
; NumVgprs: 57
; ScratchSize: 0
; MemoryBound: 0
; FloatMode: 240
; IeeeMode: 1
; LDSByteSize: 0 bytes/workgroup (compile time only)
; SGPRBlocks: 5
; VGPRBlocks: 14
; NumSGPRsForWavesPerEU: 41
; NumVGPRsForWavesPerEU: 57
; Occupancy: 4
; WaveLimiterHint : 0
; COMPUTE_PGM_RSRC2:SCRATCH_EN: 0
; COMPUTE_PGM_RSRC2:USER_SGPR: 6
; COMPUTE_PGM_RSRC2:TRAP_HANDLER: 0
; COMPUTE_PGM_RSRC2:TGID_X_EN: 1
; COMPUTE_PGM_RSRC2:TGID_Y_EN: 0
; COMPUTE_PGM_RSRC2:TGID_Z_EN: 0
; COMPUTE_PGM_RSRC2:TIDIG_COMP_CNT: 0
	.section	.text._ZN2at6native12_GLOBAL__N_125multi_tensor_apply_kernelINS1_18TensorListMetadataILi4EEENS1_32PointwiseOpScalar0dTensorFunctorIhLi4ELi2ELi3EEEJSt7dividesIhEhEEEvT_T0_DpT1_,"axG",@progbits,_ZN2at6native12_GLOBAL__N_125multi_tensor_apply_kernelINS1_18TensorListMetadataILi4EEENS1_32PointwiseOpScalar0dTensorFunctorIhLi4ELi2ELi3EEEJSt7dividesIhEhEEEvT_T0_DpT1_,comdat
	.globl	_ZN2at6native12_GLOBAL__N_125multi_tensor_apply_kernelINS1_18TensorListMetadataILi4EEENS1_32PointwiseOpScalar0dTensorFunctorIhLi4ELi2ELi3EEEJSt7dividesIhEhEEEvT_T0_DpT1_ ; -- Begin function _ZN2at6native12_GLOBAL__N_125multi_tensor_apply_kernelINS1_18TensorListMetadataILi4EEENS1_32PointwiseOpScalar0dTensorFunctorIhLi4ELi2ELi3EEEJSt7dividesIhEhEEEvT_T0_DpT1_
	.p2align	8
	.type	_ZN2at6native12_GLOBAL__N_125multi_tensor_apply_kernelINS1_18TensorListMetadataILi4EEENS1_32PointwiseOpScalar0dTensorFunctorIhLi4ELi2ELi3EEEJSt7dividesIhEhEEEvT_T0_DpT1_,@function
_ZN2at6native12_GLOBAL__N_125multi_tensor_apply_kernelINS1_18TensorListMetadataILi4EEENS1_32PointwiseOpScalar0dTensorFunctorIhLi4ELi2ELi3EEEJSt7dividesIhEhEEEvT_T0_DpT1_: ; @_ZN2at6native12_GLOBAL__N_125multi_tensor_apply_kernelINS1_18TensorListMetadataILi4EEENS1_32PointwiseOpScalar0dTensorFunctorIhLi4ELi2ELi3EEEJSt7dividesIhEhEEEvT_T0_DpT1_
; %bb.0:
	v_mov_b32_e32 v1, s6
	global_load_ubyte v1, v1, s[4:5] offset:1440
	s_add_u32 s0, s4, s6
	s_addc_u32 s1, s5, 0
	s_mul_hi_u32 s2, s6, 3
	s_mul_i32 s6, s6, 3
	s_add_u32 s0, s0, s6
	s_addc_u32 s1, s1, s2
	s_load_dword s0, s[0:1], 0x6e0
	v_mov_b32_e32 v3, 0
	s_waitcnt vmcnt(0)
	v_readfirstlane_b32 s1, v1
	s_lshl_b32 s14, s1, 3
	s_load_dwordx2 s[2:3], s[4:5], s14 offset:0x120
	s_load_dwordx2 s[10:11], s[4:5], s14 offset:0x240
	;; [unrolled: 1-line block ×4, first 2 shown]
	s_waitcnt lgkmcnt(0)
	s_ashr_i32 s1, s0, 31
	global_load_ubyte v4, v3, s[2:3]
	s_load_dword s24, s[4:5], 0xbe8
	s_load_dwordx2 s[6:7], s[4:5], s14 offset:0x480
	s_lshl_b64 s[14:15], s[0:1], 16
	s_add_u32 s0, s12, s14
	s_addc_u32 s1, s13, s15
	s_add_u32 s2, s2, s14
	s_mov_b32 s3, 0
	s_and_b32 s2, s2, 3
	s_cmp_lg_u64 s[2:3], 0
	s_cselect_b64 s[16:17], -1, 0
	s_add_u32 s2, s10, s14
	s_or_b32 s2, s8, s2
	s_and_b32 s2, s2, 3
	s_cmp_lg_u32 s2, 0
	s_cselect_b64 s[18:19], -1, 0
	s_or_b64 s[18:19], s[18:19], s[16:17]
	s_waitcnt lgkmcnt(0)
	s_sub_u32 s16, s6, s14
	s_subb_u32 s17, s7, s15
	s_or_b64 s[0:1], s[6:7], s[0:1]
	s_and_b32 s2, s0, 3
	s_cmp_lg_u64 s[2:3], 0
	s_cselect_b64 s[0:1], -1, 0
	s_or_b64 s[0:1], s[18:19], s[0:1]
	s_andn2_b64 vcc, exec, s[0:1]
	s_mov_b64 s[0:1], -1
	s_cbranch_vccz .LBB55_5
; %bb.1:
	v_mov_b32_e32 v1, 0x10000
	v_mov_b32_e32 v2, 0
	v_cmp_lt_i64_e32 vcc, s[16:17], v[1:2]
	v_lshlrev_b32_e32 v2, 2, v0
	s_and_b64 s[0:1], vcc, exec
	s_cselect_b32 s19, s17, 0
	s_cselect_b32 s18, s16, 0x10000
	v_cmp_gt_i64_e32 vcc, s[18:19], v[2:3]
	s_and_saveexec_b64 s[20:21], vcc
	s_cbranch_execz .LBB55_4
; %bb.2:
	s_load_dword s0, s[4:5], 0xbfc
	v_mov_b32_e32 v1, v3
	v_mov_b32_e32 v6, s15
	v_add_co_u32_e32 v5, vcc, s14, v2
	s_waitcnt lgkmcnt(0)
	s_and_b32 s25, s0, 0xffff
	v_mov_b32_e32 v2, v1
	s_waitcnt vmcnt(0)
	v_cvt_f32_ubyte0_e32 v3, v4
	v_addc_co_u32_e32 v6, vcc, 0, v6, vcc
	s_lshl_b32 s26, s25, 2
	s_mov_b64 s[22:23], 0
	s_lshr_b32 s27, s24, 16
	v_mov_b32_e32 v7, s13
	v_mov_b32_e32 v8, s11
	s_mov_b32 s28, 0x6050400
	v_mov_b32_e32 v9, s9
	v_mov_b32_e32 v1, v0
.LBB55_3:                               ; =>This Inner Loop Header: Depth=1
	v_add_co_u32_e32 v10, vcc, s12, v5
	v_addc_co_u32_e32 v11, vcc, v7, v6, vcc
	v_add_co_u32_e32 v12, vcc, s10, v5
	v_addc_co_u32_e32 v13, vcc, v8, v6, vcc
	global_load_dword v14, v[12:13], off
	global_load_dword v15, v[10:11], off
	v_add_co_u32_e32 v10, vcc, s8, v5
	v_addc_co_u32_e32 v11, vcc, v9, v6, vcc
	v_add_co_u32_e32 v1, vcc, s25, v1
	v_addc_co_u32_e32 v2, vcc, 0, v2, vcc
	v_add_co_u32_e32 v5, vcc, s26, v5
	v_lshlrev_b64 v[12:13], 2, v[1:2]
	v_addc_co_u32_e32 v6, vcc, 0, v6, vcc
	v_cmp_le_i64_e32 vcc, s[18:19], v[12:13]
	s_or_b64 s[22:23], vcc, s[22:23]
	s_waitcnt vmcnt(1)
	v_cvt_f32_ubyte1_e32 v16, v14
	v_cvt_f32_ubyte2_e32 v18, v14
	v_cvt_f32_ubyte0_e32 v12, v14
	v_cvt_f32_ubyte3_e32 v14, v14
	v_rcp_iflag_f32_e32 v21, v16
	v_rcp_iflag_f32_e32 v22, v18
	v_rcp_iflag_f32_e32 v20, v12
	v_rcp_iflag_f32_e32 v23, v14
	v_mul_f32_e32 v21, v3, v21
	v_mul_f32_e32 v22, v3, v22
	;; [unrolled: 1-line block ×4, first 2 shown]
	v_trunc_f32_e32 v21, v21
	v_trunc_f32_e32 v22, v22
	;; [unrolled: 1-line block ×4, first 2 shown]
	v_mad_f32 v25, -v21, v16, v3
	v_cvt_u32_f32_e32 v21, v21
	v_mad_f32 v26, -v22, v18, v3
	v_cvt_u32_f32_e32 v22, v22
	;; [unrolled: 2-line block ×4, first 2 shown]
	v_cmp_ge_f32_e64 vcc, |v25|, v16
	v_cmp_ge_f32_e64 s[0:1], |v26|, v18
	s_waitcnt vmcnt(0)
	v_lshrrev_b32_e32 v13, 8, v15
	v_lshrrev_b32_e32 v17, 16, v15
	v_cmp_ge_f32_e64 s[2:3], |v27|, v14
	v_cmp_ge_f32_e64 s[6:7], |v24|, v12
	v_addc_co_u32_e32 v14, vcc, 0, v21, vcc
	v_addc_co_u32_e64 v16, vcc, 0, v22, s[0:1]
	v_lshrrev_b32_e32 v19, 24, v15
	v_addc_co_u32_e64 v12, s[6:7], 0, v20, s[6:7]
	v_addc_co_u32_e64 v18, vcc, 0, v23, s[2:3]
	v_mad_legacy_u16 v13, v14, s27, v13
	v_mad_legacy_u16 v14, v16, s27, v17
	;; [unrolled: 1-line block ×4, first 2 shown]
	v_and_b32_e32 v13, 0xff, v13
	v_and_b32_e32 v14, 0xff, v14
	v_lshlrev_b32_e32 v15, 24, v15
	v_perm_b32 v12, v13, v12, s28
	v_lshlrev_b32_e32 v13, 16, v14
	v_or3_b32 v12, v12, v13, v15
	global_store_dword v[10:11], v12, off
	s_andn2_b64 exec, exec, s[22:23]
	s_cbranch_execnz .LBB55_3
.LBB55_4:
	s_or_b64 exec, exec, s[20:21]
	s_mov_b64 s[0:1], 0
.LBB55_5:
	s_andn2_b64 vcc, exec, s[0:1]
	s_cbranch_vccnz .LBB55_25
; %bb.6:
	v_cmp_lt_i64_e64 s[0:1], s[16:17], 1
	s_and_b64 vcc, exec, s[0:1]
	s_cbranch_vccnz .LBB55_25
; %bb.7:
	v_mov_b32_e32 v1, 0x10000
	s_load_dword s2, s[4:5], 0xbfc
	v_mov_b32_e32 v2, 0
	v_cmp_lt_i64_e32 vcc, s[16:17], v[1:2]
	v_mov_b32_e32 v3, s13
	s_and_b64 s[0:1], vcc, exec
	v_cmp_lt_u64_e32 vcc, s[16:17], v[1:2]
	s_cselect_b32 s1, s17, 0
	s_cselect_b32 s0, s16, 0x10000
	s_waitcnt lgkmcnt(0)
	s_and_b32 s18, s2, 0xffff
	s_and_b64 s[2:3], vcc, exec
	v_mov_b32_e32 v1, s15
	v_add_co_u32_e32 v2, vcc, s14, v0
	s_cselect_b32 s3, s17, 0
	s_cselect_b32 s2, s16, 0x10000
	s_lshl_b32 s17, s18, 1
	s_mul_i32 s6, s18, 3
	s_lshl_b32 s16, s18, 2
	v_addc_co_u32_e32 v1, vcc, 0, v1, vcc
	v_add_co_u32_e32 v9, vcc, s12, v2
	s_add_u32 s4, s14, s6
	v_addc_co_u32_e32 v10, vcc, v3, v1, vcc
	s_addc_u32 s5, s15, 0
	v_mov_b32_e32 v3, s5
	v_add_co_u32_e32 v5, vcc, s4, v0
	v_addc_co_u32_e32 v3, vcc, 0, v3, vcc
	v_mov_b32_e32 v6, s13
	v_add_co_u32_e32 v11, vcc, s12, v5
	v_addc_co_u32_e32 v12, vcc, v6, v3, vcc
	;; [unrolled: 3-line block ×3, first 2 shown]
	v_mov_b32_e32 v6, s9
	v_add_co_u32_e32 v15, vcc, s8, v5
	s_add_u32 s4, s14, s17
	v_addc_co_u32_e32 v16, vcc, v6, v3, vcc
	s_addc_u32 s5, s15, 0
	v_mov_b32_e32 v3, s5
	v_add_co_u32_e32 v5, vcc, s4, v0
	v_addc_co_u32_e32 v3, vcc, 0, v3, vcc
	v_mov_b32_e32 v6, s13
	v_add_co_u32_e32 v17, vcc, s12, v5
	v_addc_co_u32_e32 v18, vcc, v6, v3, vcc
	;; [unrolled: 3-line block ×6, first 2 shown]
	v_add_co_u32_e32 v2, vcc, s18, v2
	v_addc_co_u32_e32 v1, vcc, 0, v1, vcc
	v_mov_b32_e32 v3, s13
	v_add_co_u32_e32 v27, vcc, s12, v2
	v_addc_co_u32_e32 v28, vcc, v3, v1, vcc
	v_mov_b32_e32 v3, s11
	;; [unrolled: 3-line block ×3, first 2 shown]
	v_add_co_u32_e32 v31, vcc, s8, v2
	v_addc_co_u32_e32 v32, vcc, v3, v1, vcc
	v_add_co_u32_e32 v34, vcc, s6, v0
	v_addc_co_u32_e64 v35, s[6:7], 0, 0, vcc
	v_add_co_u32_e32 v36, vcc, s17, v0
	v_addc_co_u32_e64 v37, s[6:7], 0, 0, vcc
	v_add_co_u32_e32 v38, vcc, s18, v0
	s_waitcnt vmcnt(0)
	v_cvt_f32_ubyte0_e32 v33, v4
	s_mov_b64 s[4:5], 0
	v_addc_co_u32_e64 v39, s[6:7], 0, 0, vcc
	s_branch .LBB55_9
.LBB55_8:                               ;   in Loop: Header=BB55_9 Depth=1
	s_or_b64 exec, exec, s[6:7]
	s_add_u32 s4, s4, s16
	v_mov_b32_e32 v2, s1
	s_addc_u32 s5, s5, 0
	v_mov_b32_e32 v1, s0
	v_cmp_ge_i64_e32 vcc, s[4:5], v[1:2]
	s_cbranch_vccnz .LBB55_25
.LBB55_9:                               ; =>This Inner Loop Header: Depth=1
	v_mov_b32_e32 v2, s5
	v_add_co_u32_e32 v1, vcc, s4, v0
	v_addc_co_u32_e32 v2, vcc, 0, v2, vcc
	v_cmp_gt_i64_e32 vcc, s[0:1], v[1:2]
	s_waitcnt vmcnt(0)
	v_mov_b32_e32 v41, 0
	v_mov_b32_e32 v40, 0
	s_and_saveexec_b64 s[6:7], vcc
	s_cbranch_execz .LBB55_11
; %bb.10:                               ;   in Loop: Header=BB55_9 Depth=1
	v_mov_b32_e32 v6, s5
	v_add_co_u32_e32 v3, vcc, s4, v9
	v_addc_co_u32_e32 v4, vcc, v10, v6, vcc
	v_add_co_u32_e32 v5, vcc, s4, v23
	v_addc_co_u32_e32 v6, vcc, v24, v6, vcc
	global_load_ubyte v40, v[3:4], off
	global_load_ubyte v41, v[5:6], off
.LBB55_11:                              ;   in Loop: Header=BB55_9 Depth=1
	s_or_b64 exec, exec, s[6:7]
	v_mov_b32_e32 v4, s5
	v_add_co_u32_e32 v3, vcc, s4, v38
	v_addc_co_u32_e32 v4, vcc, v39, v4, vcc
	v_cmp_gt_i64_e32 vcc, s[0:1], v[3:4]
	s_and_saveexec_b64 s[6:7], vcc
	s_cbranch_execz .LBB55_13
; %bb.12:                               ;   in Loop: Header=BB55_9 Depth=1
	v_mov_b32_e32 v8, s5
	v_add_co_u32_e32 v5, vcc, s4, v29
	v_addc_co_u32_e32 v6, vcc, v30, v8, vcc
	v_add_co_u32_e32 v7, vcc, s4, v27
	v_addc_co_u32_e32 v8, vcc, v28, v8, vcc
	global_load_ubyte v42, v[7:8], off
	global_load_ubyte v43, v[5:6], off
	s_waitcnt vmcnt(1)
	v_lshl_or_b32 v40, v42, 8, v40
	s_waitcnt vmcnt(0)
	v_lshl_or_b32 v41, v43, 8, v41
.LBB55_13:                              ;   in Loop: Header=BB55_9 Depth=1
	s_or_b64 exec, exec, s[6:7]
	v_mov_b32_e32 v6, s5
	v_add_co_u32_e32 v5, vcc, s4, v36
	v_addc_co_u32_e32 v6, vcc, v37, v6, vcc
	v_cmp_gt_i64_e32 vcc, s[0:1], v[5:6]
	s_and_saveexec_b64 s[6:7], vcc
	s_cbranch_execz .LBB55_15
; %bb.14:                               ;   in Loop: Header=BB55_9 Depth=1
	v_mov_b32_e32 v43, s5
	v_add_co_u32_e32 v7, vcc, s4, v19
	v_addc_co_u32_e32 v8, vcc, v20, v43, vcc
	v_add_co_u32_e32 v42, vcc, s4, v17
	v_addc_co_u32_e32 v43, vcc, v18, v43, vcc
	global_load_ubyte v44, v[42:43], off
	global_load_ubyte v45, v[7:8], off
	s_waitcnt vmcnt(1)
	v_lshl_or_b32 v40, v44, 16, v40
	s_waitcnt vmcnt(0)
	v_lshl_or_b32 v41, v45, 16, v41
.LBB55_15:                              ;   in Loop: Header=BB55_9 Depth=1
	s_or_b64 exec, exec, s[6:7]
	v_mov_b32_e32 v8, s5
	v_add_co_u32_e32 v7, vcc, s4, v34
	v_addc_co_u32_e32 v8, vcc, v35, v8, vcc
	v_cmp_gt_i64_e32 vcc, s[0:1], v[7:8]
	s_and_saveexec_b64 s[6:7], vcc
	s_cbranch_execnz .LBB55_20
; %bb.16:                               ;   in Loop: Header=BB55_9 Depth=1
	s_or_b64 exec, exec, s[6:7]
	v_cmp_gt_u64_e32 vcc, s[2:3], v[1:2]
	s_and_saveexec_b64 s[6:7], vcc
	s_cbranch_execnz .LBB55_21
.LBB55_17:                              ;   in Loop: Header=BB55_9 Depth=1
	s_or_b64 exec, exec, s[6:7]
	v_cmp_gt_u64_e32 vcc, s[2:3], v[3:4]
	s_and_saveexec_b64 s[6:7], vcc
	s_cbranch_execnz .LBB55_22
.LBB55_18:                              ;   in Loop: Header=BB55_9 Depth=1
	s_or_b64 exec, exec, s[6:7]
	v_cmp_gt_u64_e32 vcc, s[2:3], v[5:6]
	s_and_saveexec_b64 s[6:7], vcc
	s_cbranch_execnz .LBB55_23
.LBB55_19:                              ;   in Loop: Header=BB55_9 Depth=1
	s_or_b64 exec, exec, s[6:7]
	v_cmp_gt_u64_e32 vcc, s[2:3], v[7:8]
	s_and_saveexec_b64 s[6:7], vcc
	s_cbranch_execz .LBB55_8
	s_branch .LBB55_24
.LBB55_20:                              ;   in Loop: Header=BB55_9 Depth=1
	v_mov_b32_e32 v45, s5
	v_add_co_u32_e32 v42, vcc, s4, v13
	v_addc_co_u32_e32 v43, vcc, v14, v45, vcc
	v_add_co_u32_e32 v44, vcc, s4, v11
	v_addc_co_u32_e32 v45, vcc, v12, v45, vcc
	global_load_ubyte v46, v[44:45], off
	global_load_ubyte v47, v[42:43], off
	s_waitcnt vmcnt(1)
	v_lshl_or_b32 v40, v46, 24, v40
	s_waitcnt vmcnt(0)
	v_lshl_or_b32 v41, v47, 24, v41
	s_or_b64 exec, exec, s[6:7]
	v_cmp_gt_u64_e32 vcc, s[2:3], v[1:2]
	s_and_saveexec_b64 s[6:7], vcc
	s_cbranch_execz .LBB55_17
.LBB55_21:                              ;   in Loop: Header=BB55_9 Depth=1
	s_waitcnt vmcnt(0)
	v_cvt_f32_ubyte0_e32 v42, v41
	v_rcp_iflag_f32_e32 v43, v42
	v_mov_b32_e32 v2, s5
	v_add_co_u32_e32 v1, vcc, s4, v25
	v_mul_f32_e32 v43, v33, v43
	v_trunc_f32_e32 v43, v43
	v_cvt_u32_f32_e32 v44, v43
	v_addc_co_u32_e32 v2, vcc, v26, v2, vcc
	v_mad_f32 v43, -v43, v42, v33
	v_cmp_ge_f32_e64 vcc, |v43|, v42
	s_lshr_b32 s8, s24, 16
	v_addc_co_u32_e32 v42, vcc, 0, v44, vcc
	v_mad_legacy_u16 v42, v42, s8, v40
	global_store_byte v[1:2], v42, off
	s_or_b64 exec, exec, s[6:7]
	v_cmp_gt_u64_e32 vcc, s[2:3], v[3:4]
	s_and_saveexec_b64 s[6:7], vcc
	s_cbranch_execz .LBB55_18
.LBB55_22:                              ;   in Loop: Header=BB55_9 Depth=1
	s_waitcnt vmcnt(0)
	v_cvt_f32_ubyte1_e32 v1, v41
	v_rcp_iflag_f32_e32 v2, v1
	s_lshr_b32 s8, s24, 16
	v_lshrrev_b32_e32 v3, 8, v40
	v_mov_b32_e32 v4, s5
	v_mul_f32_e32 v2, v33, v2
	v_trunc_f32_e32 v2, v2
	v_cvt_u32_f32_e32 v42, v2
	v_mad_f32 v2, -v2, v1, v33
	v_cmp_ge_f32_e64 vcc, |v2|, v1
	v_addc_co_u32_e32 v1, vcc, 0, v42, vcc
	v_mad_legacy_u16 v3, v1, s8, v3
	v_add_co_u32_e32 v1, vcc, s4, v31
	v_addc_co_u32_e32 v2, vcc, v32, v4, vcc
	global_store_byte v[1:2], v3, off
	s_or_b64 exec, exec, s[6:7]
	v_cmp_gt_u64_e32 vcc, s[2:3], v[5:6]
	s_and_saveexec_b64 s[6:7], vcc
	s_cbranch_execz .LBB55_19
.LBB55_23:                              ;   in Loop: Header=BB55_9 Depth=1
	s_waitcnt vmcnt(0)
	v_cvt_f32_ubyte2_e32 v1, v41
	v_rcp_iflag_f32_e32 v2, v1
	s_lshr_b32 s8, s24, 16
	v_lshrrev_b32_e32 v3, 16, v40
	v_mov_b32_e32 v4, s5
	v_mul_f32_e32 v2, v33, v2
	v_trunc_f32_e32 v2, v2
	v_cvt_u32_f32_e32 v5, v2
	v_mad_f32 v2, -v2, v1, v33
	v_cmp_ge_f32_e64 vcc, |v2|, v1
	v_addc_co_u32_e32 v1, vcc, 0, v5, vcc
	v_mad_legacy_u16 v3, v1, s8, v3
	v_add_co_u32_e32 v1, vcc, s4, v21
	v_addc_co_u32_e32 v2, vcc, v22, v4, vcc
	global_store_byte v[1:2], v3, off
	s_or_b64 exec, exec, s[6:7]
	v_cmp_gt_u64_e32 vcc, s[2:3], v[7:8]
	s_and_saveexec_b64 s[6:7], vcc
	s_cbranch_execz .LBB55_8
.LBB55_24:                              ;   in Loop: Header=BB55_9 Depth=1
	s_waitcnt vmcnt(0)
	v_cvt_f32_ubyte3_e32 v1, v41
	v_rcp_iflag_f32_e32 v2, v1
	s_lshr_b32 s8, s24, 16
	v_lshrrev_b32_e32 v3, 24, v40
	v_mov_b32_e32 v4, s5
	v_mul_f32_e32 v2, v33, v2
	v_trunc_f32_e32 v2, v2
	v_cvt_u32_f32_e32 v5, v2
	v_mad_f32 v2, -v2, v1, v33
	v_cmp_ge_f32_e64 vcc, |v2|, v1
	v_addc_co_u32_e32 v1, vcc, 0, v5, vcc
	v_mad_legacy_u16 v3, v1, s8, v3
	v_add_co_u32_e32 v1, vcc, s4, v15
	v_addc_co_u32_e32 v2, vcc, v16, v4, vcc
	global_store_byte v[1:2], v3, off
	s_branch .LBB55_8
.LBB55_25:
	s_endpgm
	.section	.rodata,"a",@progbits
	.p2align	6, 0x0
	.amdhsa_kernel _ZN2at6native12_GLOBAL__N_125multi_tensor_apply_kernelINS1_18TensorListMetadataILi4EEENS1_32PointwiseOpScalar0dTensorFunctorIhLi4ELi2ELi3EEEJSt7dividesIhEhEEEvT_T0_DpT1_
		.amdhsa_group_segment_fixed_size 0
		.amdhsa_private_segment_fixed_size 0
		.amdhsa_kernarg_size 3312
		.amdhsa_user_sgpr_count 6
		.amdhsa_user_sgpr_private_segment_buffer 1
		.amdhsa_user_sgpr_dispatch_ptr 0
		.amdhsa_user_sgpr_queue_ptr 0
		.amdhsa_user_sgpr_kernarg_segment_ptr 1
		.amdhsa_user_sgpr_dispatch_id 0
		.amdhsa_user_sgpr_flat_scratch_init 0
		.amdhsa_user_sgpr_private_segment_size 0
		.amdhsa_uses_dynamic_stack 0
		.amdhsa_system_sgpr_private_segment_wavefront_offset 0
		.amdhsa_system_sgpr_workgroup_id_x 1
		.amdhsa_system_sgpr_workgroup_id_y 0
		.amdhsa_system_sgpr_workgroup_id_z 0
		.amdhsa_system_sgpr_workgroup_info 0
		.amdhsa_system_vgpr_workitem_id 0
		.amdhsa_next_free_vgpr 48
		.amdhsa_next_free_sgpr 29
		.amdhsa_reserve_vcc 1
		.amdhsa_reserve_flat_scratch 0
		.amdhsa_float_round_mode_32 0
		.amdhsa_float_round_mode_16_64 0
		.amdhsa_float_denorm_mode_32 3
		.amdhsa_float_denorm_mode_16_64 3
		.amdhsa_dx10_clamp 1
		.amdhsa_ieee_mode 1
		.amdhsa_fp16_overflow 0
		.amdhsa_exception_fp_ieee_invalid_op 0
		.amdhsa_exception_fp_denorm_src 0
		.amdhsa_exception_fp_ieee_div_zero 0
		.amdhsa_exception_fp_ieee_overflow 0
		.amdhsa_exception_fp_ieee_underflow 0
		.amdhsa_exception_fp_ieee_inexact 0
		.amdhsa_exception_int_div_zero 0
	.end_amdhsa_kernel
	.section	.text._ZN2at6native12_GLOBAL__N_125multi_tensor_apply_kernelINS1_18TensorListMetadataILi4EEENS1_32PointwiseOpScalar0dTensorFunctorIhLi4ELi2ELi3EEEJSt7dividesIhEhEEEvT_T0_DpT1_,"axG",@progbits,_ZN2at6native12_GLOBAL__N_125multi_tensor_apply_kernelINS1_18TensorListMetadataILi4EEENS1_32PointwiseOpScalar0dTensorFunctorIhLi4ELi2ELi3EEEJSt7dividesIhEhEEEvT_T0_DpT1_,comdat
.Lfunc_end55:
	.size	_ZN2at6native12_GLOBAL__N_125multi_tensor_apply_kernelINS1_18TensorListMetadataILi4EEENS1_32PointwiseOpScalar0dTensorFunctorIhLi4ELi2ELi3EEEJSt7dividesIhEhEEEvT_T0_DpT1_, .Lfunc_end55-_ZN2at6native12_GLOBAL__N_125multi_tensor_apply_kernelINS1_18TensorListMetadataILi4EEENS1_32PointwiseOpScalar0dTensorFunctorIhLi4ELi2ELi3EEEJSt7dividesIhEhEEEvT_T0_DpT1_
                                        ; -- End function
	.set _ZN2at6native12_GLOBAL__N_125multi_tensor_apply_kernelINS1_18TensorListMetadataILi4EEENS1_32PointwiseOpScalar0dTensorFunctorIhLi4ELi2ELi3EEEJSt7dividesIhEhEEEvT_T0_DpT1_.num_vgpr, 48
	.set _ZN2at6native12_GLOBAL__N_125multi_tensor_apply_kernelINS1_18TensorListMetadataILi4EEENS1_32PointwiseOpScalar0dTensorFunctorIhLi4ELi2ELi3EEEJSt7dividesIhEhEEEvT_T0_DpT1_.num_agpr, 0
	.set _ZN2at6native12_GLOBAL__N_125multi_tensor_apply_kernelINS1_18TensorListMetadataILi4EEENS1_32PointwiseOpScalar0dTensorFunctorIhLi4ELi2ELi3EEEJSt7dividesIhEhEEEvT_T0_DpT1_.numbered_sgpr, 29
	.set _ZN2at6native12_GLOBAL__N_125multi_tensor_apply_kernelINS1_18TensorListMetadataILi4EEENS1_32PointwiseOpScalar0dTensorFunctorIhLi4ELi2ELi3EEEJSt7dividesIhEhEEEvT_T0_DpT1_.num_named_barrier, 0
	.set _ZN2at6native12_GLOBAL__N_125multi_tensor_apply_kernelINS1_18TensorListMetadataILi4EEENS1_32PointwiseOpScalar0dTensorFunctorIhLi4ELi2ELi3EEEJSt7dividesIhEhEEEvT_T0_DpT1_.private_seg_size, 0
	.set _ZN2at6native12_GLOBAL__N_125multi_tensor_apply_kernelINS1_18TensorListMetadataILi4EEENS1_32PointwiseOpScalar0dTensorFunctorIhLi4ELi2ELi3EEEJSt7dividesIhEhEEEvT_T0_DpT1_.uses_vcc, 1
	.set _ZN2at6native12_GLOBAL__N_125multi_tensor_apply_kernelINS1_18TensorListMetadataILi4EEENS1_32PointwiseOpScalar0dTensorFunctorIhLi4ELi2ELi3EEEJSt7dividesIhEhEEEvT_T0_DpT1_.uses_flat_scratch, 0
	.set _ZN2at6native12_GLOBAL__N_125multi_tensor_apply_kernelINS1_18TensorListMetadataILi4EEENS1_32PointwiseOpScalar0dTensorFunctorIhLi4ELi2ELi3EEEJSt7dividesIhEhEEEvT_T0_DpT1_.has_dyn_sized_stack, 0
	.set _ZN2at6native12_GLOBAL__N_125multi_tensor_apply_kernelINS1_18TensorListMetadataILi4EEENS1_32PointwiseOpScalar0dTensorFunctorIhLi4ELi2ELi3EEEJSt7dividesIhEhEEEvT_T0_DpT1_.has_recursion, 0
	.set _ZN2at6native12_GLOBAL__N_125multi_tensor_apply_kernelINS1_18TensorListMetadataILi4EEENS1_32PointwiseOpScalar0dTensorFunctorIhLi4ELi2ELi3EEEJSt7dividesIhEhEEEvT_T0_DpT1_.has_indirect_call, 0
	.section	.AMDGPU.csdata,"",@progbits
; Kernel info:
; codeLenInByte = 1900
; TotalNumSgprs: 33
; NumVgprs: 48
; ScratchSize: 0
; MemoryBound: 0
; FloatMode: 240
; IeeeMode: 1
; LDSByteSize: 0 bytes/workgroup (compile time only)
; SGPRBlocks: 4
; VGPRBlocks: 11
; NumSGPRsForWavesPerEU: 33
; NumVGPRsForWavesPerEU: 48
; Occupancy: 5
; WaveLimiterHint : 0
; COMPUTE_PGM_RSRC2:SCRATCH_EN: 0
; COMPUTE_PGM_RSRC2:USER_SGPR: 6
; COMPUTE_PGM_RSRC2:TRAP_HANDLER: 0
; COMPUTE_PGM_RSRC2:TGID_X_EN: 1
; COMPUTE_PGM_RSRC2:TGID_Y_EN: 0
; COMPUTE_PGM_RSRC2:TGID_Z_EN: 0
; COMPUTE_PGM_RSRC2:TIDIG_COMP_CNT: 0
	.section	.text._ZN2at6native12_GLOBAL__N_125multi_tensor_apply_kernelINS1_18TensorListMetadataILi4EEENS1_32PointwiseOpScalar0dTensorFunctorIaLi4ELi2ELi3EEEJSt7dividesIaEaEEEvT_T0_DpT1_,"axG",@progbits,_ZN2at6native12_GLOBAL__N_125multi_tensor_apply_kernelINS1_18TensorListMetadataILi4EEENS1_32PointwiseOpScalar0dTensorFunctorIaLi4ELi2ELi3EEEJSt7dividesIaEaEEEvT_T0_DpT1_,comdat
	.globl	_ZN2at6native12_GLOBAL__N_125multi_tensor_apply_kernelINS1_18TensorListMetadataILi4EEENS1_32PointwiseOpScalar0dTensorFunctorIaLi4ELi2ELi3EEEJSt7dividesIaEaEEEvT_T0_DpT1_ ; -- Begin function _ZN2at6native12_GLOBAL__N_125multi_tensor_apply_kernelINS1_18TensorListMetadataILi4EEENS1_32PointwiseOpScalar0dTensorFunctorIaLi4ELi2ELi3EEEJSt7dividesIaEaEEEvT_T0_DpT1_
	.p2align	8
	.type	_ZN2at6native12_GLOBAL__N_125multi_tensor_apply_kernelINS1_18TensorListMetadataILi4EEENS1_32PointwiseOpScalar0dTensorFunctorIaLi4ELi2ELi3EEEJSt7dividesIaEaEEEvT_T0_DpT1_,@function
_ZN2at6native12_GLOBAL__N_125multi_tensor_apply_kernelINS1_18TensorListMetadataILi4EEENS1_32PointwiseOpScalar0dTensorFunctorIaLi4ELi2ELi3EEEJSt7dividesIaEaEEEvT_T0_DpT1_: ; @_ZN2at6native12_GLOBAL__N_125multi_tensor_apply_kernelINS1_18TensorListMetadataILi4EEENS1_32PointwiseOpScalar0dTensorFunctorIaLi4ELi2ELi3EEEJSt7dividesIaEaEEEvT_T0_DpT1_
; %bb.0:
	v_mov_b32_e32 v1, s6
	global_load_ubyte v1, v1, s[4:5] offset:1440
	s_add_u32 s0, s4, s6
	s_addc_u32 s1, s5, 0
	s_mul_hi_u32 s2, s6, 3
	s_mul_i32 s6, s6, 3
	s_add_u32 s0, s0, s6
	s_addc_u32 s1, s1, s2
	s_load_dword s0, s[0:1], 0x6e0
	v_mov_b32_e32 v3, 0
	s_mov_b32 s15, 0
	s_waitcnt vmcnt(0)
	v_readfirstlane_b32 s1, v1
	s_lshl_b32 s12, s1, 3
	s_load_dwordx2 s[2:3], s[4:5], s12 offset:0x120
	s_load_dwordx2 s[8:9], s[4:5], s12 offset:0x240
	s_load_dwordx2 s[6:7], s[4:5], s12 offset:0x360
	s_load_dwordx2 s[10:11], s[4:5], s12 offset:0x0
	s_waitcnt lgkmcnt(0)
	s_ashr_i32 s1, s0, 31
	global_load_ubyte v9, v3, s[2:3]
	s_load_dword s18, s[4:5], 0xbe8
	s_load_dwordx2 s[16:17], s[4:5], s12 offset:0x480
	s_lshl_b64 s[12:13], s[0:1], 16
	s_add_u32 s0, s10, s12
	s_addc_u32 s1, s11, s13
	s_add_u32 s2, s2, s12
	s_and_b32 s14, s2, 3
	s_cmp_lg_u64 s[14:15], 0
	s_cselect_b64 s[2:3], -1, 0
	s_add_u32 s14, s8, s12
	s_or_b32 s14, s6, s14
	s_and_b32 s14, s14, 3
	s_cmp_lg_u32 s14, 0
	s_cselect_b64 s[20:21], -1, 0
	s_or_b64 s[20:21], s[20:21], s[2:3]
	s_waitcnt lgkmcnt(0)
	s_sub_u32 s2, s16, s12
	s_subb_u32 s3, s17, s13
	s_or_b64 s[0:1], s[16:17], s[0:1]
	s_and_b32 s14, s0, 3
	s_cmp_lg_u64 s[14:15], 0
	s_cselect_b64 s[0:1], -1, 0
	s_or_b64 s[0:1], s[20:21], s[0:1]
	s_andn2_b64 vcc, exec, s[0:1]
	s_mov_b64 s[0:1], -1
	s_cbranch_vccz .LBB56_5
; %bb.1:
	v_mov_b32_e32 v1, 0x10000
	v_mov_b32_e32 v2, 0
	v_cmp_lt_i64_e32 vcc, s[2:3], v[1:2]
	v_lshlrev_b32_e32 v2, 2, v0
	s_and_b64 s[0:1], vcc, exec
	s_cselect_b32 s1, s3, 0
	s_cselect_b32 s0, s2, 0x10000
	v_cmp_gt_i64_e32 vcc, s[0:1], v[2:3]
	s_and_saveexec_b64 s[14:15], vcc
	s_cbranch_execz .LBB56_4
; %bb.2:
	s_load_dword s16, s[4:5], 0xbfc
	v_mov_b32_e32 v1, v3
	s_waitcnt vmcnt(0)
	v_cvt_f32_i32_sdwa v3, sext(v9) dst_sel:DWORD dst_unused:UNUSED_PAD src0_sel:BYTE_0
	v_mov_b32_e32 v5, s13
	v_add_co_u32_e32 v4, vcc, s12, v2
	s_waitcnt lgkmcnt(0)
	s_and_b32 s19, s16, 0xffff
	v_mov_b32_e32 v2, v1
	v_addc_co_u32_e32 v5, vcc, 0, v5, vcc
	s_lshl_b32 s20, s19, 2
	s_mov_b64 s[16:17], 0
	s_lshr_b32 s21, s18, 16
	v_mov_b32_e32 v6, s11
	v_mov_b32_e32 v7, s9
	s_mov_b32 s22, 0x6050400
	v_mov_b32_e32 v8, s7
	v_mov_b32_e32 v1, v0
.LBB56_3:                               ; =>This Inner Loop Header: Depth=1
	v_add_co_u32_e32 v10, vcc, s10, v4
	v_addc_co_u32_e32 v11, vcc, v6, v5, vcc
	v_add_co_u32_e32 v12, vcc, s8, v4
	v_addc_co_u32_e32 v13, vcc, v7, v5, vcc
	global_load_dword v14, v[12:13], off
	global_load_dword v15, v[10:11], off
	v_add_co_u32_e32 v10, vcc, s6, v4
	v_addc_co_u32_e32 v11, vcc, v8, v5, vcc
	v_add_co_u32_e32 v1, vcc, s19, v1
	v_addc_co_u32_e32 v2, vcc, 0, v2, vcc
	v_add_co_u32_e32 v4, vcc, s20, v4
	v_lshlrev_b64 v[12:13], 2, v[1:2]
	v_addc_co_u32_e32 v5, vcc, 0, v5, vcc
	v_cmp_le_i64_e32 vcc, s[0:1], v[12:13]
	s_or_b64 s[16:17], vcc, s[16:17]
	s_waitcnt vmcnt(1)
	v_cvt_f32_i32_sdwa v13, sext(v14) dst_sel:DWORD dst_unused:UNUSED_PAD src0_sel:BYTE_0
	v_cvt_f32_i32_sdwa v18, sext(v14) dst_sel:DWORD dst_unused:UNUSED_PAD src0_sel:BYTE_1
	v_cvt_f32_i32_sdwa v21, sext(v14) dst_sel:DWORD dst_unused:UNUSED_PAD src0_sel:BYTE_2
	v_xor_b32_sdwa v12, sext(v9), sext(v14) dst_sel:DWORD dst_unused:UNUSED_PAD src0_sel:BYTE_0 src1_sel:BYTE_0
	v_xor_b32_sdwa v17, sext(v9), sext(v14) dst_sel:DWORD dst_unused:UNUSED_PAD src0_sel:BYTE_0 src1_sel:BYTE_1
	v_xor_b32_sdwa v20, sext(v9), sext(v14) dst_sel:DWORD dst_unused:UNUSED_PAD src0_sel:BYTE_0 src1_sel:BYTE_2
	v_xor_b32_sdwa v23, sext(v9), sext(v14) dst_sel:DWORD dst_unused:UNUSED_PAD src0_sel:BYTE_0 src1_sel:BYTE_3
	v_cvt_f32_i32_sdwa v14, sext(v14) dst_sel:DWORD dst_unused:UNUSED_PAD src0_sel:BYTE_3
	v_rcp_iflag_f32_e32 v24, v13
	v_rcp_iflag_f32_e32 v25, v18
	;; [unrolled: 1-line block ×4, first 2 shown]
	v_mul_f32_e32 v24, v3, v24
	v_mul_f32_e32 v25, v3, v25
	;; [unrolled: 1-line block ×3, first 2 shown]
	v_trunc_f32_e32 v24, v24
	v_trunc_f32_e32 v25, v25
	v_ashrrev_i32_e32 v12, 30, v12
	v_trunc_f32_e32 v26, v26
	v_mad_f32 v28, -v24, v13, v3
	v_mad_f32 v29, -v25, v18, v3
	v_cvt_i32_f32_e32 v25, v25
	v_ashrrev_i32_e32 v17, 30, v17
	v_or_b32_e32 v12, 1, v12
	v_mul_f32_e32 v27, v3, v27
	v_cvt_i32_f32_e32 v24, v24
	v_mad_f32 v30, -v26, v21, v3
	v_cvt_i32_f32_e32 v26, v26
	v_cmp_ge_f32_e64 vcc, |v28|, |v13|
	v_ashrrev_i32_e32 v20, 30, v20
	v_or_b32_e32 v17, 1, v17
	v_trunc_f32_e32 v27, v27
	v_cndmask_b32_e32 v12, 0, v12, vcc
	v_cmp_ge_f32_e64 vcc, |v29|, |v18|
	v_or_b32_e32 v20, 1, v20
	v_mad_f32 v31, -v27, v14, v3
	v_cvt_i32_f32_e32 v27, v27
	v_cndmask_b32_e32 v13, 0, v17, vcc
	v_cmp_ge_f32_e64 vcc, |v30|, |v21|
	s_waitcnt vmcnt(0)
	v_lshrrev_b32_e32 v16, 8, v15
	v_ashrrev_i32_e32 v23, 30, v23
	v_cndmask_b32_e32 v17, 0, v20, vcc
	v_add_u32_e32 v13, v25, v13
	v_lshrrev_b32_e32 v19, 16, v15
	v_or_b32_e32 v23, 1, v23
	v_cmp_ge_f32_e64 vcc, |v31|, |v14|
	v_add_u32_e32 v12, v24, v12
	v_add_u32_e32 v17, v26, v17
	v_mad_legacy_u16 v13, s21, v13, v16
	v_lshrrev_b32_e32 v22, 24, v15
	v_cndmask_b32_e32 v14, 0, v23, vcc
	v_mad_legacy_u16 v12, s21, v12, v15
	v_mad_legacy_u16 v15, s21, v17, v19
	v_and_b32_e32 v13, 0xff, v13
	v_add_u32_e32 v14, v27, v14
	v_and_b32_e32 v15, 0xff, v15
	v_perm_b32 v12, v13, v12, s22
	v_mad_legacy_u16 v14, s21, v14, v22
	v_lshl_or_b32 v12, v15, 16, v12
	v_lshl_or_b32 v12, v14, 24, v12
	global_store_dword v[10:11], v12, off
	s_andn2_b64 exec, exec, s[16:17]
	s_cbranch_execnz .LBB56_3
.LBB56_4:
	s_or_b64 exec, exec, s[14:15]
	s_mov_b64 s[0:1], 0
.LBB56_5:
	s_andn2_b64 vcc, exec, s[0:1]
	s_cbranch_vccnz .LBB56_25
; %bb.6:
	v_cmp_lt_i64_e64 s[0:1], s[2:3], 1
	s_and_b64 vcc, exec, s[0:1]
	s_cbranch_vccnz .LBB56_25
; %bb.7:
	v_mov_b32_e32 v1, 0x10000
	s_load_dword s4, s[4:5], 0xbfc
	v_mov_b32_e32 v2, 0
	v_cmp_lt_i64_e32 vcc, s[2:3], v[1:2]
	v_mov_b32_e32 v3, s11
	s_and_b64 s[0:1], vcc, exec
	v_cmp_lt_u64_e32 vcc, s[2:3], v[1:2]
	s_cselect_b32 s1, s3, 0
	s_cselect_b32 s0, s2, 0x10000
	s_waitcnt lgkmcnt(0)
	s_and_b32 s15, s4, 0xffff
	s_and_b64 s[4:5], vcc, exec
	v_mov_b32_e32 v1, s13
	v_add_co_u32_e32 v2, vcc, s12, v0
	s_cselect_b32 s3, s3, 0
	s_cselect_b32 s2, s2, 0x10000
	s_lshl_b32 s16, s15, 1
	s_mul_i32 s17, s15, 3
	s_lshl_b32 s14, s15, 2
	v_addc_co_u32_e32 v1, vcc, 0, v1, vcc
	v_add_co_u32_e32 v10, vcc, s10, v2
	s_add_u32 s4, s12, s17
	v_addc_co_u32_e32 v11, vcc, v3, v1, vcc
	s_addc_u32 s5, s13, 0
	v_mov_b32_e32 v3, s5
	v_add_co_u32_e32 v4, vcc, s4, v0
	v_addc_co_u32_e32 v3, vcc, 0, v3, vcc
	v_mov_b32_e32 v5, s11
	v_add_co_u32_e32 v12, vcc, s10, v4
	v_addc_co_u32_e32 v13, vcc, v5, v3, vcc
	;; [unrolled: 3-line block ×3, first 2 shown]
	v_mov_b32_e32 v5, s7
	v_add_co_u32_e32 v16, vcc, s6, v4
	s_add_u32 s4, s12, s16
	v_addc_co_u32_e32 v17, vcc, v5, v3, vcc
	s_addc_u32 s5, s13, 0
	v_mov_b32_e32 v3, s5
	v_add_co_u32_e32 v4, vcc, s4, v0
	v_addc_co_u32_e32 v3, vcc, 0, v3, vcc
	v_mov_b32_e32 v5, s11
	v_add_co_u32_e32 v18, vcc, s10, v4
	v_addc_co_u32_e32 v19, vcc, v5, v3, vcc
	;; [unrolled: 3-line block ×6, first 2 shown]
	v_add_co_u32_e32 v2, vcc, s15, v2
	v_addc_co_u32_e32 v1, vcc, 0, v1, vcc
	v_mov_b32_e32 v3, s11
	v_add_co_u32_e32 v28, vcc, s10, v2
	v_addc_co_u32_e32 v29, vcc, v3, v1, vcc
	v_mov_b32_e32 v3, s9
	;; [unrolled: 3-line block ×3, first 2 shown]
	v_add_co_u32_e32 v32, vcc, s6, v2
	v_addc_co_u32_e32 v33, vcc, v3, v1, vcc
	s_waitcnt vmcnt(0)
	v_cvt_f32_i32_sdwa v34, sext(v9) dst_sel:DWORD dst_unused:UNUSED_PAD src0_sel:BYTE_0
	v_add_co_u32_e32 v35, vcc, s17, v0
	v_addc_co_u32_e64 v36, s[6:7], 0, 0, vcc
	v_add_co_u32_e32 v37, vcc, s16, v0
	v_addc_co_u32_e64 v38, s[6:7], 0, 0, vcc
	v_add_co_u32_e32 v39, vcc, s15, v0
	s_mov_b64 s[4:5], 0
	v_addc_co_u32_e64 v40, s[6:7], 0, 0, vcc
	s_branch .LBB56_9
.LBB56_8:                               ;   in Loop: Header=BB56_9 Depth=1
	s_or_b64 exec, exec, s[6:7]
	s_add_u32 s4, s4, s14
	v_mov_b32_e32 v2, s1
	s_addc_u32 s5, s5, 0
	v_mov_b32_e32 v1, s0
	v_cmp_ge_i64_e32 vcc, s[4:5], v[1:2]
	s_cbranch_vccnz .LBB56_25
.LBB56_9:                               ; =>This Inner Loop Header: Depth=1
	v_mov_b32_e32 v1, s5
	v_add_co_u32_e32 v7, vcc, s4, v0
	v_addc_co_u32_e32 v8, vcc, 0, v1, vcc
	v_cmp_gt_i64_e32 vcc, s[0:1], v[7:8]
	s_waitcnt vmcnt(0)
	v_mov_b32_e32 v41, 0
	v_mov_b32_e32 v42, 0
	s_and_saveexec_b64 s[6:7], vcc
	s_cbranch_execz .LBB56_11
; %bb.10:                               ;   in Loop: Header=BB56_9 Depth=1
	v_mov_b32_e32 v4, s5
	v_add_co_u32_e32 v1, vcc, s4, v10
	v_addc_co_u32_e32 v2, vcc, v11, v4, vcc
	v_add_co_u32_e32 v3, vcc, s4, v24
	v_addc_co_u32_e32 v4, vcc, v25, v4, vcc
	global_load_ubyte v42, v[1:2], off
	global_load_ubyte v41, v[3:4], off
.LBB56_11:                              ;   in Loop: Header=BB56_9 Depth=1
	s_or_b64 exec, exec, s[6:7]
	v_mov_b32_e32 v1, s5
	v_add_co_u32_e32 v5, vcc, s4, v39
	v_addc_co_u32_e32 v6, vcc, v40, v1, vcc
	v_cmp_gt_i64_e32 vcc, s[0:1], v[5:6]
	s_and_saveexec_b64 s[6:7], vcc
	s_cbranch_execz .LBB56_13
; %bb.12:                               ;   in Loop: Header=BB56_9 Depth=1
	v_mov_b32_e32 v4, s5
	v_add_co_u32_e32 v1, vcc, s4, v30
	v_addc_co_u32_e32 v2, vcc, v31, v4, vcc
	v_add_co_u32_e32 v3, vcc, s4, v28
	v_addc_co_u32_e32 v4, vcc, v29, v4, vcc
	global_load_ubyte v43, v[3:4], off
	global_load_ubyte v44, v[1:2], off
	s_waitcnt vmcnt(1)
	v_lshl_or_b32 v42, v43, 8, v42
	s_waitcnt vmcnt(0)
	v_lshl_or_b32 v41, v44, 8, v41
.LBB56_13:                              ;   in Loop: Header=BB56_9 Depth=1
	s_or_b64 exec, exec, s[6:7]
	v_mov_b32_e32 v1, s5
	v_add_co_u32_e32 v3, vcc, s4, v37
	v_addc_co_u32_e32 v4, vcc, v38, v1, vcc
	v_cmp_gt_i64_e32 vcc, s[0:1], v[3:4]
	s_and_saveexec_b64 s[6:7], vcc
	s_cbranch_execz .LBB56_15
; %bb.14:                               ;   in Loop: Header=BB56_9 Depth=1
	v_mov_b32_e32 v44, s5
	v_add_co_u32_e32 v1, vcc, s4, v20
	v_addc_co_u32_e32 v2, vcc, v21, v44, vcc
	v_add_co_u32_e32 v43, vcc, s4, v18
	v_addc_co_u32_e32 v44, vcc, v19, v44, vcc
	global_load_ubyte v45, v[43:44], off
	global_load_ubyte v46, v[1:2], off
	s_waitcnt vmcnt(1)
	v_lshl_or_b32 v42, v45, 16, v42
	s_waitcnt vmcnt(0)
	v_lshl_or_b32 v41, v46, 16, v41
.LBB56_15:                              ;   in Loop: Header=BB56_9 Depth=1
	s_or_b64 exec, exec, s[6:7]
	v_mov_b32_e32 v2, s5
	v_add_co_u32_e32 v1, vcc, s4, v35
	v_addc_co_u32_e32 v2, vcc, v36, v2, vcc
	v_cmp_gt_i64_e32 vcc, s[0:1], v[1:2]
	s_and_saveexec_b64 s[6:7], vcc
	s_cbranch_execnz .LBB56_20
; %bb.16:                               ;   in Loop: Header=BB56_9 Depth=1
	s_or_b64 exec, exec, s[6:7]
	v_cmp_gt_u64_e32 vcc, s[2:3], v[7:8]
	s_and_saveexec_b64 s[6:7], vcc
	s_cbranch_execnz .LBB56_21
.LBB56_17:                              ;   in Loop: Header=BB56_9 Depth=1
	s_or_b64 exec, exec, s[6:7]
	v_cmp_gt_u64_e32 vcc, s[2:3], v[5:6]
	s_and_saveexec_b64 s[6:7], vcc
	s_cbranch_execnz .LBB56_22
.LBB56_18:                              ;   in Loop: Header=BB56_9 Depth=1
	s_or_b64 exec, exec, s[6:7]
	v_cmp_gt_u64_e32 vcc, s[2:3], v[3:4]
	s_and_saveexec_b64 s[6:7], vcc
	s_cbranch_execnz .LBB56_23
.LBB56_19:                              ;   in Loop: Header=BB56_9 Depth=1
	s_or_b64 exec, exec, s[6:7]
	v_cmp_gt_u64_e32 vcc, s[2:3], v[1:2]
	s_and_saveexec_b64 s[6:7], vcc
	s_cbranch_execz .LBB56_8
	s_branch .LBB56_24
.LBB56_20:                              ;   in Loop: Header=BB56_9 Depth=1
	v_mov_b32_e32 v46, s5
	v_add_co_u32_e32 v43, vcc, s4, v14
	v_addc_co_u32_e32 v44, vcc, v15, v46, vcc
	v_add_co_u32_e32 v45, vcc, s4, v12
	v_addc_co_u32_e32 v46, vcc, v13, v46, vcc
	global_load_ubyte v45, v[45:46], off
	s_nop 0
	global_load_ubyte v43, v[43:44], off
	s_waitcnt vmcnt(1)
	v_lshl_or_b32 v42, v45, 24, v42
	s_waitcnt vmcnt(0)
	v_lshl_or_b32 v41, v43, 24, v41
	s_or_b64 exec, exec, s[6:7]
	v_cmp_gt_u64_e32 vcc, s[2:3], v[7:8]
	s_and_saveexec_b64 s[6:7], vcc
	s_cbranch_execz .LBB56_17
.LBB56_21:                              ;   in Loop: Header=BB56_9 Depth=1
	s_waitcnt vmcnt(0)
	v_cvt_f32_i32_sdwa v7, sext(v41) dst_sel:DWORD dst_unused:UNUSED_PAD src0_sel:BYTE_0
	v_xor_b32_sdwa v8, sext(v9), sext(v41) dst_sel:DWORD dst_unused:UNUSED_PAD src0_sel:BYTE_0 src1_sel:BYTE_0
	v_ashrrev_i32_e32 v8, 30, v8
	v_or_b32_e32 v8, 1, v8
	v_rcp_iflag_f32_e32 v43, v7
	s_lshr_b32 s8, s18, 16
	v_mov_b32_e32 v44, s5
	v_mul_f32_e32 v43, v34, v43
	v_trunc_f32_e32 v43, v43
	v_cvt_i32_f32_e32 v45, v43
	v_mad_f32 v43, -v43, v7, v34
	v_cmp_ge_f32_e64 vcc, |v43|, |v7|
	v_cndmask_b32_e32 v7, 0, v8, vcc
	v_add_u32_e32 v7, v45, v7
	v_mad_legacy_u16 v43, s8, v7, v42
	v_add_co_u32_e32 v7, vcc, s4, v26
	v_addc_co_u32_e32 v8, vcc, v27, v44, vcc
	global_store_byte v[7:8], v43, off
	s_or_b64 exec, exec, s[6:7]
	v_cmp_gt_u64_e32 vcc, s[2:3], v[5:6]
	s_and_saveexec_b64 s[6:7], vcc
	s_cbranch_execz .LBB56_18
.LBB56_22:                              ;   in Loop: Header=BB56_9 Depth=1
	s_waitcnt vmcnt(0)
	v_cvt_f32_i32_sdwa v5, sext(v41) dst_sel:DWORD dst_unused:UNUSED_PAD src0_sel:BYTE_1
	v_xor_b32_sdwa v7, sext(v9), sext(v41) dst_sel:DWORD dst_unused:UNUSED_PAD src0_sel:BYTE_0 src1_sel:BYTE_1
	v_ashrrev_i32_e32 v7, 30, v7
	v_or_b32_e32 v7, 1, v7
	v_rcp_iflag_f32_e32 v8, v5
	s_lshr_b32 s8, s18, 16
	v_lshrrev_b32_e32 v6, 8, v42
	v_mov_b32_e32 v43, s5
	v_mul_f32_e32 v8, v34, v8
	v_trunc_f32_e32 v8, v8
	v_cvt_i32_f32_e32 v44, v8
	v_mad_f32 v8, -v8, v5, v34
	v_cmp_ge_f32_e64 vcc, |v8|, |v5|
	v_cndmask_b32_e32 v5, 0, v7, vcc
	v_add_u32_e32 v5, v44, v5
	v_mad_legacy_u16 v7, s8, v5, v6
	v_add_co_u32_e32 v5, vcc, s4, v32
	v_addc_co_u32_e32 v6, vcc, v33, v43, vcc
	global_store_byte v[5:6], v7, off
	s_or_b64 exec, exec, s[6:7]
	v_cmp_gt_u64_e32 vcc, s[2:3], v[3:4]
	s_and_saveexec_b64 s[6:7], vcc
	s_cbranch_execz .LBB56_19
.LBB56_23:                              ;   in Loop: Header=BB56_9 Depth=1
	s_waitcnt vmcnt(0)
	v_cvt_f32_i32_sdwa v3, sext(v41) dst_sel:DWORD dst_unused:UNUSED_PAD src0_sel:BYTE_2
	v_xor_b32_sdwa v5, sext(v9), sext(v41) dst_sel:DWORD dst_unused:UNUSED_PAD src0_sel:BYTE_0 src1_sel:BYTE_2
	v_ashrrev_i32_e32 v5, 30, v5
	v_or_b32_e32 v5, 1, v5
	v_rcp_iflag_f32_e32 v6, v3
	s_lshr_b32 s8, s18, 16
	v_lshrrev_b32_e32 v4, 16, v42
	v_mov_b32_e32 v7, s5
	v_mul_f32_e32 v6, v34, v6
	v_trunc_f32_e32 v6, v6
	v_cvt_i32_f32_e32 v8, v6
	v_mad_f32 v6, -v6, v3, v34
	v_cmp_ge_f32_e64 vcc, |v6|, |v3|
	v_cndmask_b32_e32 v3, 0, v5, vcc
	v_add_u32_e32 v3, v8, v3
	v_mad_legacy_u16 v5, s8, v3, v4
	v_add_co_u32_e32 v3, vcc, s4, v22
	v_addc_co_u32_e32 v4, vcc, v23, v7, vcc
	global_store_byte v[3:4], v5, off
	s_or_b64 exec, exec, s[6:7]
	v_cmp_gt_u64_e32 vcc, s[2:3], v[1:2]
	s_and_saveexec_b64 s[6:7], vcc
	s_cbranch_execz .LBB56_8
.LBB56_24:                              ;   in Loop: Header=BB56_9 Depth=1
	s_waitcnt vmcnt(0)
	v_cvt_f32_i32_sdwa v1, sext(v41) dst_sel:DWORD dst_unused:UNUSED_PAD src0_sel:BYTE_3
	v_xor_b32_sdwa v3, sext(v9), sext(v41) dst_sel:DWORD dst_unused:UNUSED_PAD src0_sel:BYTE_0 src1_sel:BYTE_3
	v_ashrrev_i32_e32 v3, 30, v3
	v_or_b32_e32 v3, 1, v3
	v_rcp_iflag_f32_e32 v4, v1
	s_lshr_b32 s8, s18, 16
	v_lshrrev_b32_e32 v2, 24, v42
	v_mov_b32_e32 v5, s5
	v_mul_f32_e32 v4, v34, v4
	v_trunc_f32_e32 v4, v4
	v_cvt_i32_f32_e32 v6, v4
	v_mad_f32 v4, -v4, v1, v34
	v_cmp_ge_f32_e64 vcc, |v4|, |v1|
	v_cndmask_b32_e32 v1, 0, v3, vcc
	v_add_u32_e32 v1, v6, v1
	v_mad_legacy_u16 v3, s8, v1, v2
	v_add_co_u32_e32 v1, vcc, s4, v16
	v_addc_co_u32_e32 v2, vcc, v17, v5, vcc
	global_store_byte v[1:2], v3, off
	s_branch .LBB56_8
.LBB56_25:
	s_endpgm
	.section	.rodata,"a",@progbits
	.p2align	6, 0x0
	.amdhsa_kernel _ZN2at6native12_GLOBAL__N_125multi_tensor_apply_kernelINS1_18TensorListMetadataILi4EEENS1_32PointwiseOpScalar0dTensorFunctorIaLi4ELi2ELi3EEEJSt7dividesIaEaEEEvT_T0_DpT1_
		.amdhsa_group_segment_fixed_size 0
		.amdhsa_private_segment_fixed_size 0
		.amdhsa_kernarg_size 3312
		.amdhsa_user_sgpr_count 6
		.amdhsa_user_sgpr_private_segment_buffer 1
		.amdhsa_user_sgpr_dispatch_ptr 0
		.amdhsa_user_sgpr_queue_ptr 0
		.amdhsa_user_sgpr_kernarg_segment_ptr 1
		.amdhsa_user_sgpr_dispatch_id 0
		.amdhsa_user_sgpr_flat_scratch_init 0
		.amdhsa_user_sgpr_private_segment_size 0
		.amdhsa_uses_dynamic_stack 0
		.amdhsa_system_sgpr_private_segment_wavefront_offset 0
		.amdhsa_system_sgpr_workgroup_id_x 1
		.amdhsa_system_sgpr_workgroup_id_y 0
		.amdhsa_system_sgpr_workgroup_id_z 0
		.amdhsa_system_sgpr_workgroup_info 0
		.amdhsa_system_vgpr_workitem_id 0
		.amdhsa_next_free_vgpr 47
		.amdhsa_next_free_sgpr 23
		.amdhsa_reserve_vcc 1
		.amdhsa_reserve_flat_scratch 0
		.amdhsa_float_round_mode_32 0
		.amdhsa_float_round_mode_16_64 0
		.amdhsa_float_denorm_mode_32 3
		.amdhsa_float_denorm_mode_16_64 3
		.amdhsa_dx10_clamp 1
		.amdhsa_ieee_mode 1
		.amdhsa_fp16_overflow 0
		.amdhsa_exception_fp_ieee_invalid_op 0
		.amdhsa_exception_fp_denorm_src 0
		.amdhsa_exception_fp_ieee_div_zero 0
		.amdhsa_exception_fp_ieee_overflow 0
		.amdhsa_exception_fp_ieee_underflow 0
		.amdhsa_exception_fp_ieee_inexact 0
		.amdhsa_exception_int_div_zero 0
	.end_amdhsa_kernel
	.section	.text._ZN2at6native12_GLOBAL__N_125multi_tensor_apply_kernelINS1_18TensorListMetadataILi4EEENS1_32PointwiseOpScalar0dTensorFunctorIaLi4ELi2ELi3EEEJSt7dividesIaEaEEEvT_T0_DpT1_,"axG",@progbits,_ZN2at6native12_GLOBAL__N_125multi_tensor_apply_kernelINS1_18TensorListMetadataILi4EEENS1_32PointwiseOpScalar0dTensorFunctorIaLi4ELi2ELi3EEEJSt7dividesIaEaEEEvT_T0_DpT1_,comdat
.Lfunc_end56:
	.size	_ZN2at6native12_GLOBAL__N_125multi_tensor_apply_kernelINS1_18TensorListMetadataILi4EEENS1_32PointwiseOpScalar0dTensorFunctorIaLi4ELi2ELi3EEEJSt7dividesIaEaEEEvT_T0_DpT1_, .Lfunc_end56-_ZN2at6native12_GLOBAL__N_125multi_tensor_apply_kernelINS1_18TensorListMetadataILi4EEENS1_32PointwiseOpScalar0dTensorFunctorIaLi4ELi2ELi3EEEJSt7dividesIaEaEEEvT_T0_DpT1_
                                        ; -- End function
	.set _ZN2at6native12_GLOBAL__N_125multi_tensor_apply_kernelINS1_18TensorListMetadataILi4EEENS1_32PointwiseOpScalar0dTensorFunctorIaLi4ELi2ELi3EEEJSt7dividesIaEaEEEvT_T0_DpT1_.num_vgpr, 47
	.set _ZN2at6native12_GLOBAL__N_125multi_tensor_apply_kernelINS1_18TensorListMetadataILi4EEENS1_32PointwiseOpScalar0dTensorFunctorIaLi4ELi2ELi3EEEJSt7dividesIaEaEEEvT_T0_DpT1_.num_agpr, 0
	.set _ZN2at6native12_GLOBAL__N_125multi_tensor_apply_kernelINS1_18TensorListMetadataILi4EEENS1_32PointwiseOpScalar0dTensorFunctorIaLi4ELi2ELi3EEEJSt7dividesIaEaEEEvT_T0_DpT1_.numbered_sgpr, 23
	.set _ZN2at6native12_GLOBAL__N_125multi_tensor_apply_kernelINS1_18TensorListMetadataILi4EEENS1_32PointwiseOpScalar0dTensorFunctorIaLi4ELi2ELi3EEEJSt7dividesIaEaEEEvT_T0_DpT1_.num_named_barrier, 0
	.set _ZN2at6native12_GLOBAL__N_125multi_tensor_apply_kernelINS1_18TensorListMetadataILi4EEENS1_32PointwiseOpScalar0dTensorFunctorIaLi4ELi2ELi3EEEJSt7dividesIaEaEEEvT_T0_DpT1_.private_seg_size, 0
	.set _ZN2at6native12_GLOBAL__N_125multi_tensor_apply_kernelINS1_18TensorListMetadataILi4EEENS1_32PointwiseOpScalar0dTensorFunctorIaLi4ELi2ELi3EEEJSt7dividesIaEaEEEvT_T0_DpT1_.uses_vcc, 1
	.set _ZN2at6native12_GLOBAL__N_125multi_tensor_apply_kernelINS1_18TensorListMetadataILi4EEENS1_32PointwiseOpScalar0dTensorFunctorIaLi4ELi2ELi3EEEJSt7dividesIaEaEEEvT_T0_DpT1_.uses_flat_scratch, 0
	.set _ZN2at6native12_GLOBAL__N_125multi_tensor_apply_kernelINS1_18TensorListMetadataILi4EEENS1_32PointwiseOpScalar0dTensorFunctorIaLi4ELi2ELi3EEEJSt7dividesIaEaEEEvT_T0_DpT1_.has_dyn_sized_stack, 0
	.set _ZN2at6native12_GLOBAL__N_125multi_tensor_apply_kernelINS1_18TensorListMetadataILi4EEENS1_32PointwiseOpScalar0dTensorFunctorIaLi4ELi2ELi3EEEJSt7dividesIaEaEEEvT_T0_DpT1_.has_recursion, 0
	.set _ZN2at6native12_GLOBAL__N_125multi_tensor_apply_kernelINS1_18TensorListMetadataILi4EEENS1_32PointwiseOpScalar0dTensorFunctorIaLi4ELi2ELi3EEEJSt7dividesIaEaEEEvT_T0_DpT1_.has_indirect_call, 0
	.section	.AMDGPU.csdata,"",@progbits
; Kernel info:
; codeLenInByte = 2092
; TotalNumSgprs: 27
; NumVgprs: 47
; ScratchSize: 0
; MemoryBound: 0
; FloatMode: 240
; IeeeMode: 1
; LDSByteSize: 0 bytes/workgroup (compile time only)
; SGPRBlocks: 3
; VGPRBlocks: 11
; NumSGPRsForWavesPerEU: 27
; NumVGPRsForWavesPerEU: 47
; Occupancy: 5
; WaveLimiterHint : 0
; COMPUTE_PGM_RSRC2:SCRATCH_EN: 0
; COMPUTE_PGM_RSRC2:USER_SGPR: 6
; COMPUTE_PGM_RSRC2:TRAP_HANDLER: 0
; COMPUTE_PGM_RSRC2:TGID_X_EN: 1
; COMPUTE_PGM_RSRC2:TGID_Y_EN: 0
; COMPUTE_PGM_RSRC2:TGID_Z_EN: 0
; COMPUTE_PGM_RSRC2:TIDIG_COMP_CNT: 0
	.section	.text._ZN2at6native12_GLOBAL__N_125multi_tensor_apply_kernelINS1_18TensorListMetadataILi4EEENS1_32PointwiseOpScalar0dTensorFunctorIiLi4ELi2ELi3EEEJSt7dividesIiEiEEEvT_T0_DpT1_,"axG",@progbits,_ZN2at6native12_GLOBAL__N_125multi_tensor_apply_kernelINS1_18TensorListMetadataILi4EEENS1_32PointwiseOpScalar0dTensorFunctorIiLi4ELi2ELi3EEEJSt7dividesIiEiEEEvT_T0_DpT1_,comdat
	.globl	_ZN2at6native12_GLOBAL__N_125multi_tensor_apply_kernelINS1_18TensorListMetadataILi4EEENS1_32PointwiseOpScalar0dTensorFunctorIiLi4ELi2ELi3EEEJSt7dividesIiEiEEEvT_T0_DpT1_ ; -- Begin function _ZN2at6native12_GLOBAL__N_125multi_tensor_apply_kernelINS1_18TensorListMetadataILi4EEENS1_32PointwiseOpScalar0dTensorFunctorIiLi4ELi2ELi3EEEJSt7dividesIiEiEEEvT_T0_DpT1_
	.p2align	8
	.type	_ZN2at6native12_GLOBAL__N_125multi_tensor_apply_kernelINS1_18TensorListMetadataILi4EEENS1_32PointwiseOpScalar0dTensorFunctorIiLi4ELi2ELi3EEEJSt7dividesIiEiEEEvT_T0_DpT1_,@function
_ZN2at6native12_GLOBAL__N_125multi_tensor_apply_kernelINS1_18TensorListMetadataILi4EEENS1_32PointwiseOpScalar0dTensorFunctorIiLi4ELi2ELi3EEEJSt7dividesIiEiEEEvT_T0_DpT1_: ; @_ZN2at6native12_GLOBAL__N_125multi_tensor_apply_kernelINS1_18TensorListMetadataILi4EEENS1_32PointwiseOpScalar0dTensorFunctorIiLi4ELi2ELi3EEEJSt7dividesIiEiEEEvT_T0_DpT1_
; %bb.0:
	v_mov_b32_e32 v1, s6
	global_load_ubyte v1, v1, s[4:5] offset:1440
	s_add_u32 s0, s4, s6
	s_mul_hi_u32 s1, s6, 3
	s_mul_i32 s6, s6, 3
	s_addc_u32 s2, s5, 0
	s_add_u32 s0, s0, s6
	s_addc_u32 s1, s2, s1
	s_load_dword s0, s[0:1], 0x6e0
	s_mov_b32 s3, 0
	s_mov_b32 s7, s3
	s_mov_b32 s9, s3
	s_waitcnt lgkmcnt(0)
	s_ashr_i32 s1, s0, 31
	s_lshl_b64 s[14:15], s[0:1], 18
	s_waitcnt vmcnt(0)
	v_readfirstlane_b32 s2, v1
	s_lshl_b32 s2, s2, 3
	s_load_dwordx2 s[10:11], s[4:5], s2 offset:0x0
	s_load_dwordx2 s[12:13], s[4:5], s2 offset:0x120
	s_load_dword s30, s[4:5], 0xbec
	s_load_dwordx2 s[18:19], s[4:5], s2 offset:0x480
	s_load_dwordx2 s[16:17], s[4:5], s2 offset:0x240
	;; [unrolled: 1-line block ×3, first 2 shown]
	s_waitcnt lgkmcnt(0)
	s_add_u32 s10, s10, s14
	s_addc_u32 s11, s11, s15
	s_add_u32 s6, s12, s14
	s_and_b32 s2, s10, 15
	s_and_b32 s6, s6, 15
	s_cmp_lg_u64 s[6:7], 0
	s_load_dword s31, s[12:13], 0x0
	s_cselect_b64 s[6:7], -1, 0
	s_add_u32 s12, s16, s14
	s_addc_u32 s13, s17, s15
	s_add_u32 s14, s20, s14
	s_addc_u32 s15, s21, s15
	s_or_b32 s8, s14, s12
	s_and_b32 s8, s8, 15
	s_cmp_lg_u32 s8, 0
	s_cselect_b64 s[16:17], -1, 0
	s_lshl_b64 s[0:1], s[0:1], 16
	s_or_b64 s[6:7], s[16:17], s[6:7]
	s_sub_u32 s16, s18, s0
	s_subb_u32 s17, s19, s1
	s_and_b32 s8, s18, 3
	s_or_b64 s[0:1], s[2:3], s[8:9]
	s_cmp_lg_u64 s[0:1], 0
	s_cselect_b64 s[0:1], -1, 0
	s_or_b64 s[0:1], s[6:7], s[0:1]
	s_andn2_b64 vcc, exec, s[0:1]
	s_mov_b64 s[0:1], -1
	s_cbranch_vccz .LBB57_5
; %bb.1:
	v_mov_b32_e32 v1, 0x10000
	v_mov_b32_e32 v2, 0
	v_cmp_lt_i64_e32 vcc, s[16:17], v[1:2]
	v_mov_b32_e32 v2, 0
	s_and_b64 s[0:1], vcc, exec
	s_cselect_b32 s19, s17, 0
	s_cselect_b32 s18, s16, 0x10000
	v_lshlrev_b32_e32 v1, 2, v0
	v_cmp_gt_i64_e32 vcc, s[18:19], v[1:2]
	s_and_saveexec_b64 s[20:21], vcc
	s_cbranch_execz .LBB57_4
; %bb.2:
	s_load_dword s0, s[4:5], 0xbfc
	v_mov_b32_e32 v1, v2
	v_mov_b32_e32 v2, v1
	s_waitcnt lgkmcnt(0)
	s_ashr_i32 s33, s31, 31
	s_abs_i32 s34, s31
	s_and_b32 s35, s0, 0xffff
	v_lshlrev_b32_e32 v3, 4, v0
	s_lshl_b32 s36, s35, 4
	s_mov_b64 s[22:23], 0
	s_mov_b64 s[24:25], s[12:13]
	;; [unrolled: 1-line block ×4, first 2 shown]
	v_mov_b32_e32 v1, v0
.LBB57_3:                               ; =>This Inner Loop Header: Depth=1
	v_add_co_u32_e64 v1, s[2:3], s35, v1
	v_mov_b32_e32 v5, s25
	v_add_co_u32_e32 v12, vcc, s24, v3
	v_addc_co_u32_e64 v2, s[2:3], 0, v2, s[2:3]
	v_mov_b32_e32 v4, s27
	v_mov_b32_e32 v6, s29
	v_add_co_u32_e64 v14, s[0:1], s28, v3
	v_add_co_u32_e64 v16, s[2:3], s26, v3
	v_addc_co_u32_e32 v13, vcc, 0, v5, vcc
	v_addc_co_u32_e64 v17, s[2:3], 0, v4, s[2:3]
	v_addc_co_u32_e64 v15, vcc, 0, v6, s[0:1]
	global_load_dwordx4 v[4:7], v[12:13], off
	global_load_dwordx4 v[8:11], v[16:17], off
	v_lshlrev_b64 v[18:19], 2, v[1:2]
	s_add_u32 s28, s28, s36
	v_cmp_le_i64_e32 vcc, s[18:19], v[18:19]
	s_addc_u32 s29, s29, 0
	s_add_u32 s26, s26, s36
	s_addc_u32 s27, s27, 0
	s_add_u32 s24, s24, s36
	s_addc_u32 s25, s25, 0
	s_or_b64 s[22:23], vcc, s[22:23]
	s_waitcnt vmcnt(1)
	v_sub_u32_e32 v16, 0, v4
	v_ashrrev_i32_e32 v13, 31, v4
	v_ashrrev_i32_e32 v17, 31, v5
	;; [unrolled: 1-line block ×3, first 2 shown]
	v_max_i32_e32 v4, v4, v16
	v_xor_b32_e32 v16, s33, v17
	v_xor_b32_e32 v17, s33, v19
	v_cvt_f32_u32_e32 v19, v4
	v_sub_u32_e32 v18, 0, v5
	v_sub_u32_e32 v20, 0, v6
	v_ashrrev_i32_e32 v21, 31, v7
	v_max_i32_e32 v5, v5, v18
	v_max_i32_e32 v6, v6, v20
	v_rcp_iflag_f32_e32 v19, v19
	v_xor_b32_e32 v18, s33, v21
	v_cvt_f32_u32_e32 v21, v5
	v_cvt_f32_u32_e32 v23, v6
	v_sub_u32_e32 v22, 0, v7
	v_max_i32_e32 v7, v7, v22
	v_cvt_f32_u32_e32 v25, v7
	v_mul_f32_e32 v19, 0x4f7ffffe, v19
	v_rcp_iflag_f32_e32 v21, v21
	v_rcp_iflag_f32_e32 v23, v23
	v_cvt_u32_f32_e32 v19, v19
	v_sub_u32_e32 v20, 0, v4
	v_rcp_iflag_f32_e32 v25, v25
	v_mul_f32_e32 v21, 0x4f7ffffe, v21
	v_mul_f32_e32 v23, 0x4f7ffffe, v23
	v_mul_lo_u32 v20, v20, v19
	v_cvt_u32_f32_e32 v21, v21
	v_cvt_u32_f32_e32 v23, v23
	v_mul_f32_e32 v25, 0x4f7ffffe, v25
	v_sub_u32_e32 v22, 0, v5
	v_sub_u32_e32 v24, 0, v6
	v_cvt_u32_f32_e32 v25, v25
	v_mul_hi_u32 v20, v19, v20
	v_mul_lo_u32 v22, v22, v21
	v_mul_lo_u32 v24, v24, v23
	v_sub_u32_e32 v26, 0, v7
	v_mul_lo_u32 v26, v26, v25
	v_add_u32_e32 v19, v19, v20
	v_mul_hi_u32 v22, v21, v22
	v_mul_hi_u32 v24, v23, v24
	;; [unrolled: 1-line block ×4, first 2 shown]
	v_add_u32_e32 v20, v21, v22
	v_add_u32_e32 v21, v23, v24
	v_mul_lo_u32 v23, v19, v4
	v_add_u32_e32 v22, v25, v26
	v_mul_hi_u32 v20, s34, v20
	v_mul_hi_u32 v21, s34, v21
	v_mul_hi_u32 v22, s34, v22
	v_sub_u32_e32 v23, s34, v23
	v_add_u32_e32 v24, 1, v19
	v_cmp_ge_u32_e64 s[0:1], v23, v4
	v_cndmask_b32_e64 v19, v19, v24, s[0:1]
	v_sub_u32_e32 v24, v23, v4
	v_mul_lo_u32 v25, v20, v5
	v_mul_lo_u32 v27, v21, v6
	v_cndmask_b32_e64 v23, v23, v24, s[0:1]
	v_cmp_ge_u32_e64 s[0:1], v23, v4
	v_mul_lo_u32 v23, v22, v7
	v_sub_u32_e32 v25, s34, v25
	v_sub_u32_e32 v27, s34, v27
	v_add_u32_e32 v26, 1, v20
	v_add_u32_e32 v4, 1, v21
	v_cmp_ge_u32_e64 s[2:3], v25, v5
	v_sub_u32_e32 v23, s34, v23
	v_cmp_ge_u32_e64 s[6:7], v27, v6
	v_cndmask_b32_e64 v20, v20, v26, s[2:3]
	v_add_u32_e32 v26, 1, v22
	v_cndmask_b32_e64 v4, v21, v4, s[6:7]
	v_sub_u32_e32 v21, v25, v5
	v_cmp_ge_u32_e64 s[8:9], v23, v7
	v_add_u32_e32 v24, 1, v19
	v_cndmask_b32_e64 v22, v22, v26, s[8:9]
	v_sub_u32_e32 v26, v27, v6
	v_cndmask_b32_e64 v21, v25, v21, s[2:3]
	v_sub_u32_e32 v25, v23, v7
	v_cndmask_b32_e64 v26, v27, v26, s[6:7]
	v_add_u32_e32 v27, 1, v20
	v_cndmask_b32_e64 v19, v19, v24, s[0:1]
	v_cmp_ge_u32_e64 s[0:1], v21, v5
	v_cndmask_b32_e64 v23, v23, v25, s[8:9]
	v_add_u32_e32 v25, 1, v4
	v_cndmask_b32_e64 v5, v20, v27, s[0:1]
	v_cmp_ge_u32_e64 s[0:1], v26, v6
	v_xor_b32_e32 v13, s33, v13
	v_add_u32_e32 v24, 1, v22
	v_cndmask_b32_e64 v4, v4, v25, s[0:1]
	v_cmp_ge_u32_e64 s[0:1], v23, v7
	v_cndmask_b32_e64 v6, v22, v24, s[0:1]
	v_xor_b32_e32 v7, v19, v13
	v_xor_b32_e32 v5, v5, v16
	;; [unrolled: 1-line block ×4, first 2 shown]
	v_sub_u32_e32 v7, v7, v13
	s_waitcnt vmcnt(0)
	v_mov_b32_e32 v12, v11
	v_sub_u32_e32 v16, v5, v16
	v_sub_u32_e32 v17, v4, v17
	;; [unrolled: 1-line block ×3, first 2 shown]
	v_mad_u64_u32 v[4:5], s[0:1], v7, s30, v[8:9]
	v_mad_u64_u32 v[12:13], s[0:1], v6, s30, v[12:13]
	;; [unrolled: 1-line block ×4, first 2 shown]
	v_mov_b32_e32 v7, v12
	global_store_dwordx4 v[14:15], v[4:7], off
	s_andn2_b64 exec, exec, s[22:23]
	s_cbranch_execnz .LBB57_3
.LBB57_4:
	s_or_b64 exec, exec, s[20:21]
	s_mov_b64 s[0:1], 0
.LBB57_5:
	s_andn2_b64 vcc, exec, s[0:1]
	s_cbranch_vccnz .LBB57_19
; %bb.6:
	v_cmp_lt_i64_e64 s[0:1], s[16:17], 1
	s_and_b64 vcc, exec, s[0:1]
	s_cbranch_vccnz .LBB57_19
; %bb.7:
	v_mov_b32_e32 v1, 0x10000
	s_load_dword s2, s[4:5], 0xbfc
	v_mov_b32_e32 v2, 0
	v_cmp_lt_i64_e32 vcc, s[16:17], v[1:2]
	s_mov_b64 s[4:5], 0
	s_and_b64 s[0:1], vcc, exec
	v_cmp_lt_u64_e32 vcc, s[16:17], v[1:2]
	s_cselect_b32 s1, s17, 0
	s_cselect_b32 s0, s16, 0x10000
	s_waitcnt lgkmcnt(0)
	s_and_b32 s8, s2, 0xffff
	s_and_b64 s[2:3], vcc, exec
	s_cselect_b32 s3, s17, 0
	s_cselect_b32 s2, s16, 0x10000
	s_lshl_b32 s9, s8, 1
	s_mul_i32 s16, s8, 3
	s_lshl_b32 s17, s8, 2
	s_ashr_i32 s18, s31, 31
	s_abs_i32 s19, s31
	v_mov_b32_e32 v19, s13
	v_mov_b32_e32 v20, s11
	s_branch .LBB57_9
.LBB57_8:                               ;   in Loop: Header=BB57_9 Depth=1
	s_or_b64 exec, exec, s[6:7]
	s_add_u32 s4, s4, s17
	v_mov_b32_e32 v2, s1
	s_addc_u32 s5, s5, 0
	v_mov_b32_e32 v1, s0
	v_cmp_ge_i64_e32 vcc, s[4:5], v[1:2]
	s_cbranch_vccnz .LBB57_19
.LBB57_9:                               ; =>This Inner Loop Header: Depth=1
	v_mov_b32_e32 v1, s5
	v_add_co_u32_e32 v14, vcc, s4, v0
	v_addc_co_u32_e32 v15, vcc, 0, v1, vcc
	v_cmp_gt_i64_e32 vcc, s[0:1], v[14:15]
	s_waitcnt vmcnt(6)
	v_mov_b32_e32 v24, 0
	v_mov_b32_e32 v13, 0
	s_and_saveexec_b64 s[6:7], vcc
	s_cbranch_execz .LBB57_11
; %bb.10:                               ;   in Loop: Header=BB57_9 Depth=1
	v_lshlrev_b64 v[1:2], 2, v[14:15]
	v_mov_b32_e32 v4, s11
	s_waitcnt vmcnt(0)
	v_add_co_u32_e32 v3, vcc, s10, v1
	v_addc_co_u32_e32 v4, vcc, v4, v2, vcc
	v_mov_b32_e32 v5, s13
	v_add_co_u32_e32 v1, vcc, s12, v1
	v_addc_co_u32_e32 v2, vcc, v5, v2, vcc
	global_load_dword v13, v[3:4], off
	global_load_dword v24, v[1:2], off
.LBB57_11:                              ;   in Loop: Header=BB57_9 Depth=1
	s_or_b64 exec, exec, s[6:7]
	v_add_co_u32_e32 v17, vcc, s8, v14
	v_addc_co_u32_e32 v18, vcc, 0, v15, vcc
	v_lshlrev_b64 v[9:10], 2, v[17:18]
	v_add_co_u32_e32 v1, vcc, s12, v9
	v_addc_co_u32_e32 v2, vcc, v19, v10, vcc
	v_add_co_u32_e32 v11, vcc, s9, v14
	v_addc_co_u32_e32 v12, vcc, 0, v15, vcc
	v_lshlrev_b64 v[4:5], 2, v[11:12]
	global_load_dword v23, v[1:2], off
	v_add_co_u32_e32 v1, vcc, s12, v4
	v_addc_co_u32_e32 v2, vcc, v19, v5, vcc
	v_add_co_u32_e32 v6, vcc, s16, v14
	v_addc_co_u32_e32 v7, vcc, 0, v15, vcc
	global_load_dword v22, v[1:2], off
	v_lshlrev_b64 v[1:2], 2, v[6:7]
	v_add_co_u32_e32 v25, vcc, s12, v1
	v_addc_co_u32_e32 v26, vcc, v19, v2, vcc
	global_load_dword v21, v[25:26], off
	v_add_co_u32_e32 v25, vcc, s10, v9
	v_addc_co_u32_e32 v26, vcc, v20, v10, vcc
	global_load_dword v16, v[25:26], off
	;; [unrolled: 3-line block ×4, first 2 shown]
	v_cmp_gt_u64_e32 vcc, s[2:3], v[14:15]
	s_and_saveexec_b64 s[6:7], vcc
	s_cbranch_execnz .LBB57_15
; %bb.12:                               ;   in Loop: Header=BB57_9 Depth=1
	s_or_b64 exec, exec, s[6:7]
	v_cmp_gt_u64_e32 vcc, s[2:3], v[17:18]
	s_and_saveexec_b64 s[6:7], vcc
	s_cbranch_execnz .LBB57_16
.LBB57_13:                              ;   in Loop: Header=BB57_9 Depth=1
	s_or_b64 exec, exec, s[6:7]
	v_cmp_gt_u64_e32 vcc, s[2:3], v[11:12]
	s_and_saveexec_b64 s[6:7], vcc
	s_cbranch_execnz .LBB57_17
.LBB57_14:                              ;   in Loop: Header=BB57_9 Depth=1
	s_or_b64 exec, exec, s[6:7]
	v_cmp_gt_u64_e32 vcc, s[2:3], v[6:7]
	s_and_saveexec_b64 s[6:7], vcc
	s_cbranch_execz .LBB57_8
	s_branch .LBB57_18
.LBB57_15:                              ;   in Loop: Header=BB57_9 Depth=1
	s_waitcnt vmcnt(6)
	v_sub_u32_e32 v25, 0, v24
	v_max_i32_e32 v25, v24, v25
	v_cvt_f32_u32_e32 v26, v25
	v_sub_u32_e32 v27, 0, v25
	v_ashrrev_i32_e32 v24, 31, v24
	v_xor_b32_e32 v24, s18, v24
	v_rcp_iflag_f32_e32 v26, v26
	v_lshlrev_b64 v[14:15], 2, v[14:15]
	v_mul_f32_e32 v26, 0x4f7ffffe, v26
	v_cvt_u32_f32_e32 v26, v26
	v_mul_lo_u32 v27, v27, v26
	v_mul_hi_u32 v27, v26, v27
	v_add_u32_e32 v26, v26, v27
	v_mul_hi_u32 v26, s19, v26
	v_mov_b32_e32 v27, s15
	v_mul_lo_u32 v28, v26, v25
	v_add_u32_e32 v29, 1, v26
	v_sub_u32_e32 v28, s19, v28
	v_cmp_ge_u32_e32 vcc, v28, v25
	v_sub_u32_e32 v30, v28, v25
	v_cndmask_b32_e32 v26, v26, v29, vcc
	v_cndmask_b32_e32 v28, v28, v30, vcc
	v_add_u32_e32 v29, 1, v26
	v_cmp_ge_u32_e32 vcc, v28, v25
	v_cndmask_b32_e32 v25, v26, v29, vcc
	v_xor_b32_e32 v25, v25, v24
	v_sub_u32_e32 v24, v25, v24
	v_mad_u64_u32 v[24:25], s[20:21], v24, s30, v[13:14]
	v_add_co_u32_e32 v13, vcc, s14, v14
	v_addc_co_u32_e32 v14, vcc, v27, v15, vcc
	global_store_dword v[13:14], v24, off
	s_or_b64 exec, exec, s[6:7]
	v_cmp_gt_u64_e32 vcc, s[2:3], v[17:18]
	s_and_saveexec_b64 s[6:7], vcc
	s_cbranch_execz .LBB57_13
.LBB57_16:                              ;   in Loop: Header=BB57_9 Depth=1
	s_waitcnt vmcnt(5)
	v_sub_u32_e32 v13, 0, v23
	v_max_i32_e32 v13, v23, v13
	v_cvt_f32_u32_e32 v14, v13
	v_sub_u32_e32 v15, 0, v13
	v_mov_b32_e32 v18, s15
	v_rcp_iflag_f32_e32 v14, v14
	v_mul_f32_e32 v14, 0x4f7ffffe, v14
	v_cvt_u32_f32_e32 v14, v14
	v_mul_lo_u32 v15, v15, v14
	v_mul_hi_u32 v15, v14, v15
	v_add_u32_e32 v14, v14, v15
	v_mul_hi_u32 v14, s19, v14
	v_ashrrev_i32_e32 v15, 31, v23
	v_xor_b32_e32 v15, s18, v15
	v_mul_lo_u32 v17, v14, v13
	v_add_u32_e32 v23, 1, v14
	v_sub_u32_e32 v17, s19, v17
	v_cmp_ge_u32_e32 vcc, v17, v13
	v_cndmask_b32_e32 v14, v14, v23, vcc
	v_sub_u32_e32 v23, v17, v13
	v_cndmask_b32_e32 v17, v17, v23, vcc
	v_add_u32_e32 v23, 1, v14
	v_cmp_ge_u32_e32 vcc, v17, v13
	v_cndmask_b32_e32 v13, v14, v23, vcc
	v_xor_b32_e32 v13, v13, v15
	v_sub_u32_e32 v13, v13, v15
	s_waitcnt vmcnt(2)
	v_mad_u64_u32 v[13:14], s[20:21], v13, s30, v[16:17]
	v_add_co_u32_e32 v9, vcc, s14, v9
	v_addc_co_u32_e32 v10, vcc, v18, v10, vcc
	global_store_dword v[9:10], v13, off
	s_or_b64 exec, exec, s[6:7]
	v_cmp_gt_u64_e32 vcc, s[2:3], v[11:12]
	s_and_saveexec_b64 s[6:7], vcc
	s_cbranch_execz .LBB57_14
.LBB57_17:                              ;   in Loop: Header=BB57_9 Depth=1
	s_waitcnt vmcnt(4)
	v_sub_u32_e32 v9, 0, v22
	v_max_i32_e32 v9, v22, v9
	v_cvt_f32_u32_e32 v10, v9
	v_sub_u32_e32 v11, 0, v9
	v_mov_b32_e32 v13, s15
	v_rcp_iflag_f32_e32 v10, v10
	v_mul_f32_e32 v10, 0x4f7ffffe, v10
	v_cvt_u32_f32_e32 v10, v10
	v_mul_lo_u32 v11, v11, v10
	v_mul_hi_u32 v11, v10, v11
	v_add_u32_e32 v10, v10, v11
	v_mul_hi_u32 v10, s19, v10
	v_ashrrev_i32_e32 v11, 31, v22
	v_xor_b32_e32 v11, s18, v11
	v_mul_lo_u32 v12, v10, v9
	v_add_u32_e32 v14, 1, v10
	v_sub_u32_e32 v12, s19, v12
	v_cmp_ge_u32_e32 vcc, v12, v9
	v_cndmask_b32_e32 v10, v10, v14, vcc
	v_sub_u32_e32 v14, v12, v9
	v_cndmask_b32_e32 v12, v12, v14, vcc
	v_add_u32_e32 v14, 1, v10
	v_cmp_ge_u32_e32 vcc, v12, v9
	v_cndmask_b32_e32 v9, v10, v14, vcc
	v_xor_b32_e32 v9, v9, v11
	v_sub_u32_e32 v9, v9, v11
	s_waitcnt vmcnt(1)
	v_mad_u64_u32 v[8:9], s[20:21], v9, s30, v[8:9]
	v_add_co_u32_e32 v4, vcc, s14, v4
	v_addc_co_u32_e32 v5, vcc, v13, v5, vcc
	global_store_dword v[4:5], v8, off
	s_or_b64 exec, exec, s[6:7]
	v_cmp_gt_u64_e32 vcc, s[2:3], v[6:7]
	s_and_saveexec_b64 s[6:7], vcc
	s_cbranch_execz .LBB57_8
.LBB57_18:                              ;   in Loop: Header=BB57_9 Depth=1
	s_waitcnt vmcnt(3)
	v_sub_u32_e32 v4, 0, v21
	v_max_i32_e32 v4, v21, v4
	v_cvt_f32_u32_e32 v5, v4
	v_sub_u32_e32 v6, 0, v4
	s_waitcnt vmcnt(1)
	v_mov_b32_e32 v8, s15
	v_rcp_iflag_f32_e32 v5, v5
	v_mul_f32_e32 v5, 0x4f7ffffe, v5
	v_cvt_u32_f32_e32 v5, v5
	v_mul_lo_u32 v6, v6, v5
	v_mul_hi_u32 v6, v5, v6
	v_add_u32_e32 v5, v5, v6
	v_mul_hi_u32 v5, s19, v5
	v_ashrrev_i32_e32 v6, 31, v21
	v_xor_b32_e32 v6, s18, v6
	v_mul_lo_u32 v7, v5, v4
	v_add_u32_e32 v9, 1, v5
	v_sub_u32_e32 v7, s19, v7
	v_cmp_ge_u32_e32 vcc, v7, v4
	v_cndmask_b32_e32 v5, v5, v9, vcc
	v_sub_u32_e32 v9, v7, v4
	v_cndmask_b32_e32 v7, v7, v9, vcc
	v_add_u32_e32 v9, 1, v5
	v_cmp_ge_u32_e32 vcc, v7, v4
	v_cndmask_b32_e32 v4, v5, v9, vcc
	v_xor_b32_e32 v4, v4, v6
	v_sub_u32_e32 v4, v4, v6
	s_waitcnt vmcnt(0)
	v_mad_u64_u32 v[3:4], s[20:21], v4, s30, v[3:4]
	v_add_co_u32_e32 v1, vcc, s14, v1
	v_addc_co_u32_e32 v2, vcc, v8, v2, vcc
	global_store_dword v[1:2], v3, off
	s_branch .LBB57_8
.LBB57_19:
	s_endpgm
	.section	.rodata,"a",@progbits
	.p2align	6, 0x0
	.amdhsa_kernel _ZN2at6native12_GLOBAL__N_125multi_tensor_apply_kernelINS1_18TensorListMetadataILi4EEENS1_32PointwiseOpScalar0dTensorFunctorIiLi4ELi2ELi3EEEJSt7dividesIiEiEEEvT_T0_DpT1_
		.amdhsa_group_segment_fixed_size 0
		.amdhsa_private_segment_fixed_size 0
		.amdhsa_kernarg_size 3312
		.amdhsa_user_sgpr_count 6
		.amdhsa_user_sgpr_private_segment_buffer 1
		.amdhsa_user_sgpr_dispatch_ptr 0
		.amdhsa_user_sgpr_queue_ptr 0
		.amdhsa_user_sgpr_kernarg_segment_ptr 1
		.amdhsa_user_sgpr_dispatch_id 0
		.amdhsa_user_sgpr_flat_scratch_init 0
		.amdhsa_user_sgpr_private_segment_size 0
		.amdhsa_uses_dynamic_stack 0
		.amdhsa_system_sgpr_private_segment_wavefront_offset 0
		.amdhsa_system_sgpr_workgroup_id_x 1
		.amdhsa_system_sgpr_workgroup_id_y 0
		.amdhsa_system_sgpr_workgroup_id_z 0
		.amdhsa_system_sgpr_workgroup_info 0
		.amdhsa_system_vgpr_workitem_id 0
		.amdhsa_next_free_vgpr 31
		.amdhsa_next_free_sgpr 37
		.amdhsa_reserve_vcc 1
		.amdhsa_reserve_flat_scratch 0
		.amdhsa_float_round_mode_32 0
		.amdhsa_float_round_mode_16_64 0
		.amdhsa_float_denorm_mode_32 3
		.amdhsa_float_denorm_mode_16_64 3
		.amdhsa_dx10_clamp 1
		.amdhsa_ieee_mode 1
		.amdhsa_fp16_overflow 0
		.amdhsa_exception_fp_ieee_invalid_op 0
		.amdhsa_exception_fp_denorm_src 0
		.amdhsa_exception_fp_ieee_div_zero 0
		.amdhsa_exception_fp_ieee_overflow 0
		.amdhsa_exception_fp_ieee_underflow 0
		.amdhsa_exception_fp_ieee_inexact 0
		.amdhsa_exception_int_div_zero 0
	.end_amdhsa_kernel
	.section	.text._ZN2at6native12_GLOBAL__N_125multi_tensor_apply_kernelINS1_18TensorListMetadataILi4EEENS1_32PointwiseOpScalar0dTensorFunctorIiLi4ELi2ELi3EEEJSt7dividesIiEiEEEvT_T0_DpT1_,"axG",@progbits,_ZN2at6native12_GLOBAL__N_125multi_tensor_apply_kernelINS1_18TensorListMetadataILi4EEENS1_32PointwiseOpScalar0dTensorFunctorIiLi4ELi2ELi3EEEJSt7dividesIiEiEEEvT_T0_DpT1_,comdat
.Lfunc_end57:
	.size	_ZN2at6native12_GLOBAL__N_125multi_tensor_apply_kernelINS1_18TensorListMetadataILi4EEENS1_32PointwiseOpScalar0dTensorFunctorIiLi4ELi2ELi3EEEJSt7dividesIiEiEEEvT_T0_DpT1_, .Lfunc_end57-_ZN2at6native12_GLOBAL__N_125multi_tensor_apply_kernelINS1_18TensorListMetadataILi4EEENS1_32PointwiseOpScalar0dTensorFunctorIiLi4ELi2ELi3EEEJSt7dividesIiEiEEEvT_T0_DpT1_
                                        ; -- End function
	.set _ZN2at6native12_GLOBAL__N_125multi_tensor_apply_kernelINS1_18TensorListMetadataILi4EEENS1_32PointwiseOpScalar0dTensorFunctorIiLi4ELi2ELi3EEEJSt7dividesIiEiEEEvT_T0_DpT1_.num_vgpr, 31
	.set _ZN2at6native12_GLOBAL__N_125multi_tensor_apply_kernelINS1_18TensorListMetadataILi4EEENS1_32PointwiseOpScalar0dTensorFunctorIiLi4ELi2ELi3EEEJSt7dividesIiEiEEEvT_T0_DpT1_.num_agpr, 0
	.set _ZN2at6native12_GLOBAL__N_125multi_tensor_apply_kernelINS1_18TensorListMetadataILi4EEENS1_32PointwiseOpScalar0dTensorFunctorIiLi4ELi2ELi3EEEJSt7dividesIiEiEEEvT_T0_DpT1_.numbered_sgpr, 37
	.set _ZN2at6native12_GLOBAL__N_125multi_tensor_apply_kernelINS1_18TensorListMetadataILi4EEENS1_32PointwiseOpScalar0dTensorFunctorIiLi4ELi2ELi3EEEJSt7dividesIiEiEEEvT_T0_DpT1_.num_named_barrier, 0
	.set _ZN2at6native12_GLOBAL__N_125multi_tensor_apply_kernelINS1_18TensorListMetadataILi4EEENS1_32PointwiseOpScalar0dTensorFunctorIiLi4ELi2ELi3EEEJSt7dividesIiEiEEEvT_T0_DpT1_.private_seg_size, 0
	.set _ZN2at6native12_GLOBAL__N_125multi_tensor_apply_kernelINS1_18TensorListMetadataILi4EEENS1_32PointwiseOpScalar0dTensorFunctorIiLi4ELi2ELi3EEEJSt7dividesIiEiEEEvT_T0_DpT1_.uses_vcc, 1
	.set _ZN2at6native12_GLOBAL__N_125multi_tensor_apply_kernelINS1_18TensorListMetadataILi4EEENS1_32PointwiseOpScalar0dTensorFunctorIiLi4ELi2ELi3EEEJSt7dividesIiEiEEEvT_T0_DpT1_.uses_flat_scratch, 0
	.set _ZN2at6native12_GLOBAL__N_125multi_tensor_apply_kernelINS1_18TensorListMetadataILi4EEENS1_32PointwiseOpScalar0dTensorFunctorIiLi4ELi2ELi3EEEJSt7dividesIiEiEEEvT_T0_DpT1_.has_dyn_sized_stack, 0
	.set _ZN2at6native12_GLOBAL__N_125multi_tensor_apply_kernelINS1_18TensorListMetadataILi4EEENS1_32PointwiseOpScalar0dTensorFunctorIiLi4ELi2ELi3EEEJSt7dividesIiEiEEEvT_T0_DpT1_.has_recursion, 0
	.set _ZN2at6native12_GLOBAL__N_125multi_tensor_apply_kernelINS1_18TensorListMetadataILi4EEENS1_32PointwiseOpScalar0dTensorFunctorIiLi4ELi2ELi3EEEJSt7dividesIiEiEEEvT_T0_DpT1_.has_indirect_call, 0
	.section	.AMDGPU.csdata,"",@progbits
; Kernel info:
; codeLenInByte = 2268
; TotalNumSgprs: 41
; NumVgprs: 31
; ScratchSize: 0
; MemoryBound: 0
; FloatMode: 240
; IeeeMode: 1
; LDSByteSize: 0 bytes/workgroup (compile time only)
; SGPRBlocks: 5
; VGPRBlocks: 7
; NumSGPRsForWavesPerEU: 41
; NumVGPRsForWavesPerEU: 31
; Occupancy: 8
; WaveLimiterHint : 0
; COMPUTE_PGM_RSRC2:SCRATCH_EN: 0
; COMPUTE_PGM_RSRC2:USER_SGPR: 6
; COMPUTE_PGM_RSRC2:TRAP_HANDLER: 0
; COMPUTE_PGM_RSRC2:TGID_X_EN: 1
; COMPUTE_PGM_RSRC2:TGID_Y_EN: 0
; COMPUTE_PGM_RSRC2:TGID_Z_EN: 0
; COMPUTE_PGM_RSRC2:TIDIG_COMP_CNT: 0
	.section	.text._ZN2at6native12_GLOBAL__N_125multi_tensor_apply_kernelINS1_18TensorListMetadataILi4EEENS1_32PointwiseOpScalar0dTensorFunctorIlLi4ELi2ELi3EEEJSt7dividesIlElEEEvT_T0_DpT1_,"axG",@progbits,_ZN2at6native12_GLOBAL__N_125multi_tensor_apply_kernelINS1_18TensorListMetadataILi4EEENS1_32PointwiseOpScalar0dTensorFunctorIlLi4ELi2ELi3EEEJSt7dividesIlElEEEvT_T0_DpT1_,comdat
	.globl	_ZN2at6native12_GLOBAL__N_125multi_tensor_apply_kernelINS1_18TensorListMetadataILi4EEENS1_32PointwiseOpScalar0dTensorFunctorIlLi4ELi2ELi3EEEJSt7dividesIlElEEEvT_T0_DpT1_ ; -- Begin function _ZN2at6native12_GLOBAL__N_125multi_tensor_apply_kernelINS1_18TensorListMetadataILi4EEENS1_32PointwiseOpScalar0dTensorFunctorIlLi4ELi2ELi3EEEJSt7dividesIlElEEEvT_T0_DpT1_
	.p2align	8
	.type	_ZN2at6native12_GLOBAL__N_125multi_tensor_apply_kernelINS1_18TensorListMetadataILi4EEENS1_32PointwiseOpScalar0dTensorFunctorIlLi4ELi2ELi3EEEJSt7dividesIlElEEEvT_T0_DpT1_,@function
_ZN2at6native12_GLOBAL__N_125multi_tensor_apply_kernelINS1_18TensorListMetadataILi4EEENS1_32PointwiseOpScalar0dTensorFunctorIlLi4ELi2ELi3EEEJSt7dividesIlElEEEvT_T0_DpT1_: ; @_ZN2at6native12_GLOBAL__N_125multi_tensor_apply_kernelINS1_18TensorListMetadataILi4EEENS1_32PointwiseOpScalar0dTensorFunctorIlLi4ELi2ELi3EEEJSt7dividesIlElEEEvT_T0_DpT1_
; %bb.0:
	v_mov_b32_e32 v1, s6
	global_load_ubyte v1, v1, s[4:5] offset:1440
	s_add_u32 s0, s4, s6
	s_mul_hi_u32 s1, s6, 3
	s_mul_i32 s6, s6, 3
	s_addc_u32 s2, s5, 0
	s_add_u32 s0, s0, s6
	s_addc_u32 s1, s2, s1
	s_load_dword s0, s[0:1], 0x6e0
	s_mov_b32 s17, 0
	s_mov_b32 s11, s17
	;; [unrolled: 1-line block ×3, first 2 shown]
	s_waitcnt lgkmcnt(0)
	s_ashr_i32 s1, s0, 31
	s_lshl_b64 s[12:13], s[0:1], 19
	s_waitcnt vmcnt(0)
	v_readfirstlane_b32 s2, v1
	s_lshl_b32 s8, s2, 3
	s_load_dwordx2 s[6:7], s[4:5], s8 offset:0x0
	s_load_dwordx2 s[14:15], s[4:5], s8 offset:0x120
	s_load_dwordx2 s[2:3], s[4:5], 0xbf0
	s_load_dwordx2 s[20:21], s[4:5], s8 offset:0x480
	s_load_dwordx2 s[22:23], s[4:5], s8 offset:0x240
	s_load_dwordx2 s[24:25], s[4:5], s8 offset:0x360
	s_waitcnt lgkmcnt(0)
	s_add_u32 s6, s6, s12
	s_addc_u32 s7, s7, s13
	s_add_u32 s10, s14, s12
	s_and_b32 s16, s6, 31
	s_and_b32 s10, s10, 31
	s_cmp_lg_u64 s[10:11], 0
	s_load_dwordx2 s[8:9], s[14:15], 0x0
	s_cselect_b64 s[14:15], -1, 0
	s_add_u32 s10, s22, s12
	s_addc_u32 s11, s23, s13
	s_add_u32 s12, s24, s12
	s_addc_u32 s13, s25, s13
	s_or_b32 s18, s12, s10
	s_and_b32 s18, s18, 31
	s_cmp_lg_u32 s18, 0
	s_cselect_b64 s[22:23], -1, 0
	s_lshl_b64 s[0:1], s[0:1], 16
	s_or_b64 s[22:23], s[22:23], s[14:15]
	s_sub_u32 s14, s20, s0
	s_subb_u32 s15, s21, s1
	s_and_b32 s18, s20, 3
	s_or_b64 s[0:1], s[16:17], s[18:19]
	s_cmp_lg_u64 s[0:1], 0
	s_cselect_b64 s[0:1], -1, 0
	s_or_b64 s[0:1], s[22:23], s[0:1]
	s_andn2_b64 vcc, exec, s[0:1]
	s_mov_b64 s[0:1], -1
	s_cbranch_vccz .LBB58_21
; %bb.1:
	v_mov_b32_e32 v1, 0x10000
	v_mov_b32_e32 v2, 0
	v_cmp_lt_i64_e32 vcc, s[14:15], v[1:2]
	v_mov_b32_e32 v17, 0
	s_and_b64 s[0:1], vcc, exec
	s_cselect_b32 s17, s15, 0
	s_cselect_b32 s16, s14, 0x10000
	v_lshlrev_b32_e32 v1, 2, v0
	v_mov_b32_e32 v2, v17
	v_cmp_gt_i64_e32 vcc, s[16:17], v[1:2]
	s_and_saveexec_b64 s[18:19], vcc
	s_cbranch_execz .LBB58_20
; %bb.2:
	s_load_dword s0, s[4:5], 0xc04
	v_mov_b32_e32 v1, v17
	v_mov_b32_e32 v20, v1
	v_lshlrev_b32_e32 v23, 5, v0
	s_mov_b64 s[20:21], 0
	s_waitcnt lgkmcnt(0)
	s_and_b32 s33, s0, 0xffff
	s_ashr_i32 s22, s9, 31
	s_lshl_b32 s34, s33, 5
	s_mov_b64 s[24:25], s[10:11]
	s_mov_b64 s[26:27], s[6:7]
	;; [unrolled: 1-line block ×3, first 2 shown]
	v_mov_b32_e32 v19, v0
	s_branch .LBB58_4
.LBB58_3:                               ;   in Loop: Header=BB58_4 Depth=1
	s_or_b64 exec, exec, s[0:1]
	v_mul_lo_u32 v18, v9, s3
	v_mul_lo_u32 v10, v10, s2
	s_waitcnt vmcnt(1)
	v_mad_u64_u32 v[3:4], s[0:1], v9, s2, v[3:4]
	v_mul_lo_u32 v11, v15, s3
	v_mul_lo_u32 v12, v16, s2
	v_mad_u64_u32 v[1:2], s[0:1], v15, s2, v[1:2]
	v_mul_lo_u32 v15, v13, s3
	v_mul_lo_u32 v14, v14, s2
	s_waitcnt vmcnt(0)
	v_mad_u64_u32 v[7:8], s[0:1], v13, s2, v[7:8]
	v_mul_lo_u32 v13, v21, s3
	v_mul_lo_u32 v16, v22, s2
	v_mad_u64_u32 v[5:6], s[0:1], v21, s2, v[5:6]
	v_add3_u32 v4, v10, v4, v18
	v_mov_b32_e32 v10, s29
	v_add_co_u32_e32 v9, vcc, s28, v23
	v_addc_co_u32_e32 v10, vcc, 0, v10, vcc
	v_add_co_u32_e32 v19, vcc, s33, v19
	s_add_u32 s28, s28, s34
	v_add3_u32 v8, v14, v8, v15
	v_add3_u32 v6, v16, v6, v13
	v_addc_co_u32_e32 v20, vcc, 0, v20, vcc
	s_addc_u32 s29, s29, 0
	global_store_dwordx4 v[9:10], v[5:8], off
	s_add_u32 s26, s26, s34
	v_lshlrev_b64 v[5:6], 2, v[19:20]
	s_addc_u32 s27, s27, 0
	s_add_u32 s24, s24, s34
	v_cmp_le_i64_e32 vcc, s[16:17], v[5:6]
	s_addc_u32 s25, s25, 0
	v_add3_u32 v2, v12, v2, v11
	s_or_b64 s[20:21], vcc, s[20:21]
	global_store_dwordx4 v[9:10], v[1:4], off offset:16
	s_andn2_b64 exec, exec, s[20:21]
	s_cbranch_execz .LBB58_20
.LBB58_4:                               ; =>This Inner Loop Header: Depth=1
	v_mov_b32_e32 v2, s25
	v_add_co_u32_e32 v1, vcc, s24, v23
	v_addc_co_u32_e32 v2, vcc, 0, v2, vcc
	global_load_dwordx4 v[9:12], v[1:2], off offset:16
	global_load_dwordx4 v[13:16], v[1:2], off
	v_mov_b32_e32 v3, s27
	v_add_co_u32_e32 v21, vcc, s26, v23
	v_addc_co_u32_e32 v22, vcc, 0, v3, vcc
	global_load_dwordx4 v[1:4], v[21:22], off offset:16
	global_load_dwordx4 v[5:8], v[21:22], off
                                        ; implicit-def: $vgpr21_vgpr22
	s_waitcnt vmcnt(2)
	v_or_b32_e32 v18, s9, v14
	v_cmp_ne_u64_e32 vcc, 0, v[17:18]
	s_and_saveexec_b64 s[0:1], vcc
	s_xor_b64 s[30:31], exec, s[0:1]
	s_cbranch_execz .LBB58_6
; %bb.5:                                ;   in Loop: Header=BB58_4 Depth=1
	v_ashrrev_i32_e32 v18, 31, v14
	v_add_co_u32_e32 v21, vcc, v13, v18
	v_addc_co_u32_e32 v14, vcc, v14, v18, vcc
	v_xor_b32_e32 v14, v14, v18
	v_xor_b32_e32 v28, v21, v18
	v_cvt_f32_u32_e32 v21, v28
	v_cvt_f32_u32_e32 v22, v14
	v_sub_co_u32_e32 v27, vcc, 0, v28
	v_subb_co_u32_e32 v29, vcc, 0, v14, vcc
	v_mac_f32_e32 v21, 0x4f800000, v22
	v_rcp_f32_e32 v21, v21
	s_mov_b32 s23, s22
	v_xor_b32_e32 v18, s22, v18
	v_mul_f32_e32 v21, 0x5f7ffffc, v21
	v_mul_f32_e32 v22, 0x2f800000, v21
	v_trunc_f32_e32 v22, v22
	v_mac_f32_e32 v21, 0xcf800000, v22
	v_cvt_u32_f32_e32 v26, v21
	v_cvt_u32_f32_e32 v30, v22
	v_mul_lo_u32 v24, v29, v26
	v_mad_u64_u32 v[21:22], s[0:1], v27, v26, 0
	v_mul_lo_u32 v25, v27, v30
	v_add3_u32 v31, v22, v25, v24
	v_mad_u64_u32 v[24:25], s[0:1], v26, v31, 0
	v_mul_hi_u32 v22, v26, v21
	v_add_co_u32_e32 v32, vcc, v22, v24
	v_mad_u64_u32 v[21:22], s[0:1], v30, v21, 0
	v_addc_co_u32_e32 v33, vcc, 0, v25, vcc
	v_mad_u64_u32 v[24:25], s[0:1], v30, v31, 0
	v_add_co_u32_e32 v21, vcc, v32, v21
	v_addc_co_u32_e32 v21, vcc, v33, v22, vcc
	v_addc_co_u32_e32 v22, vcc, 0, v25, vcc
	v_add_co_u32_e32 v21, vcc, v21, v24
	v_addc_co_u32_e32 v22, vcc, 0, v22, vcc
	v_add_co_u32_e32 v31, vcc, v26, v21
	v_addc_co_u32_e32 v30, vcc, v30, v22, vcc
	v_mul_lo_u32 v24, v27, v30
	v_mul_lo_u32 v25, v29, v31
	v_mad_u64_u32 v[21:22], s[0:1], v27, v31, 0
	v_add3_u32 v22, v22, v24, v25
	v_mad_u64_u32 v[26:27], s[0:1], v31, v22, 0
	v_mul_hi_u32 v29, v31, v21
	v_mad_u64_u32 v[24:25], s[0:1], v30, v22, 0
	v_mad_u64_u32 v[21:22], s[0:1], v30, v21, 0
	v_add_co_u32_e32 v26, vcc, v29, v26
	v_addc_co_u32_e32 v27, vcc, 0, v27, vcc
	v_add_co_u32_e32 v21, vcc, v26, v21
	v_addc_co_u32_e32 v21, vcc, v27, v22, vcc
	v_addc_co_u32_e32 v22, vcc, 0, v25, vcc
	v_add_co_u32_e32 v21, vcc, v21, v24
	v_addc_co_u32_e32 v22, vcc, 0, v22, vcc
	s_add_u32 s0, s8, s22
	v_add_co_u32_e32 v24, vcc, v31, v21
	s_addc_u32 s1, s9, s22
	v_addc_co_u32_e32 v25, vcc, v30, v22, vcc
	s_xor_b64 s[36:37], s[0:1], s[22:23]
	v_mad_u64_u32 v[21:22], s[0:1], s36, v25, 0
	v_mul_hi_u32 v26, s36, v24
	v_add_co_u32_e32 v26, vcc, v26, v21
	v_addc_co_u32_e32 v27, vcc, 0, v22, vcc
	v_mad_u64_u32 v[21:22], s[0:1], s37, v24, 0
	v_mad_u64_u32 v[24:25], s[0:1], s37, v25, 0
	v_add_co_u32_e32 v21, vcc, v26, v21
	v_addc_co_u32_e32 v21, vcc, v27, v22, vcc
	v_addc_co_u32_e32 v22, vcc, 0, v25, vcc
	v_add_co_u32_e32 v24, vcc, v21, v24
	v_addc_co_u32_e32 v25, vcc, 0, v22, vcc
	v_mul_lo_u32 v26, v14, v24
	v_mul_lo_u32 v27, v28, v25
	v_mad_u64_u32 v[21:22], s[0:1], v28, v24, 0
	v_add3_u32 v22, v22, v27, v26
	v_sub_u32_e32 v26, s37, v22
	v_sub_co_u32_e32 v21, vcc, s36, v21
	v_subb_co_u32_e64 v26, s[0:1], v26, v14, vcc
	v_sub_co_u32_e64 v27, s[0:1], v21, v28
	v_subbrev_co_u32_e64 v26, s[0:1], 0, v26, s[0:1]
	v_cmp_ge_u32_e64 s[0:1], v26, v14
	v_cndmask_b32_e64 v29, 0, -1, s[0:1]
	v_cmp_ge_u32_e64 s[0:1], v27, v28
	v_cndmask_b32_e64 v27, 0, -1, s[0:1]
	v_cmp_eq_u32_e64 s[0:1], v26, v14
	v_cndmask_b32_e64 v26, v29, v27, s[0:1]
	v_add_co_u32_e64 v27, s[0:1], 2, v24
	v_addc_co_u32_e64 v29, s[0:1], 0, v25, s[0:1]
	v_add_co_u32_e64 v30, s[0:1], 1, v24
	v_addc_co_u32_e64 v31, s[0:1], 0, v25, s[0:1]
	v_cmp_ne_u32_e64 s[0:1], 0, v26
	v_cndmask_b32_e64 v26, v31, v29, s[0:1]
	v_mov_b32_e32 v29, s37
	v_subb_co_u32_e32 v22, vcc, v29, v22, vcc
	v_cmp_ge_u32_e32 vcc, v22, v14
	v_cndmask_b32_e64 v29, 0, -1, vcc
	v_cmp_ge_u32_e32 vcc, v21, v28
	v_cndmask_b32_e64 v21, 0, -1, vcc
	v_cmp_eq_u32_e32 vcc, v22, v14
	v_cndmask_b32_e32 v14, v29, v21, vcc
	v_cmp_ne_u32_e32 vcc, 0, v14
	v_cndmask_b32_e64 v21, v30, v27, s[0:1]
	v_cndmask_b32_e32 v21, v24, v21, vcc
	v_cndmask_b32_e32 v14, v25, v26, vcc
	v_xor_b32_e32 v21, v21, v18
	v_xor_b32_e32 v14, v14, v18
	v_sub_co_u32_e32 v21, vcc, v21, v18
	v_subb_co_u32_e32 v22, vcc, v14, v18, vcc
.LBB58_6:                               ;   in Loop: Header=BB58_4 Depth=1
	s_andn2_saveexec_b64 s[30:31], s[30:31]
	s_cbranch_execz .LBB58_8
; %bb.7:                                ;   in Loop: Header=BB58_4 Depth=1
	v_cvt_f32_u32_e32 v18, v13
	v_sub_u32_e32 v14, 0, v13
	v_mov_b32_e32 v22, v17
	v_rcp_iflag_f32_e32 v18, v18
	v_mul_f32_e32 v18, 0x4f7ffffe, v18
	v_cvt_u32_f32_e32 v18, v18
	v_mul_lo_u32 v14, v14, v18
	v_mul_hi_u32 v14, v18, v14
	v_add_u32_e32 v14, v18, v14
	v_mul_hi_u32 v14, s8, v14
	v_mul_lo_u32 v18, v14, v13
	v_sub_u32_e32 v18, s8, v18
	v_cmp_ge_u32_e32 vcc, v18, v13
	v_sub_u32_e32 v21, v18, v13
	v_cndmask_b32_e32 v18, v18, v21, vcc
	v_cmp_ge_u32_e64 s[0:1], v18, v13
	v_add_u32_e32 v13, 1, v14
	v_cndmask_b32_e32 v13, v14, v13, vcc
	v_add_u32_e32 v14, 1, v13
	v_cndmask_b32_e64 v21, v13, v14, s[0:1]
.LBB58_8:                               ;   in Loop: Header=BB58_4 Depth=1
	s_or_b64 exec, exec, s[30:31]
	v_or_b32_e32 v18, s9, v16
	v_cmp_ne_u64_e32 vcc, 0, v[17:18]
                                        ; implicit-def: $vgpr13_vgpr14
	s_and_saveexec_b64 s[0:1], vcc
	s_xor_b64 s[30:31], exec, s[0:1]
	s_cbranch_execz .LBB58_10
; %bb.9:                                ;   in Loop: Header=BB58_4 Depth=1
	v_ashrrev_i32_e32 v18, 31, v16
	v_add_co_u32_e32 v13, vcc, v15, v18
	v_addc_co_u32_e32 v14, vcc, v16, v18, vcc
	v_xor_b32_e32 v28, v14, v18
	v_xor_b32_e32 v29, v13, v18
	v_cvt_f32_u32_e32 v13, v29
	v_cvt_f32_u32_e32 v14, v28
	v_sub_co_u32_e32 v25, vcc, 0, v29
	v_subb_co_u32_e32 v26, vcc, 0, v28, vcc
	v_mac_f32_e32 v13, 0x4f800000, v14
	v_rcp_f32_e32 v13, v13
	s_mov_b32 s23, s22
	v_mul_f32_e32 v13, 0x5f7ffffc, v13
	v_mul_f32_e32 v14, 0x2f800000, v13
	v_trunc_f32_e32 v14, v14
	v_mac_f32_e32 v13, 0xcf800000, v14
	v_cvt_u32_f32_e32 v24, v13
	v_cvt_u32_f32_e32 v27, v14
	v_mul_lo_u32 v15, v26, v24
	v_mad_u64_u32 v[13:14], s[0:1], v25, v24, 0
	v_mul_lo_u32 v16, v25, v27
	v_mul_hi_u32 v30, v24, v13
	v_add3_u32 v16, v14, v16, v15
	v_mad_u64_u32 v[14:15], s[0:1], v24, v16, 0
	v_add_co_u32_e32 v30, vcc, v30, v14
	v_mad_u64_u32 v[13:14], s[0:1], v27, v13, 0
	v_addc_co_u32_e32 v31, vcc, 0, v15, vcc
	v_mad_u64_u32 v[15:16], s[0:1], v27, v16, 0
	v_add_co_u32_e32 v13, vcc, v30, v13
	v_addc_co_u32_e32 v13, vcc, v31, v14, vcc
	v_addc_co_u32_e32 v14, vcc, 0, v16, vcc
	v_add_co_u32_e32 v13, vcc, v13, v15
	v_addc_co_u32_e32 v14, vcc, 0, v14, vcc
	v_add_co_u32_e32 v16, vcc, v24, v13
	v_addc_co_u32_e32 v30, vcc, v27, v14, vcc
	v_mul_lo_u32 v15, v25, v30
	v_mul_lo_u32 v24, v26, v16
	v_mad_u64_u32 v[13:14], s[0:1], v25, v16, 0
	v_add3_u32 v24, v14, v15, v24
	v_mad_u64_u32 v[14:15], s[0:1], v30, v24, 0
	v_mad_u64_u32 v[24:25], s[0:1], v16, v24, 0
	v_mul_hi_u32 v31, v16, v13
	v_mad_u64_u32 v[26:27], s[0:1], v30, v13, 0
	s_add_u32 s0, s8, s22
	v_add_co_u32_e32 v13, vcc, v31, v24
	v_addc_co_u32_e32 v24, vcc, 0, v25, vcc
	v_add_co_u32_e32 v13, vcc, v13, v26
	v_addc_co_u32_e32 v13, vcc, v24, v27, vcc
	v_addc_co_u32_e32 v15, vcc, 0, v15, vcc
	v_add_co_u32_e32 v13, vcc, v13, v14
	v_addc_co_u32_e32 v14, vcc, 0, v15, vcc
	v_add_co_u32_e32 v15, vcc, v16, v13
	s_addc_u32 s1, s9, s22
	v_addc_co_u32_e32 v16, vcc, v30, v14, vcc
	s_xor_b64 s[36:37], s[0:1], s[22:23]
	v_mad_u64_u32 v[13:14], s[0:1], s36, v16, 0
	v_mul_hi_u32 v24, s36, v15
	v_add_co_u32_e32 v24, vcc, v24, v13
	v_addc_co_u32_e32 v25, vcc, 0, v14, vcc
	v_mad_u64_u32 v[13:14], s[0:1], s37, v15, 0
	v_mad_u64_u32 v[15:16], s[0:1], s37, v16, 0
	v_add_co_u32_e32 v13, vcc, v24, v13
	v_addc_co_u32_e32 v13, vcc, v25, v14, vcc
	v_addc_co_u32_e32 v14, vcc, 0, v16, vcc
	v_add_co_u32_e32 v15, vcc, v13, v15
	v_addc_co_u32_e32 v16, vcc, 0, v14, vcc
	v_mul_lo_u32 v24, v28, v15
	v_mul_lo_u32 v25, v29, v16
	v_mad_u64_u32 v[13:14], s[0:1], v29, v15, 0
	v_add3_u32 v14, v14, v25, v24
	v_sub_u32_e32 v24, s37, v14
	v_sub_co_u32_e32 v13, vcc, s36, v13
	v_subb_co_u32_e64 v24, s[0:1], v24, v28, vcc
	v_sub_co_u32_e64 v25, s[0:1], v13, v29
	v_subbrev_co_u32_e64 v24, s[0:1], 0, v24, s[0:1]
	v_cmp_ge_u32_e64 s[0:1], v24, v28
	v_cndmask_b32_e64 v26, 0, -1, s[0:1]
	v_cmp_ge_u32_e64 s[0:1], v25, v29
	v_cndmask_b32_e64 v25, 0, -1, s[0:1]
	v_cmp_eq_u32_e64 s[0:1], v24, v28
	v_cndmask_b32_e64 v24, v26, v25, s[0:1]
	v_add_co_u32_e64 v25, s[0:1], 2, v15
	v_addc_co_u32_e64 v26, s[0:1], 0, v16, s[0:1]
	v_add_co_u32_e64 v27, s[0:1], 1, v15
	v_addc_co_u32_e64 v30, s[0:1], 0, v16, s[0:1]
	v_cmp_ne_u32_e64 s[0:1], 0, v24
	v_cndmask_b32_e64 v24, v30, v26, s[0:1]
	v_mov_b32_e32 v26, s37
	v_subb_co_u32_e32 v14, vcc, v26, v14, vcc
	v_cmp_ge_u32_e32 vcc, v14, v28
	v_cndmask_b32_e64 v26, 0, -1, vcc
	v_cmp_ge_u32_e32 vcc, v13, v29
	v_cndmask_b32_e64 v13, 0, -1, vcc
	v_cmp_eq_u32_e32 vcc, v14, v28
	v_cndmask_b32_e32 v13, v26, v13, vcc
	v_cmp_ne_u32_e32 vcc, 0, v13
	v_cndmask_b32_e64 v14, v27, v25, s[0:1]
	v_cndmask_b32_e32 v13, v16, v24, vcc
	v_cndmask_b32_e32 v14, v15, v14, vcc
	v_xor_b32_e32 v15, s22, v18
	v_xor_b32_e32 v16, v13, v15
	;; [unrolled: 1-line block ×3, first 2 shown]
	v_sub_co_u32_e32 v13, vcc, v13, v15
	v_subb_co_u32_e32 v14, vcc, v16, v15, vcc
                                        ; implicit-def: $vgpr15_vgpr16
.LBB58_10:                              ;   in Loop: Header=BB58_4 Depth=1
	s_andn2_saveexec_b64 s[0:1], s[30:31]
	s_cbranch_execz .LBB58_12
; %bb.11:                               ;   in Loop: Header=BB58_4 Depth=1
	v_cvt_f32_u32_e32 v13, v15
	v_sub_u32_e32 v14, 0, v15
	v_rcp_iflag_f32_e32 v13, v13
	v_mul_f32_e32 v13, 0x4f7ffffe, v13
	v_cvt_u32_f32_e32 v13, v13
	v_mul_lo_u32 v14, v14, v13
	v_mul_hi_u32 v14, v13, v14
	v_add_u32_e32 v13, v13, v14
	v_mul_hi_u32 v13, s8, v13
	v_mul_lo_u32 v14, v13, v15
	v_add_u32_e32 v16, 1, v13
	v_sub_u32_e32 v14, s8, v14
	v_sub_u32_e32 v18, v14, v15
	v_cmp_ge_u32_e32 vcc, v14, v15
	v_cndmask_b32_e32 v14, v14, v18, vcc
	v_cndmask_b32_e32 v13, v13, v16, vcc
	v_add_u32_e32 v16, 1, v13
	v_cmp_ge_u32_e32 vcc, v14, v15
	v_cndmask_b32_e32 v13, v13, v16, vcc
	v_mov_b32_e32 v14, v17
.LBB58_12:                              ;   in Loop: Header=BB58_4 Depth=1
	s_or_b64 exec, exec, s[0:1]
	v_or_b32_e32 v18, s9, v10
	v_cmp_ne_u64_e32 vcc, 0, v[17:18]
                                        ; implicit-def: $vgpr15_vgpr16
	s_and_saveexec_b64 s[0:1], vcc
	s_xor_b64 s[30:31], exec, s[0:1]
	s_cbranch_execz .LBB58_14
; %bb.13:                               ;   in Loop: Header=BB58_4 Depth=1
	v_ashrrev_i32_e32 v18, 31, v10
	v_add_co_u32_e32 v15, vcc, v9, v18
	v_addc_co_u32_e32 v10, vcc, v10, v18, vcc
	v_xor_b32_e32 v10, v10, v18
	v_xor_b32_e32 v28, v15, v18
	v_cvt_f32_u32_e32 v15, v28
	v_cvt_f32_u32_e32 v16, v10
	v_sub_co_u32_e32 v27, vcc, 0, v28
	v_subb_co_u32_e32 v29, vcc, 0, v10, vcc
	v_mac_f32_e32 v15, 0x4f800000, v16
	v_rcp_f32_e32 v15, v15
	s_mov_b32 s23, s22
	v_mul_f32_e32 v15, 0x5f7ffffc, v15
	v_mul_f32_e32 v16, 0x2f800000, v15
	v_trunc_f32_e32 v16, v16
	v_mac_f32_e32 v15, 0xcf800000, v16
	v_cvt_u32_f32_e32 v26, v15
	v_cvt_u32_f32_e32 v30, v16
	v_mul_lo_u32 v24, v29, v26
	v_mad_u64_u32 v[15:16], s[0:1], v27, v26, 0
	v_mul_lo_u32 v25, v27, v30
	v_add3_u32 v31, v16, v25, v24
	v_mad_u64_u32 v[24:25], s[0:1], v26, v31, 0
	v_mul_hi_u32 v16, v26, v15
	v_add_co_u32_e32 v32, vcc, v16, v24
	v_mad_u64_u32 v[15:16], s[0:1], v30, v15, 0
	v_addc_co_u32_e32 v33, vcc, 0, v25, vcc
	v_mad_u64_u32 v[24:25], s[0:1], v30, v31, 0
	v_add_co_u32_e32 v15, vcc, v32, v15
	v_addc_co_u32_e32 v15, vcc, v33, v16, vcc
	v_addc_co_u32_e32 v16, vcc, 0, v25, vcc
	v_add_co_u32_e32 v15, vcc, v15, v24
	v_addc_co_u32_e32 v16, vcc, 0, v16, vcc
	v_add_co_u32_e32 v31, vcc, v26, v15
	v_addc_co_u32_e32 v30, vcc, v30, v16, vcc
	v_mul_lo_u32 v24, v27, v30
	v_mul_lo_u32 v25, v29, v31
	v_mad_u64_u32 v[15:16], s[0:1], v27, v31, 0
	v_add3_u32 v16, v16, v24, v25
	v_mad_u64_u32 v[26:27], s[0:1], v31, v16, 0
	v_mul_hi_u32 v29, v31, v15
	v_mad_u64_u32 v[24:25], s[0:1], v30, v16, 0
	v_mad_u64_u32 v[15:16], s[0:1], v30, v15, 0
	v_add_co_u32_e32 v26, vcc, v29, v26
	v_addc_co_u32_e32 v27, vcc, 0, v27, vcc
	v_add_co_u32_e32 v15, vcc, v26, v15
	v_addc_co_u32_e32 v15, vcc, v27, v16, vcc
	v_addc_co_u32_e32 v16, vcc, 0, v25, vcc
	v_add_co_u32_e32 v15, vcc, v15, v24
	v_addc_co_u32_e32 v16, vcc, 0, v16, vcc
	s_add_u32 s0, s8, s22
	v_add_co_u32_e32 v24, vcc, v31, v15
	s_addc_u32 s1, s9, s22
	v_addc_co_u32_e32 v25, vcc, v30, v16, vcc
	s_xor_b64 s[36:37], s[0:1], s[22:23]
	v_mad_u64_u32 v[15:16], s[0:1], s36, v25, 0
	v_mul_hi_u32 v26, s36, v24
	v_add_co_u32_e32 v26, vcc, v26, v15
	v_addc_co_u32_e32 v27, vcc, 0, v16, vcc
	v_mad_u64_u32 v[15:16], s[0:1], s37, v24, 0
	v_mad_u64_u32 v[24:25], s[0:1], s37, v25, 0
	v_add_co_u32_e32 v15, vcc, v26, v15
	v_addc_co_u32_e32 v15, vcc, v27, v16, vcc
	v_addc_co_u32_e32 v16, vcc, 0, v25, vcc
	v_add_co_u32_e32 v24, vcc, v15, v24
	v_addc_co_u32_e32 v25, vcc, 0, v16, vcc
	v_mul_lo_u32 v26, v10, v24
	v_mul_lo_u32 v27, v28, v25
	v_mad_u64_u32 v[15:16], s[0:1], v28, v24, 0
	v_add3_u32 v16, v16, v27, v26
	v_sub_u32_e32 v26, s37, v16
	v_sub_co_u32_e32 v15, vcc, s36, v15
	v_subb_co_u32_e64 v26, s[0:1], v26, v10, vcc
	v_sub_co_u32_e64 v27, s[0:1], v15, v28
	v_subbrev_co_u32_e64 v26, s[0:1], 0, v26, s[0:1]
	v_cmp_ge_u32_e64 s[0:1], v26, v10
	v_cndmask_b32_e64 v29, 0, -1, s[0:1]
	v_cmp_ge_u32_e64 s[0:1], v27, v28
	v_cndmask_b32_e64 v27, 0, -1, s[0:1]
	v_cmp_eq_u32_e64 s[0:1], v26, v10
	v_cndmask_b32_e64 v26, v29, v27, s[0:1]
	v_add_co_u32_e64 v27, s[0:1], 2, v24
	v_addc_co_u32_e64 v29, s[0:1], 0, v25, s[0:1]
	v_add_co_u32_e64 v30, s[0:1], 1, v24
	v_addc_co_u32_e64 v31, s[0:1], 0, v25, s[0:1]
	v_cmp_ne_u32_e64 s[0:1], 0, v26
	v_cndmask_b32_e64 v26, v31, v29, s[0:1]
	v_mov_b32_e32 v29, s37
	v_subb_co_u32_e32 v16, vcc, v29, v16, vcc
	v_cmp_ge_u32_e32 vcc, v16, v10
	v_cndmask_b32_e64 v29, 0, -1, vcc
	v_cmp_ge_u32_e32 vcc, v15, v28
	v_cndmask_b32_e64 v15, 0, -1, vcc
	v_cmp_eq_u32_e32 vcc, v16, v10
	v_cndmask_b32_e32 v10, v29, v15, vcc
	v_cmp_ne_u32_e32 vcc, 0, v10
	v_cndmask_b32_e64 v15, v30, v27, s[0:1]
	v_cndmask_b32_e32 v15, v24, v15, vcc
	v_xor_b32_e32 v16, s22, v18
	v_cndmask_b32_e32 v10, v25, v26, vcc
	v_xor_b32_e32 v15, v15, v16
	v_xor_b32_e32 v10, v10, v16
	v_sub_co_u32_e32 v15, vcc, v15, v16
	v_subb_co_u32_e32 v16, vcc, v10, v16, vcc
.LBB58_14:                              ;   in Loop: Header=BB58_4 Depth=1
	s_andn2_saveexec_b64 s[0:1], s[30:31]
	s_cbranch_execz .LBB58_16
; %bb.15:                               ;   in Loop: Header=BB58_4 Depth=1
	v_cvt_f32_u32_e32 v10, v9
	v_sub_u32_e32 v15, 0, v9
	v_rcp_iflag_f32_e32 v10, v10
	v_mul_f32_e32 v10, 0x4f7ffffe, v10
	v_cvt_u32_f32_e32 v10, v10
	v_mul_lo_u32 v15, v15, v10
	v_mul_hi_u32 v15, v10, v15
	v_add_u32_e32 v10, v10, v15
	v_mul_hi_u32 v10, s8, v10
	v_mul_lo_u32 v15, v10, v9
	v_add_u32_e32 v16, 1, v10
	v_sub_u32_e32 v15, s8, v15
	v_sub_u32_e32 v18, v15, v9
	v_cmp_ge_u32_e32 vcc, v15, v9
	v_cndmask_b32_e32 v15, v15, v18, vcc
	v_cndmask_b32_e32 v10, v10, v16, vcc
	v_add_u32_e32 v16, 1, v10
	v_cmp_ge_u32_e32 vcc, v15, v9
	v_cndmask_b32_e32 v15, v10, v16, vcc
	v_mov_b32_e32 v16, v17
.LBB58_16:                              ;   in Loop: Header=BB58_4 Depth=1
	s_or_b64 exec, exec, s[0:1]
	v_or_b32_e32 v18, s9, v12
	v_cmp_ne_u64_e32 vcc, 0, v[17:18]
                                        ; implicit-def: $vgpr9_vgpr10
	s_and_saveexec_b64 s[0:1], vcc
	s_xor_b64 s[30:31], exec, s[0:1]
	s_cbranch_execz .LBB58_18
; %bb.17:                               ;   in Loop: Header=BB58_4 Depth=1
	v_ashrrev_i32_e32 v18, 31, v12
	v_add_co_u32_e32 v9, vcc, v11, v18
	v_addc_co_u32_e32 v10, vcc, v12, v18, vcc
	v_xor_b32_e32 v28, v10, v18
	v_xor_b32_e32 v29, v9, v18
	v_cvt_f32_u32_e32 v9, v29
	v_cvt_f32_u32_e32 v10, v28
	v_sub_co_u32_e32 v25, vcc, 0, v29
	v_subb_co_u32_e32 v26, vcc, 0, v28, vcc
	v_mac_f32_e32 v9, 0x4f800000, v10
	v_rcp_f32_e32 v9, v9
	s_mov_b32 s23, s22
	v_mul_f32_e32 v9, 0x5f7ffffc, v9
	v_mul_f32_e32 v10, 0x2f800000, v9
	v_trunc_f32_e32 v10, v10
	v_mac_f32_e32 v9, 0xcf800000, v10
	v_cvt_u32_f32_e32 v24, v9
	v_cvt_u32_f32_e32 v27, v10
	v_mul_lo_u32 v11, v26, v24
	v_mad_u64_u32 v[9:10], s[0:1], v25, v24, 0
	v_mul_lo_u32 v12, v25, v27
	v_mul_hi_u32 v30, v24, v9
	v_add3_u32 v12, v10, v12, v11
	v_mad_u64_u32 v[10:11], s[0:1], v24, v12, 0
	v_add_co_u32_e32 v30, vcc, v30, v10
	v_mad_u64_u32 v[9:10], s[0:1], v27, v9, 0
	v_addc_co_u32_e32 v31, vcc, 0, v11, vcc
	v_mad_u64_u32 v[11:12], s[0:1], v27, v12, 0
	v_add_co_u32_e32 v9, vcc, v30, v9
	v_addc_co_u32_e32 v9, vcc, v31, v10, vcc
	v_addc_co_u32_e32 v10, vcc, 0, v12, vcc
	v_add_co_u32_e32 v9, vcc, v9, v11
	v_addc_co_u32_e32 v10, vcc, 0, v10, vcc
	v_add_co_u32_e32 v12, vcc, v24, v9
	v_addc_co_u32_e32 v30, vcc, v27, v10, vcc
	v_mul_lo_u32 v11, v25, v30
	v_mul_lo_u32 v24, v26, v12
	v_mad_u64_u32 v[9:10], s[0:1], v25, v12, 0
	v_add3_u32 v24, v10, v11, v24
	v_mad_u64_u32 v[10:11], s[0:1], v30, v24, 0
	v_mad_u64_u32 v[24:25], s[0:1], v12, v24, 0
	v_mul_hi_u32 v31, v12, v9
	v_mad_u64_u32 v[26:27], s[0:1], v30, v9, 0
	s_add_u32 s0, s8, s22
	v_add_co_u32_e32 v9, vcc, v31, v24
	v_addc_co_u32_e32 v24, vcc, 0, v25, vcc
	v_add_co_u32_e32 v9, vcc, v9, v26
	v_addc_co_u32_e32 v9, vcc, v24, v27, vcc
	v_addc_co_u32_e32 v11, vcc, 0, v11, vcc
	v_add_co_u32_e32 v9, vcc, v9, v10
	v_addc_co_u32_e32 v10, vcc, 0, v11, vcc
	v_add_co_u32_e32 v11, vcc, v12, v9
	s_addc_u32 s1, s9, s22
	v_addc_co_u32_e32 v12, vcc, v30, v10, vcc
	s_xor_b64 s[36:37], s[0:1], s[22:23]
	v_mad_u64_u32 v[9:10], s[0:1], s36, v12, 0
	v_mul_hi_u32 v24, s36, v11
	v_add_co_u32_e32 v24, vcc, v24, v9
	v_addc_co_u32_e32 v25, vcc, 0, v10, vcc
	v_mad_u64_u32 v[9:10], s[0:1], s37, v11, 0
	v_mad_u64_u32 v[11:12], s[0:1], s37, v12, 0
	v_add_co_u32_e32 v9, vcc, v24, v9
	v_addc_co_u32_e32 v9, vcc, v25, v10, vcc
	v_addc_co_u32_e32 v10, vcc, 0, v12, vcc
	v_add_co_u32_e32 v11, vcc, v9, v11
	v_addc_co_u32_e32 v12, vcc, 0, v10, vcc
	v_mul_lo_u32 v24, v28, v11
	v_mul_lo_u32 v25, v29, v12
	v_mad_u64_u32 v[9:10], s[0:1], v29, v11, 0
	v_add3_u32 v10, v10, v25, v24
	v_sub_u32_e32 v24, s37, v10
	v_sub_co_u32_e32 v9, vcc, s36, v9
	v_subb_co_u32_e64 v24, s[0:1], v24, v28, vcc
	v_sub_co_u32_e64 v25, s[0:1], v9, v29
	v_subbrev_co_u32_e64 v24, s[0:1], 0, v24, s[0:1]
	v_cmp_ge_u32_e64 s[0:1], v24, v28
	v_cndmask_b32_e64 v26, 0, -1, s[0:1]
	v_cmp_ge_u32_e64 s[0:1], v25, v29
	v_cndmask_b32_e64 v25, 0, -1, s[0:1]
	v_cmp_eq_u32_e64 s[0:1], v24, v28
	v_cndmask_b32_e64 v24, v26, v25, s[0:1]
	v_add_co_u32_e64 v25, s[0:1], 2, v11
	v_addc_co_u32_e64 v26, s[0:1], 0, v12, s[0:1]
	v_add_co_u32_e64 v27, s[0:1], 1, v11
	v_addc_co_u32_e64 v30, s[0:1], 0, v12, s[0:1]
	v_cmp_ne_u32_e64 s[0:1], 0, v24
	v_cndmask_b32_e64 v24, v30, v26, s[0:1]
	v_mov_b32_e32 v26, s37
	v_subb_co_u32_e32 v10, vcc, v26, v10, vcc
	v_cmp_ge_u32_e32 vcc, v10, v28
	v_cndmask_b32_e64 v26, 0, -1, vcc
	v_cmp_ge_u32_e32 vcc, v9, v29
	v_cndmask_b32_e64 v9, 0, -1, vcc
	v_cmp_eq_u32_e32 vcc, v10, v28
	v_cndmask_b32_e32 v9, v26, v9, vcc
	v_cmp_ne_u32_e32 vcc, 0, v9
	v_cndmask_b32_e64 v10, v27, v25, s[0:1]
	v_cndmask_b32_e32 v9, v12, v24, vcc
	v_cndmask_b32_e32 v10, v11, v10, vcc
	v_xor_b32_e32 v11, s22, v18
	v_xor_b32_e32 v12, v9, v11
	;; [unrolled: 1-line block ×3, first 2 shown]
	v_sub_co_u32_e32 v9, vcc, v9, v11
	v_subb_co_u32_e32 v10, vcc, v12, v11, vcc
                                        ; implicit-def: $vgpr11_vgpr12
.LBB58_18:                              ;   in Loop: Header=BB58_4 Depth=1
	s_andn2_saveexec_b64 s[0:1], s[30:31]
	s_cbranch_execz .LBB58_3
; %bb.19:                               ;   in Loop: Header=BB58_4 Depth=1
	v_cvt_f32_u32_e32 v9, v11
	v_sub_u32_e32 v10, 0, v11
	v_rcp_iflag_f32_e32 v9, v9
	v_mul_f32_e32 v9, 0x4f7ffffe, v9
	v_cvt_u32_f32_e32 v9, v9
	v_mul_lo_u32 v10, v10, v9
	v_mul_hi_u32 v10, v9, v10
	v_add_u32_e32 v9, v9, v10
	v_mul_hi_u32 v9, s8, v9
	v_mul_lo_u32 v10, v9, v11
	v_add_u32_e32 v12, 1, v9
	v_sub_u32_e32 v10, s8, v10
	v_sub_u32_e32 v18, v10, v11
	v_cmp_ge_u32_e32 vcc, v10, v11
	v_cndmask_b32_e32 v10, v10, v18, vcc
	v_cndmask_b32_e32 v9, v9, v12, vcc
	v_add_u32_e32 v12, 1, v9
	v_cmp_ge_u32_e32 vcc, v10, v11
	v_cndmask_b32_e32 v9, v9, v12, vcc
	v_mov_b32_e32 v10, v17
	s_branch .LBB58_3
.LBB58_20:
	s_or_b64 exec, exec, s[18:19]
	s_mov_b64 s[0:1], 0
.LBB58_21:
	s_andn2_b64 vcc, exec, s[0:1]
	s_cbranch_vccnz .LBB58_51
; %bb.22:
	v_cmp_lt_i64_e64 s[0:1], s[14:15], 1
	s_and_b64 vcc, exec, s[0:1]
	s_cbranch_vccnz .LBB58_51
; %bb.23:
	v_mov_b32_e32 v2, 0x10000
	s_load_dword s16, s[4:5], 0xc04
	v_mov_b32_e32 v3, 0
	v_cmp_lt_i64_e32 vcc, s[14:15], v[2:3]
	v_mov_b32_e32 v1, 0
	s_and_b64 s[0:1], vcc, exec
	v_cmp_lt_u64_e32 vcc, s[14:15], v[2:3]
	s_cselect_b32 s5, s15, 0
	s_cselect_b32 s4, s14, 0x10000
	s_waitcnt lgkmcnt(0)
	s_and_b32 s24, s16, 0xffff
	s_and_b64 s[0:1], vcc, exec
	s_cselect_b32 s15, s15, 0
	s_cselect_b32 s14, s14, 0x10000
	s_lshl_b32 s25, s24, 1
	s_mul_i32 s26, s24, 3
	s_lshl_b32 s27, s24, 2
	s_mov_b64 s[16:17], 0
	v_mov_b32_e32 v35, s11
	v_mov_b32_e32 v36, s7
	s_ashr_i32 s18, s9, 31
	s_branch .LBB58_25
.LBB58_24:                              ;   in Loop: Header=BB58_25 Depth=1
	s_or_b64 exec, exec, s[0:1]
	s_add_u32 s16, s16, s27
	v_mov_b32_e32 v2, s4
	s_addc_u32 s17, s17, 0
	v_mov_b32_e32 v3, s5
	v_cmp_ge_i64_e32 vcc, s[16:17], v[2:3]
	s_cbranch_vccnz .LBB58_51
.LBB58_25:                              ; =>This Inner Loop Header: Depth=1
	v_mov_b32_e32 v2, s17
	v_add_co_u32_e32 v5, vcc, s16, v0
	v_addc_co_u32_e32 v6, vcc, 0, v2, vcc
	v_cmp_gt_i64_e32 vcc, s[4:5], v[5:6]
	v_mov_b32_e32 v25, 0
	v_mov_b32_e32 v17, 0
	;; [unrolled: 1-line block ×4, first 2 shown]
	s_and_saveexec_b64 s[0:1], vcc
	s_cbranch_execz .LBB58_27
; %bb.26:                               ;   in Loop: Header=BB58_25 Depth=1
	v_lshlrev_b64 v[2:3], 3, v[5:6]
	v_mov_b32_e32 v4, s7
	v_add_co_u32_e32 v7, vcc, s6, v2
	v_addc_co_u32_e32 v8, vcc, v4, v3, vcc
	v_mov_b32_e32 v4, s11
	v_add_co_u32_e32 v2, vcc, s10, v2
	v_addc_co_u32_e32 v3, vcc, v4, v3, vcc
	global_load_dwordx2 v[17:18], v[7:8], off
	global_load_dwordx2 v[25:26], v[2:3], off
.LBB58_27:                              ;   in Loop: Header=BB58_25 Depth=1
	s_or_b64 exec, exec, s[0:1]
	v_add_co_u32_e32 v19, vcc, s24, v5
	v_addc_co_u32_e32 v20, vcc, 0, v6, vcc
	v_lshlrev_b64 v[9:10], 3, v[19:20]
	v_add_co_u32_e32 v2, vcc, s10, v9
	v_addc_co_u32_e32 v3, vcc, v35, v10, vcc
	v_add_co_u32_e32 v7, vcc, s6, v9
	v_addc_co_u32_e32 v8, vcc, v36, v10, vcc
	;; [unrolled: 2-line block ×3, first 2 shown]
	global_load_dwordx2 v[23:24], v[7:8], off
	global_load_dwordx2 v[29:30], v[2:3], off
	v_lshlrev_b64 v[7:8], 3, v[13:14]
	v_add_co_u32_e32 v2, vcc, s10, v7
	v_addc_co_u32_e32 v3, vcc, v35, v8, vcc
	v_add_co_u32_e32 v11, vcc, s6, v7
	v_addc_co_u32_e32 v12, vcc, v36, v8, vcc
	global_load_dwordx2 v[21:22], v[11:12], off
	global_load_dwordx2 v[33:34], v[2:3], off
	v_add_co_u32_e32 v11, vcc, s26, v5
	v_addc_co_u32_e32 v12, vcc, 0, v6, vcc
	v_lshlrev_b64 v[3:4], 3, v[11:12]
	v_add_co_u32_e32 v27, vcc, s10, v3
	v_addc_co_u32_e32 v28, vcc, v35, v4, vcc
	v_add_co_u32_e32 v37, vcc, s6, v3
	v_addc_co_u32_e32 v38, vcc, v36, v4, vcc
	global_load_dwordx2 v[15:16], v[37:38], off
	global_load_dwordx2 v[31:32], v[27:28], off
                                        ; implicit-def: $vgpr27_vgpr28
	s_waitcnt vmcnt(4)
	v_or_b32_e32 v2, s9, v30
	v_cmp_ne_u64_e32 vcc, 0, v[1:2]
	s_and_saveexec_b64 s[0:1], vcc
	s_xor_b64 s[20:21], exec, s[0:1]
	s_cbranch_execz .LBB58_29
; %bb.28:                               ;   in Loop: Header=BB58_25 Depth=1
	v_ashrrev_i32_e32 v2, 31, v30
	v_add_co_u32_e32 v27, vcc, v29, v2
	v_addc_co_u32_e32 v28, vcc, v30, v2, vcc
	v_xor_b32_e32 v41, v28, v2
	v_xor_b32_e32 v42, v27, v2
	v_cvt_f32_u32_e32 v27, v42
	v_cvt_f32_u32_e32 v28, v41
	v_sub_co_u32_e32 v37, vcc, 0, v42
	v_subb_co_u32_e32 v40, vcc, 0, v41, vcc
	v_mac_f32_e32 v27, 0x4f800000, v28
	v_rcp_f32_e32 v27, v27
	s_mov_b32 s19, s18
	v_xor_b32_e32 v2, s18, v2
	v_mul_f32_e32 v27, 0x5f7ffffc, v27
	v_mul_f32_e32 v28, 0x2f800000, v27
	v_trunc_f32_e32 v28, v28
	v_mac_f32_e32 v27, 0xcf800000, v28
	v_cvt_u32_f32_e32 v38, v27
	v_cvt_u32_f32_e32 v39, v28
	v_mul_lo_u32 v29, v40, v38
	v_mul_lo_u32 v30, v37, v39
	v_mad_u64_u32 v[27:28], s[0:1], v37, v38, 0
	v_add3_u32 v30, v28, v30, v29
	v_mul_hi_u32 v43, v38, v27
	v_mad_u64_u32 v[28:29], s[0:1], v38, v30, 0
	v_add_co_u32_e32 v43, vcc, v43, v28
	v_mad_u64_u32 v[27:28], s[0:1], v39, v27, 0
	v_addc_co_u32_e32 v44, vcc, 0, v29, vcc
	v_mad_u64_u32 v[29:30], s[0:1], v39, v30, 0
	v_add_co_u32_e32 v27, vcc, v43, v27
	v_addc_co_u32_e32 v27, vcc, v44, v28, vcc
	v_addc_co_u32_e32 v28, vcc, 0, v30, vcc
	v_add_co_u32_e32 v27, vcc, v27, v29
	v_addc_co_u32_e32 v28, vcc, 0, v28, vcc
	v_add_co_u32_e32 v30, vcc, v38, v27
	v_addc_co_u32_e32 v43, vcc, v39, v28, vcc
	v_mul_lo_u32 v29, v37, v43
	v_mul_lo_u32 v38, v40, v30
	v_mad_u64_u32 v[27:28], s[0:1], v37, v30, 0
	v_add3_u32 v37, v28, v29, v38
	v_mad_u64_u32 v[28:29], s[0:1], v43, v37, 0
	v_mad_u64_u32 v[37:38], s[0:1], v30, v37, 0
	v_mul_hi_u32 v44, v30, v27
	v_mad_u64_u32 v[39:40], s[0:1], v43, v27, 0
	s_add_u32 s0, s8, s18
	v_add_co_u32_e32 v27, vcc, v44, v37
	v_addc_co_u32_e32 v37, vcc, 0, v38, vcc
	v_add_co_u32_e32 v27, vcc, v27, v39
	v_addc_co_u32_e32 v27, vcc, v37, v40, vcc
	v_addc_co_u32_e32 v29, vcc, 0, v29, vcc
	v_add_co_u32_e32 v27, vcc, v27, v28
	v_addc_co_u32_e32 v28, vcc, 0, v29, vcc
	v_add_co_u32_e32 v29, vcc, v30, v27
	s_addc_u32 s1, s9, s18
	v_addc_co_u32_e32 v30, vcc, v43, v28, vcc
	s_xor_b64 s[22:23], s[0:1], s[18:19]
	v_mad_u64_u32 v[27:28], s[0:1], s22, v30, 0
	v_mul_hi_u32 v37, s22, v29
	v_add_co_u32_e32 v37, vcc, v37, v27
	v_addc_co_u32_e32 v38, vcc, 0, v28, vcc
	v_mad_u64_u32 v[27:28], s[0:1], s23, v29, 0
	v_mad_u64_u32 v[29:30], s[0:1], s23, v30, 0
	v_add_co_u32_e32 v27, vcc, v37, v27
	v_addc_co_u32_e32 v27, vcc, v38, v28, vcc
	v_addc_co_u32_e32 v28, vcc, 0, v30, vcc
	v_add_co_u32_e32 v29, vcc, v27, v29
	v_addc_co_u32_e32 v30, vcc, 0, v28, vcc
	v_mul_lo_u32 v37, v41, v29
	v_mul_lo_u32 v38, v42, v30
	v_mad_u64_u32 v[27:28], s[0:1], v42, v29, 0
	v_add3_u32 v28, v28, v38, v37
	v_sub_u32_e32 v37, s23, v28
	v_sub_co_u32_e32 v27, vcc, s22, v27
	v_subb_co_u32_e64 v37, s[0:1], v37, v41, vcc
	v_sub_co_u32_e64 v38, s[0:1], v27, v42
	v_subbrev_co_u32_e64 v37, s[0:1], 0, v37, s[0:1]
	v_cmp_ge_u32_e64 s[0:1], v37, v41
	v_cndmask_b32_e64 v39, 0, -1, s[0:1]
	v_cmp_ge_u32_e64 s[0:1], v38, v42
	v_cndmask_b32_e64 v38, 0, -1, s[0:1]
	v_cmp_eq_u32_e64 s[0:1], v37, v41
	v_cndmask_b32_e64 v37, v39, v38, s[0:1]
	v_add_co_u32_e64 v38, s[0:1], 2, v29
	v_addc_co_u32_e64 v39, s[0:1], 0, v30, s[0:1]
	v_add_co_u32_e64 v40, s[0:1], 1, v29
	v_addc_co_u32_e64 v43, s[0:1], 0, v30, s[0:1]
	v_cmp_ne_u32_e64 s[0:1], 0, v37
	v_cndmask_b32_e64 v37, v43, v39, s[0:1]
	v_mov_b32_e32 v39, s23
	v_subb_co_u32_e32 v28, vcc, v39, v28, vcc
	v_cmp_ge_u32_e32 vcc, v28, v41
	v_cndmask_b32_e64 v39, 0, -1, vcc
	v_cmp_ge_u32_e32 vcc, v27, v42
	v_cndmask_b32_e64 v27, 0, -1, vcc
	v_cmp_eq_u32_e32 vcc, v28, v41
	v_cndmask_b32_e32 v27, v39, v27, vcc
	v_cmp_ne_u32_e32 vcc, 0, v27
	v_cndmask_b32_e64 v28, v40, v38, s[0:1]
	v_cndmask_b32_e32 v27, v30, v37, vcc
	v_cndmask_b32_e32 v28, v29, v28, vcc
	v_xor_b32_e32 v29, v27, v2
	v_xor_b32_e32 v27, v28, v2
	v_sub_co_u32_e32 v27, vcc, v27, v2
	v_subb_co_u32_e32 v28, vcc, v29, v2, vcc
                                        ; implicit-def: $vgpr29_vgpr30
.LBB58_29:                              ;   in Loop: Header=BB58_25 Depth=1
	s_andn2_saveexec_b64 s[0:1], s[20:21]
	s_cbranch_execz .LBB58_31
; %bb.30:                               ;   in Loop: Header=BB58_25 Depth=1
	v_cvt_f32_u32_e32 v2, v29
	v_sub_u32_e32 v27, 0, v29
	v_rcp_iflag_f32_e32 v2, v2
	v_mul_f32_e32 v2, 0x4f7ffffe, v2
	v_cvt_u32_f32_e32 v2, v2
	v_mul_lo_u32 v27, v27, v2
	v_mul_hi_u32 v27, v2, v27
	v_add_u32_e32 v2, v2, v27
	v_mul_hi_u32 v2, s8, v2
	v_mul_lo_u32 v27, v2, v29
	v_add_u32_e32 v28, 1, v2
	v_sub_u32_e32 v27, s8, v27
	v_sub_u32_e32 v30, v27, v29
	v_cmp_ge_u32_e32 vcc, v27, v29
	v_cndmask_b32_e32 v27, v27, v30, vcc
	v_cndmask_b32_e32 v2, v2, v28, vcc
	v_add_u32_e32 v28, 1, v2
	v_cmp_ge_u32_e32 vcc, v27, v29
	v_cndmask_b32_e32 v27, v2, v28, vcc
	v_mov_b32_e32 v28, v1
.LBB58_31:                              ;   in Loop: Header=BB58_25 Depth=1
	s_or_b64 exec, exec, s[0:1]
	s_waitcnt vmcnt(2)
	v_or_b32_e32 v2, s9, v34
	v_cmp_ne_u64_e32 vcc, 0, v[1:2]
                                        ; implicit-def: $vgpr29_vgpr30
	s_and_saveexec_b64 s[0:1], vcc
	s_xor_b64 s[20:21], exec, s[0:1]
	s_cbranch_execz .LBB58_33
; %bb.32:                               ;   in Loop: Header=BB58_25 Depth=1
	v_ashrrev_i32_e32 v2, 31, v34
	v_add_co_u32_e32 v29, vcc, v33, v2
	v_addc_co_u32_e32 v30, vcc, v34, v2, vcc
	v_xor_b32_e32 v39, v30, v2
	v_xor_b32_e32 v40, v29, v2
	v_cvt_f32_u32_e32 v29, v40
	v_cvt_f32_u32_e32 v30, v39
	v_sub_co_u32_e32 v38, vcc, 0, v40
	v_subb_co_u32_e32 v41, vcc, 0, v39, vcc
	v_mac_f32_e32 v29, 0x4f800000, v30
	v_rcp_f32_e32 v29, v29
	s_mov_b32 s19, s18
	v_xor_b32_e32 v2, s18, v2
	v_mul_f32_e32 v29, 0x5f7ffffc, v29
	v_mul_f32_e32 v30, 0x2f800000, v29
	v_trunc_f32_e32 v30, v30
	v_mac_f32_e32 v29, 0xcf800000, v30
	v_cvt_u32_f32_e32 v37, v29
	v_cvt_u32_f32_e32 v42, v30
	v_mul_lo_u32 v33, v41, v37
	v_mad_u64_u32 v[29:30], s[0:1], v38, v37, 0
	v_mul_lo_u32 v34, v38, v42
	v_add3_u32 v43, v30, v34, v33
	v_mad_u64_u32 v[33:34], s[0:1], v37, v43, 0
	v_mul_hi_u32 v30, v37, v29
	v_add_co_u32_e32 v44, vcc, v30, v33
	v_mad_u64_u32 v[29:30], s[0:1], v42, v29, 0
	v_addc_co_u32_e32 v45, vcc, 0, v34, vcc
	v_mad_u64_u32 v[33:34], s[0:1], v42, v43, 0
	v_add_co_u32_e32 v29, vcc, v44, v29
	v_addc_co_u32_e32 v29, vcc, v45, v30, vcc
	v_addc_co_u32_e32 v30, vcc, 0, v34, vcc
	v_add_co_u32_e32 v29, vcc, v29, v33
	v_addc_co_u32_e32 v30, vcc, 0, v30, vcc
	v_add_co_u32_e32 v43, vcc, v37, v29
	v_addc_co_u32_e32 v42, vcc, v42, v30, vcc
	v_mul_lo_u32 v33, v38, v42
	v_mul_lo_u32 v34, v41, v43
	v_mad_u64_u32 v[29:30], s[0:1], v38, v43, 0
	v_add3_u32 v30, v30, v33, v34
	v_mad_u64_u32 v[37:38], s[0:1], v43, v30, 0
	v_mul_hi_u32 v41, v43, v29
	v_mad_u64_u32 v[33:34], s[0:1], v42, v30, 0
	v_mad_u64_u32 v[29:30], s[0:1], v42, v29, 0
	v_add_co_u32_e32 v37, vcc, v41, v37
	v_addc_co_u32_e32 v38, vcc, 0, v38, vcc
	v_add_co_u32_e32 v29, vcc, v37, v29
	v_addc_co_u32_e32 v29, vcc, v38, v30, vcc
	v_addc_co_u32_e32 v30, vcc, 0, v34, vcc
	v_add_co_u32_e32 v29, vcc, v29, v33
	v_addc_co_u32_e32 v30, vcc, 0, v30, vcc
	s_add_u32 s0, s8, s18
	v_add_co_u32_e32 v33, vcc, v43, v29
	s_addc_u32 s1, s9, s18
	v_addc_co_u32_e32 v34, vcc, v42, v30, vcc
	s_xor_b64 s[22:23], s[0:1], s[18:19]
	v_mad_u64_u32 v[29:30], s[0:1], s22, v34, 0
	v_mul_hi_u32 v37, s22, v33
	v_add_co_u32_e32 v37, vcc, v37, v29
	v_addc_co_u32_e32 v38, vcc, 0, v30, vcc
	v_mad_u64_u32 v[29:30], s[0:1], s23, v33, 0
	v_mad_u64_u32 v[33:34], s[0:1], s23, v34, 0
	v_add_co_u32_e32 v29, vcc, v37, v29
	v_addc_co_u32_e32 v29, vcc, v38, v30, vcc
	v_addc_co_u32_e32 v30, vcc, 0, v34, vcc
	v_add_co_u32_e32 v33, vcc, v29, v33
	v_addc_co_u32_e32 v34, vcc, 0, v30, vcc
	v_mul_lo_u32 v37, v39, v33
	v_mul_lo_u32 v38, v40, v34
	v_mad_u64_u32 v[29:30], s[0:1], v40, v33, 0
	v_add3_u32 v30, v30, v38, v37
	v_sub_u32_e32 v37, s23, v30
	v_sub_co_u32_e32 v29, vcc, s22, v29
	v_subb_co_u32_e64 v37, s[0:1], v37, v39, vcc
	v_sub_co_u32_e64 v38, s[0:1], v29, v40
	v_subbrev_co_u32_e64 v37, s[0:1], 0, v37, s[0:1]
	v_cmp_ge_u32_e64 s[0:1], v37, v39
	v_cndmask_b32_e64 v41, 0, -1, s[0:1]
	v_cmp_ge_u32_e64 s[0:1], v38, v40
	v_cndmask_b32_e64 v38, 0, -1, s[0:1]
	v_cmp_eq_u32_e64 s[0:1], v37, v39
	v_cndmask_b32_e64 v37, v41, v38, s[0:1]
	v_add_co_u32_e64 v38, s[0:1], 2, v33
	v_addc_co_u32_e64 v41, s[0:1], 0, v34, s[0:1]
	v_add_co_u32_e64 v42, s[0:1], 1, v33
	v_addc_co_u32_e64 v43, s[0:1], 0, v34, s[0:1]
	v_cmp_ne_u32_e64 s[0:1], 0, v37
	v_cndmask_b32_e64 v37, v43, v41, s[0:1]
	v_mov_b32_e32 v41, s23
	v_subb_co_u32_e32 v30, vcc, v41, v30, vcc
	v_cmp_ge_u32_e32 vcc, v30, v39
	v_cndmask_b32_e64 v41, 0, -1, vcc
	v_cmp_ge_u32_e32 vcc, v29, v40
	v_cndmask_b32_e64 v29, 0, -1, vcc
	v_cmp_eq_u32_e32 vcc, v30, v39
	v_cndmask_b32_e32 v29, v41, v29, vcc
	v_cmp_ne_u32_e32 vcc, 0, v29
	v_cndmask_b32_e64 v30, v42, v38, s[0:1]
	v_cndmask_b32_e32 v29, v34, v37, vcc
	v_cndmask_b32_e32 v30, v33, v30, vcc
	v_xor_b32_e32 v33, v29, v2
	v_xor_b32_e32 v29, v30, v2
	v_sub_co_u32_e32 v29, vcc, v29, v2
	v_subb_co_u32_e32 v30, vcc, v33, v2, vcc
                                        ; implicit-def: $vgpr33_vgpr34
.LBB58_33:                              ;   in Loop: Header=BB58_25 Depth=1
	s_andn2_saveexec_b64 s[0:1], s[20:21]
	s_cbranch_execz .LBB58_35
; %bb.34:                               ;   in Loop: Header=BB58_25 Depth=1
	v_cvt_f32_u32_e32 v2, v33
	v_sub_u32_e32 v29, 0, v33
	v_rcp_iflag_f32_e32 v2, v2
	v_mul_f32_e32 v2, 0x4f7ffffe, v2
	v_cvt_u32_f32_e32 v2, v2
	v_mul_lo_u32 v29, v29, v2
	v_mul_hi_u32 v29, v2, v29
	v_add_u32_e32 v2, v2, v29
	v_mul_hi_u32 v2, s8, v2
	v_mul_lo_u32 v29, v2, v33
	v_add_u32_e32 v30, 1, v2
	v_sub_u32_e32 v29, s8, v29
	v_sub_u32_e32 v34, v29, v33
	v_cmp_ge_u32_e32 vcc, v29, v33
	v_cndmask_b32_e32 v29, v29, v34, vcc
	v_cndmask_b32_e32 v2, v2, v30, vcc
	v_add_u32_e32 v30, 1, v2
	v_cmp_ge_u32_e32 vcc, v29, v33
	v_cndmask_b32_e32 v29, v2, v30, vcc
	v_mov_b32_e32 v30, v1
.LBB58_35:                              ;   in Loop: Header=BB58_25 Depth=1
	s_or_b64 exec, exec, s[0:1]
	s_waitcnt vmcnt(0)
	v_or_b32_e32 v2, s9, v32
	v_cmp_ne_u64_e32 vcc, 0, v[1:2]
                                        ; implicit-def: $vgpr33_vgpr34
	s_and_saveexec_b64 s[0:1], vcc
	s_xor_b64 s[20:21], exec, s[0:1]
	s_cbranch_execnz .LBB58_41
; %bb.36:                               ;   in Loop: Header=BB58_25 Depth=1
	s_andn2_saveexec_b64 s[0:1], s[20:21]
	s_cbranch_execnz .LBB58_42
.LBB58_37:                              ;   in Loop: Header=BB58_25 Depth=1
	s_or_b64 exec, exec, s[0:1]
	v_cmp_gt_u64_e32 vcc, s[14:15], v[5:6]
	s_and_saveexec_b64 s[20:21], vcc
	s_cbranch_execnz .LBB58_43
.LBB58_38:                              ;   in Loop: Header=BB58_25 Depth=1
	s_or_b64 exec, exec, s[20:21]
	v_cmp_gt_u64_e32 vcc, s[14:15], v[19:20]
	s_and_saveexec_b64 s[0:1], vcc
	s_cbranch_execnz .LBB58_48
.LBB58_39:                              ;   in Loop: Header=BB58_25 Depth=1
	s_or_b64 exec, exec, s[0:1]
	v_cmp_gt_u64_e32 vcc, s[14:15], v[13:14]
	s_and_saveexec_b64 s[0:1], vcc
	s_cbranch_execnz .LBB58_49
.LBB58_40:                              ;   in Loop: Header=BB58_25 Depth=1
	s_or_b64 exec, exec, s[0:1]
	v_cmp_gt_u64_e32 vcc, s[14:15], v[11:12]
	s_and_saveexec_b64 s[0:1], vcc
	s_cbranch_execz .LBB58_24
	s_branch .LBB58_50
.LBB58_41:                              ;   in Loop: Header=BB58_25 Depth=1
	v_ashrrev_i32_e32 v2, 31, v32
	v_add_co_u32_e32 v31, vcc, v31, v2
	v_addc_co_u32_e32 v32, vcc, v32, v2, vcc
	v_xor_b32_e32 v41, v32, v2
	v_xor_b32_e32 v42, v31, v2
	v_cvt_f32_u32_e32 v31, v42
	v_cvt_f32_u32_e32 v32, v41
	v_sub_co_u32_e32 v38, vcc, 0, v42
	v_subb_co_u32_e32 v39, vcc, 0, v41, vcc
	v_mac_f32_e32 v31, 0x4f800000, v32
	v_rcp_f32_e32 v31, v31
	s_mov_b32 s19, s18
	v_xor_b32_e32 v2, s18, v2
	v_mul_f32_e32 v31, 0x5f7ffffc, v31
	v_mul_f32_e32 v32, 0x2f800000, v31
	v_trunc_f32_e32 v32, v32
	v_mac_f32_e32 v31, 0xcf800000, v32
	v_cvt_u32_f32_e32 v37, v31
	v_cvt_u32_f32_e32 v40, v32
	v_mul_lo_u32 v33, v39, v37
	v_mad_u64_u32 v[31:32], s[0:1], v38, v37, 0
	v_mul_lo_u32 v34, v38, v40
	v_mul_hi_u32 v43, v37, v31
	v_add3_u32 v34, v32, v34, v33
	v_mad_u64_u32 v[32:33], s[0:1], v37, v34, 0
	v_add_co_u32_e32 v43, vcc, v43, v32
	v_mad_u64_u32 v[31:32], s[0:1], v40, v31, 0
	v_addc_co_u32_e32 v44, vcc, 0, v33, vcc
	v_mad_u64_u32 v[33:34], s[0:1], v40, v34, 0
	v_add_co_u32_e32 v31, vcc, v43, v31
	v_addc_co_u32_e32 v31, vcc, v44, v32, vcc
	v_addc_co_u32_e32 v32, vcc, 0, v34, vcc
	v_add_co_u32_e32 v31, vcc, v31, v33
	v_addc_co_u32_e32 v32, vcc, 0, v32, vcc
	v_add_co_u32_e32 v34, vcc, v37, v31
	v_addc_co_u32_e32 v43, vcc, v40, v32, vcc
	v_mul_lo_u32 v33, v38, v43
	v_mul_lo_u32 v37, v39, v34
	v_mad_u64_u32 v[31:32], s[0:1], v38, v34, 0
	v_add3_u32 v37, v32, v33, v37
	v_mad_u64_u32 v[32:33], s[0:1], v43, v37, 0
	v_mad_u64_u32 v[37:38], s[0:1], v34, v37, 0
	v_mul_hi_u32 v44, v34, v31
	v_mad_u64_u32 v[39:40], s[0:1], v43, v31, 0
	s_add_u32 s0, s8, s18
	v_add_co_u32_e32 v31, vcc, v44, v37
	v_addc_co_u32_e32 v37, vcc, 0, v38, vcc
	v_add_co_u32_e32 v31, vcc, v31, v39
	v_addc_co_u32_e32 v31, vcc, v37, v40, vcc
	v_addc_co_u32_e32 v33, vcc, 0, v33, vcc
	v_add_co_u32_e32 v31, vcc, v31, v32
	v_addc_co_u32_e32 v32, vcc, 0, v33, vcc
	v_add_co_u32_e32 v33, vcc, v34, v31
	s_addc_u32 s1, s9, s18
	v_addc_co_u32_e32 v34, vcc, v43, v32, vcc
	s_xor_b64 s[22:23], s[0:1], s[18:19]
	v_mad_u64_u32 v[31:32], s[0:1], s22, v34, 0
	v_mul_hi_u32 v37, s22, v33
	v_add_co_u32_e32 v37, vcc, v37, v31
	v_addc_co_u32_e32 v38, vcc, 0, v32, vcc
	v_mad_u64_u32 v[31:32], s[0:1], s23, v33, 0
	v_mad_u64_u32 v[33:34], s[0:1], s23, v34, 0
	v_add_co_u32_e32 v31, vcc, v37, v31
	v_addc_co_u32_e32 v31, vcc, v38, v32, vcc
	v_addc_co_u32_e32 v32, vcc, 0, v34, vcc
	v_add_co_u32_e32 v33, vcc, v31, v33
	v_addc_co_u32_e32 v34, vcc, 0, v32, vcc
	v_mul_lo_u32 v37, v41, v33
	v_mul_lo_u32 v38, v42, v34
	v_mad_u64_u32 v[31:32], s[0:1], v42, v33, 0
	v_add3_u32 v32, v32, v38, v37
	v_sub_u32_e32 v37, s23, v32
	v_sub_co_u32_e32 v31, vcc, s22, v31
	v_subb_co_u32_e64 v37, s[0:1], v37, v41, vcc
	v_sub_co_u32_e64 v38, s[0:1], v31, v42
	v_subbrev_co_u32_e64 v37, s[0:1], 0, v37, s[0:1]
	v_cmp_ge_u32_e64 s[0:1], v37, v41
	v_cndmask_b32_e64 v39, 0, -1, s[0:1]
	v_cmp_ge_u32_e64 s[0:1], v38, v42
	v_cndmask_b32_e64 v38, 0, -1, s[0:1]
	v_cmp_eq_u32_e64 s[0:1], v37, v41
	v_cndmask_b32_e64 v37, v39, v38, s[0:1]
	v_add_co_u32_e64 v38, s[0:1], 2, v33
	v_addc_co_u32_e64 v39, s[0:1], 0, v34, s[0:1]
	v_add_co_u32_e64 v40, s[0:1], 1, v33
	v_addc_co_u32_e64 v43, s[0:1], 0, v34, s[0:1]
	v_cmp_ne_u32_e64 s[0:1], 0, v37
	v_cndmask_b32_e64 v37, v43, v39, s[0:1]
	v_mov_b32_e32 v39, s23
	v_subb_co_u32_e32 v32, vcc, v39, v32, vcc
	v_cmp_ge_u32_e32 vcc, v32, v41
	v_cndmask_b32_e64 v39, 0, -1, vcc
	v_cmp_ge_u32_e32 vcc, v31, v42
	v_cndmask_b32_e64 v31, 0, -1, vcc
	v_cmp_eq_u32_e32 vcc, v32, v41
	v_cndmask_b32_e32 v31, v39, v31, vcc
	v_cmp_ne_u32_e32 vcc, 0, v31
	v_cndmask_b32_e64 v32, v40, v38, s[0:1]
	v_cndmask_b32_e32 v32, v33, v32, vcc
	v_cndmask_b32_e32 v31, v34, v37, vcc
	v_xor_b32_e32 v32, v32, v2
	v_xor_b32_e32 v31, v31, v2
	v_sub_co_u32_e32 v33, vcc, v32, v2
	v_subb_co_u32_e32 v34, vcc, v31, v2, vcc
                                        ; implicit-def: $vgpr31_vgpr32
	s_andn2_saveexec_b64 s[0:1], s[20:21]
	s_cbranch_execz .LBB58_37
.LBB58_42:                              ;   in Loop: Header=BB58_25 Depth=1
	v_cvt_f32_u32_e32 v2, v31
	v_sub_u32_e32 v32, 0, v31
	v_rcp_iflag_f32_e32 v2, v2
	v_mul_f32_e32 v2, 0x4f7ffffe, v2
	v_cvt_u32_f32_e32 v2, v2
	v_mul_lo_u32 v32, v32, v2
	v_mul_hi_u32 v32, v2, v32
	v_add_u32_e32 v2, v2, v32
	v_mul_hi_u32 v2, s8, v2
	v_mul_lo_u32 v32, v2, v31
	v_add_u32_e32 v33, 1, v2
	v_sub_u32_e32 v32, s8, v32
	v_sub_u32_e32 v34, v32, v31
	v_cmp_ge_u32_e32 vcc, v32, v31
	v_cndmask_b32_e32 v32, v32, v34, vcc
	v_cndmask_b32_e32 v2, v2, v33, vcc
	v_add_u32_e32 v33, 1, v2
	v_cmp_ge_u32_e32 vcc, v32, v31
	v_cndmask_b32_e32 v33, v2, v33, vcc
	v_mov_b32_e32 v34, v1
	s_or_b64 exec, exec, s[0:1]
	v_cmp_gt_u64_e32 vcc, s[14:15], v[5:6]
	s_and_saveexec_b64 s[20:21], vcc
	s_cbranch_execz .LBB58_38
.LBB58_43:                              ;   in Loop: Header=BB58_25 Depth=1
	v_or_b32_e32 v2, s9, v26
	v_cmp_ne_u64_e32 vcc, 0, v[1:2]
                                        ; implicit-def: $vgpr31_vgpr32
	s_and_saveexec_b64 s[0:1], vcc
	s_xor_b64 s[22:23], exec, s[0:1]
	s_cbranch_execz .LBB58_45
; %bb.44:                               ;   in Loop: Header=BB58_25 Depth=1
	v_ashrrev_i32_e32 v2, 31, v26
	v_add_co_u32_e32 v25, vcc, v25, v2
	v_addc_co_u32_e32 v26, vcc, v26, v2, vcc
	v_xor_b32_e32 v39, v26, v2
	v_xor_b32_e32 v40, v25, v2
	v_cvt_f32_u32_e32 v25, v40
	v_cvt_f32_u32_e32 v26, v39
	v_sub_co_u32_e32 v38, vcc, 0, v40
	v_subb_co_u32_e32 v41, vcc, 0, v39, vcc
	v_mac_f32_e32 v25, 0x4f800000, v26
	v_rcp_f32_e32 v25, v25
	s_mov_b32 s19, s18
	v_xor_b32_e32 v2, s18, v2
	v_mul_f32_e32 v25, 0x5f7ffffc, v25
	v_mul_f32_e32 v26, 0x2f800000, v25
	v_trunc_f32_e32 v26, v26
	v_mac_f32_e32 v25, 0xcf800000, v26
	v_cvt_u32_f32_e32 v37, v25
	v_cvt_u32_f32_e32 v42, v26
	v_mul_lo_u32 v31, v41, v37
	v_mad_u64_u32 v[25:26], s[0:1], v38, v37, 0
	v_mul_lo_u32 v32, v38, v42
	v_add3_u32 v43, v26, v32, v31
	v_mad_u64_u32 v[31:32], s[0:1], v37, v43, 0
	v_mul_hi_u32 v26, v37, v25
	v_add_co_u32_e32 v44, vcc, v26, v31
	v_mad_u64_u32 v[25:26], s[0:1], v42, v25, 0
	v_addc_co_u32_e32 v45, vcc, 0, v32, vcc
	v_mad_u64_u32 v[31:32], s[0:1], v42, v43, 0
	v_add_co_u32_e32 v25, vcc, v44, v25
	v_addc_co_u32_e32 v25, vcc, v45, v26, vcc
	v_addc_co_u32_e32 v26, vcc, 0, v32, vcc
	v_add_co_u32_e32 v25, vcc, v25, v31
	v_addc_co_u32_e32 v26, vcc, 0, v26, vcc
	v_add_co_u32_e32 v43, vcc, v37, v25
	v_addc_co_u32_e32 v42, vcc, v42, v26, vcc
	v_mul_lo_u32 v31, v38, v42
	v_mul_lo_u32 v32, v41, v43
	v_mad_u64_u32 v[25:26], s[0:1], v38, v43, 0
	v_add3_u32 v26, v26, v31, v32
	v_mad_u64_u32 v[37:38], s[0:1], v43, v26, 0
	v_mul_hi_u32 v41, v43, v25
	v_mad_u64_u32 v[31:32], s[0:1], v42, v26, 0
	v_mad_u64_u32 v[25:26], s[0:1], v42, v25, 0
	v_add_co_u32_e32 v37, vcc, v41, v37
	v_addc_co_u32_e32 v38, vcc, 0, v38, vcc
	v_add_co_u32_e32 v25, vcc, v37, v25
	v_addc_co_u32_e32 v25, vcc, v38, v26, vcc
	v_addc_co_u32_e32 v26, vcc, 0, v32, vcc
	v_add_co_u32_e32 v25, vcc, v25, v31
	v_addc_co_u32_e32 v26, vcc, 0, v26, vcc
	s_add_u32 s0, s8, s18
	v_add_co_u32_e32 v31, vcc, v43, v25
	s_addc_u32 s1, s9, s18
	v_addc_co_u32_e32 v32, vcc, v42, v26, vcc
	s_xor_b64 s[28:29], s[0:1], s[18:19]
	v_mad_u64_u32 v[25:26], s[0:1], s28, v32, 0
	v_mul_hi_u32 v37, s28, v31
	v_add_co_u32_e32 v37, vcc, v37, v25
	v_addc_co_u32_e32 v38, vcc, 0, v26, vcc
	v_mad_u64_u32 v[25:26], s[0:1], s29, v31, 0
	v_mad_u64_u32 v[31:32], s[0:1], s29, v32, 0
	v_add_co_u32_e32 v25, vcc, v37, v25
	v_addc_co_u32_e32 v25, vcc, v38, v26, vcc
	v_addc_co_u32_e32 v26, vcc, 0, v32, vcc
	v_add_co_u32_e32 v31, vcc, v25, v31
	v_addc_co_u32_e32 v32, vcc, 0, v26, vcc
	v_mul_lo_u32 v37, v39, v31
	v_mul_lo_u32 v38, v40, v32
	v_mad_u64_u32 v[25:26], s[0:1], v40, v31, 0
	v_add3_u32 v26, v26, v38, v37
	v_sub_u32_e32 v37, s29, v26
	v_sub_co_u32_e32 v25, vcc, s28, v25
	v_subb_co_u32_e64 v37, s[0:1], v37, v39, vcc
	v_sub_co_u32_e64 v38, s[0:1], v25, v40
	v_subbrev_co_u32_e64 v37, s[0:1], 0, v37, s[0:1]
	v_cmp_ge_u32_e64 s[0:1], v37, v39
	v_cndmask_b32_e64 v41, 0, -1, s[0:1]
	v_cmp_ge_u32_e64 s[0:1], v38, v40
	v_cndmask_b32_e64 v38, 0, -1, s[0:1]
	v_cmp_eq_u32_e64 s[0:1], v37, v39
	v_cndmask_b32_e64 v37, v41, v38, s[0:1]
	v_add_co_u32_e64 v38, s[0:1], 2, v31
	v_addc_co_u32_e64 v41, s[0:1], 0, v32, s[0:1]
	v_add_co_u32_e64 v42, s[0:1], 1, v31
	v_addc_co_u32_e64 v43, s[0:1], 0, v32, s[0:1]
	v_cmp_ne_u32_e64 s[0:1], 0, v37
	v_cndmask_b32_e64 v37, v43, v41, s[0:1]
	v_mov_b32_e32 v41, s29
	v_subb_co_u32_e32 v26, vcc, v41, v26, vcc
	v_cmp_ge_u32_e32 vcc, v26, v39
	v_cndmask_b32_e64 v41, 0, -1, vcc
	v_cmp_ge_u32_e32 vcc, v25, v40
	v_cndmask_b32_e64 v25, 0, -1, vcc
	v_cmp_eq_u32_e32 vcc, v26, v39
	v_cndmask_b32_e32 v25, v41, v25, vcc
	v_cmp_ne_u32_e32 vcc, 0, v25
	v_cndmask_b32_e64 v26, v42, v38, s[0:1]
	v_cndmask_b32_e32 v26, v31, v26, vcc
	v_cndmask_b32_e32 v25, v32, v37, vcc
	v_xor_b32_e32 v26, v26, v2
	v_xor_b32_e32 v25, v25, v2
	v_sub_co_u32_e32 v31, vcc, v26, v2
	v_subb_co_u32_e32 v32, vcc, v25, v2, vcc
                                        ; implicit-def: $vgpr25_vgpr26
.LBB58_45:                              ;   in Loop: Header=BB58_25 Depth=1
	s_andn2_saveexec_b64 s[0:1], s[22:23]
	s_cbranch_execz .LBB58_47
; %bb.46:                               ;   in Loop: Header=BB58_25 Depth=1
	v_cvt_f32_u32_e32 v2, v25
	v_sub_u32_e32 v26, 0, v25
	v_rcp_iflag_f32_e32 v2, v2
	v_mul_f32_e32 v2, 0x4f7ffffe, v2
	v_cvt_u32_f32_e32 v2, v2
	v_mul_lo_u32 v26, v26, v2
	v_mul_hi_u32 v26, v2, v26
	v_add_u32_e32 v2, v2, v26
	v_mul_hi_u32 v2, s8, v2
	v_mul_lo_u32 v26, v2, v25
	v_add_u32_e32 v31, 1, v2
	v_sub_u32_e32 v26, s8, v26
	v_sub_u32_e32 v32, v26, v25
	v_cmp_ge_u32_e32 vcc, v26, v25
	v_cndmask_b32_e32 v26, v26, v32, vcc
	v_cndmask_b32_e32 v2, v2, v31, vcc
	v_add_u32_e32 v31, 1, v2
	v_cmp_ge_u32_e32 vcc, v26, v25
	v_cndmask_b32_e32 v31, v2, v31, vcc
	v_mov_b32_e32 v32, v1
.LBB58_47:                              ;   in Loop: Header=BB58_25 Depth=1
	s_or_b64 exec, exec, s[0:1]
	v_mad_u64_u32 v[17:18], s[0:1], v31, s2, v[17:18]
	v_mul_lo_u32 v25, v31, s3
	v_mul_lo_u32 v26, v32, s2
	v_lshlrev_b64 v[5:6], 3, v[5:6]
	v_mov_b32_e32 v2, s13
	v_add_co_u32_e32 v5, vcc, s12, v5
	v_addc_co_u32_e32 v6, vcc, v2, v6, vcc
	v_add3_u32 v18, v26, v18, v25
	global_store_dwordx2 v[5:6], v[17:18], off
	s_or_b64 exec, exec, s[20:21]
	v_cmp_gt_u64_e32 vcc, s[14:15], v[19:20]
	s_and_saveexec_b64 s[0:1], vcc
	s_cbranch_execz .LBB58_39
.LBB58_48:                              ;   in Loop: Header=BB58_25 Depth=1
	v_mad_u64_u32 v[5:6], s[20:21], v27, s2, v[23:24]
	v_mul_lo_u32 v2, v27, s3
	v_mul_lo_u32 v17, v28, s2
	v_add_co_u32_e32 v9, vcc, s12, v9
	v_add3_u32 v6, v17, v6, v2
	v_mov_b32_e32 v2, s13
	v_addc_co_u32_e32 v10, vcc, v2, v10, vcc
	global_store_dwordx2 v[9:10], v[5:6], off
	s_or_b64 exec, exec, s[0:1]
	v_cmp_gt_u64_e32 vcc, s[14:15], v[13:14]
	s_and_saveexec_b64 s[0:1], vcc
	s_cbranch_execz .LBB58_40
.LBB58_49:                              ;   in Loop: Header=BB58_25 Depth=1
	v_mad_u64_u32 v[5:6], s[20:21], v29, s2, v[21:22]
	v_mul_lo_u32 v2, v29, s3
	v_mul_lo_u32 v9, v30, s2
	v_add_co_u32_e32 v7, vcc, s12, v7
	v_add3_u32 v6, v9, v6, v2
	v_mov_b32_e32 v2, s13
	v_addc_co_u32_e32 v8, vcc, v2, v8, vcc
	global_store_dwordx2 v[7:8], v[5:6], off
	s_or_b64 exec, exec, s[0:1]
	v_cmp_gt_u64_e32 vcc, s[14:15], v[11:12]
	s_and_saveexec_b64 s[0:1], vcc
	s_cbranch_execz .LBB58_24
.LBB58_50:                              ;   in Loop: Header=BB58_25 Depth=1
	v_mad_u64_u32 v[5:6], s[20:21], v33, s2, v[15:16]
	v_mul_lo_u32 v2, v33, s3
	v_mul_lo_u32 v7, v34, s2
	v_add3_u32 v6, v7, v6, v2
	v_mov_b32_e32 v7, s13
	v_add_co_u32_e32 v2, vcc, s12, v3
	v_addc_co_u32_e32 v3, vcc, v7, v4, vcc
	global_store_dwordx2 v[2:3], v[5:6], off
	s_branch .LBB58_24
.LBB58_51:
	s_endpgm
	.section	.rodata,"a",@progbits
	.p2align	6, 0x0
	.amdhsa_kernel _ZN2at6native12_GLOBAL__N_125multi_tensor_apply_kernelINS1_18TensorListMetadataILi4EEENS1_32PointwiseOpScalar0dTensorFunctorIlLi4ELi2ELi3EEEJSt7dividesIlElEEEvT_T0_DpT1_
		.amdhsa_group_segment_fixed_size 0
		.amdhsa_private_segment_fixed_size 0
		.amdhsa_kernarg_size 3320
		.amdhsa_user_sgpr_count 6
		.amdhsa_user_sgpr_private_segment_buffer 1
		.amdhsa_user_sgpr_dispatch_ptr 0
		.amdhsa_user_sgpr_queue_ptr 0
		.amdhsa_user_sgpr_kernarg_segment_ptr 1
		.amdhsa_user_sgpr_dispatch_id 0
		.amdhsa_user_sgpr_flat_scratch_init 0
		.amdhsa_user_sgpr_private_segment_size 0
		.amdhsa_uses_dynamic_stack 0
		.amdhsa_system_sgpr_private_segment_wavefront_offset 0
		.amdhsa_system_sgpr_workgroup_id_x 1
		.amdhsa_system_sgpr_workgroup_id_y 0
		.amdhsa_system_sgpr_workgroup_id_z 0
		.amdhsa_system_sgpr_workgroup_info 0
		.amdhsa_system_vgpr_workitem_id 0
		.amdhsa_next_free_vgpr 46
		.amdhsa_next_free_sgpr 38
		.amdhsa_reserve_vcc 1
		.amdhsa_reserve_flat_scratch 0
		.amdhsa_float_round_mode_32 0
		.amdhsa_float_round_mode_16_64 0
		.amdhsa_float_denorm_mode_32 3
		.amdhsa_float_denorm_mode_16_64 3
		.amdhsa_dx10_clamp 1
		.amdhsa_ieee_mode 1
		.amdhsa_fp16_overflow 0
		.amdhsa_exception_fp_ieee_invalid_op 0
		.amdhsa_exception_fp_denorm_src 0
		.amdhsa_exception_fp_ieee_div_zero 0
		.amdhsa_exception_fp_ieee_overflow 0
		.amdhsa_exception_fp_ieee_underflow 0
		.amdhsa_exception_fp_ieee_inexact 0
		.amdhsa_exception_int_div_zero 0
	.end_amdhsa_kernel
	.section	.text._ZN2at6native12_GLOBAL__N_125multi_tensor_apply_kernelINS1_18TensorListMetadataILi4EEENS1_32PointwiseOpScalar0dTensorFunctorIlLi4ELi2ELi3EEEJSt7dividesIlElEEEvT_T0_DpT1_,"axG",@progbits,_ZN2at6native12_GLOBAL__N_125multi_tensor_apply_kernelINS1_18TensorListMetadataILi4EEENS1_32PointwiseOpScalar0dTensorFunctorIlLi4ELi2ELi3EEEJSt7dividesIlElEEEvT_T0_DpT1_,comdat
.Lfunc_end58:
	.size	_ZN2at6native12_GLOBAL__N_125multi_tensor_apply_kernelINS1_18TensorListMetadataILi4EEENS1_32PointwiseOpScalar0dTensorFunctorIlLi4ELi2ELi3EEEJSt7dividesIlElEEEvT_T0_DpT1_, .Lfunc_end58-_ZN2at6native12_GLOBAL__N_125multi_tensor_apply_kernelINS1_18TensorListMetadataILi4EEENS1_32PointwiseOpScalar0dTensorFunctorIlLi4ELi2ELi3EEEJSt7dividesIlElEEEvT_T0_DpT1_
                                        ; -- End function
	.set _ZN2at6native12_GLOBAL__N_125multi_tensor_apply_kernelINS1_18TensorListMetadataILi4EEENS1_32PointwiseOpScalar0dTensorFunctorIlLi4ELi2ELi3EEEJSt7dividesIlElEEEvT_T0_DpT1_.num_vgpr, 46
	.set _ZN2at6native12_GLOBAL__N_125multi_tensor_apply_kernelINS1_18TensorListMetadataILi4EEENS1_32PointwiseOpScalar0dTensorFunctorIlLi4ELi2ELi3EEEJSt7dividesIlElEEEvT_T0_DpT1_.num_agpr, 0
	.set _ZN2at6native12_GLOBAL__N_125multi_tensor_apply_kernelINS1_18TensorListMetadataILi4EEENS1_32PointwiseOpScalar0dTensorFunctorIlLi4ELi2ELi3EEEJSt7dividesIlElEEEvT_T0_DpT1_.numbered_sgpr, 38
	.set _ZN2at6native12_GLOBAL__N_125multi_tensor_apply_kernelINS1_18TensorListMetadataILi4EEENS1_32PointwiseOpScalar0dTensorFunctorIlLi4ELi2ELi3EEEJSt7dividesIlElEEEvT_T0_DpT1_.num_named_barrier, 0
	.set _ZN2at6native12_GLOBAL__N_125multi_tensor_apply_kernelINS1_18TensorListMetadataILi4EEENS1_32PointwiseOpScalar0dTensorFunctorIlLi4ELi2ELi3EEEJSt7dividesIlElEEEvT_T0_DpT1_.private_seg_size, 0
	.set _ZN2at6native12_GLOBAL__N_125multi_tensor_apply_kernelINS1_18TensorListMetadataILi4EEENS1_32PointwiseOpScalar0dTensorFunctorIlLi4ELi2ELi3EEEJSt7dividesIlElEEEvT_T0_DpT1_.uses_vcc, 1
	.set _ZN2at6native12_GLOBAL__N_125multi_tensor_apply_kernelINS1_18TensorListMetadataILi4EEENS1_32PointwiseOpScalar0dTensorFunctorIlLi4ELi2ELi3EEEJSt7dividesIlElEEEvT_T0_DpT1_.uses_flat_scratch, 0
	.set _ZN2at6native12_GLOBAL__N_125multi_tensor_apply_kernelINS1_18TensorListMetadataILi4EEENS1_32PointwiseOpScalar0dTensorFunctorIlLi4ELi2ELi3EEEJSt7dividesIlElEEEvT_T0_DpT1_.has_dyn_sized_stack, 0
	.set _ZN2at6native12_GLOBAL__N_125multi_tensor_apply_kernelINS1_18TensorListMetadataILi4EEENS1_32PointwiseOpScalar0dTensorFunctorIlLi4ELi2ELi3EEEJSt7dividesIlElEEEvT_T0_DpT1_.has_recursion, 0
	.set _ZN2at6native12_GLOBAL__N_125multi_tensor_apply_kernelINS1_18TensorListMetadataILi4EEENS1_32PointwiseOpScalar0dTensorFunctorIlLi4ELi2ELi3EEEJSt7dividesIlElEEEvT_T0_DpT1_.has_indirect_call, 0
	.section	.AMDGPU.csdata,"",@progbits
; Kernel info:
; codeLenInByte = 7292
; TotalNumSgprs: 42
; NumVgprs: 46
; ScratchSize: 0
; MemoryBound: 0
; FloatMode: 240
; IeeeMode: 1
; LDSByteSize: 0 bytes/workgroup (compile time only)
; SGPRBlocks: 5
; VGPRBlocks: 11
; NumSGPRsForWavesPerEU: 42
; NumVGPRsForWavesPerEU: 46
; Occupancy: 5
; WaveLimiterHint : 0
; COMPUTE_PGM_RSRC2:SCRATCH_EN: 0
; COMPUTE_PGM_RSRC2:USER_SGPR: 6
; COMPUTE_PGM_RSRC2:TRAP_HANDLER: 0
; COMPUTE_PGM_RSRC2:TGID_X_EN: 1
; COMPUTE_PGM_RSRC2:TGID_Y_EN: 0
; COMPUTE_PGM_RSRC2:TGID_Z_EN: 0
; COMPUTE_PGM_RSRC2:TIDIG_COMP_CNT: 0
	.section	.text._ZN2at6native12_GLOBAL__N_125multi_tensor_apply_kernelINS1_18TensorListMetadataILi4EEENS1_32PointwiseOpScalar0dTensorFunctorIsLi4ELi2ELi3EEEJSt7dividesIsEsEEEvT_T0_DpT1_,"axG",@progbits,_ZN2at6native12_GLOBAL__N_125multi_tensor_apply_kernelINS1_18TensorListMetadataILi4EEENS1_32PointwiseOpScalar0dTensorFunctorIsLi4ELi2ELi3EEEJSt7dividesIsEsEEEvT_T0_DpT1_,comdat
	.globl	_ZN2at6native12_GLOBAL__N_125multi_tensor_apply_kernelINS1_18TensorListMetadataILi4EEENS1_32PointwiseOpScalar0dTensorFunctorIsLi4ELi2ELi3EEEJSt7dividesIsEsEEEvT_T0_DpT1_ ; -- Begin function _ZN2at6native12_GLOBAL__N_125multi_tensor_apply_kernelINS1_18TensorListMetadataILi4EEENS1_32PointwiseOpScalar0dTensorFunctorIsLi4ELi2ELi3EEEJSt7dividesIsEsEEEvT_T0_DpT1_
	.p2align	8
	.type	_ZN2at6native12_GLOBAL__N_125multi_tensor_apply_kernelINS1_18TensorListMetadataILi4EEENS1_32PointwiseOpScalar0dTensorFunctorIsLi4ELi2ELi3EEEJSt7dividesIsEsEEEvT_T0_DpT1_,@function
_ZN2at6native12_GLOBAL__N_125multi_tensor_apply_kernelINS1_18TensorListMetadataILi4EEENS1_32PointwiseOpScalar0dTensorFunctorIsLi4ELi2ELi3EEEJSt7dividesIsEsEEEvT_T0_DpT1_: ; @_ZN2at6native12_GLOBAL__N_125multi_tensor_apply_kernelINS1_18TensorListMetadataILi4EEENS1_32PointwiseOpScalar0dTensorFunctorIsLi4ELi2ELi3EEEJSt7dividesIsEsEEEvT_T0_DpT1_
; %bb.0:
	v_mov_b32_e32 v1, s6
	global_load_ubyte v1, v1, s[4:5] offset:1440
	s_load_dword s0, s[4:5], 0xbe8
	s_mul_hi_u32 s2, s6, 3
	v_mov_b32_e32 v2, 0
	s_mov_b32 s9, 0
	s_waitcnt lgkmcnt(0)
	s_lshr_b32 s26, s0, 16
	s_add_u32 s0, s4, s6
	s_addc_u32 s1, s5, 0
	s_mul_i32 s6, s6, 3
	s_add_u32 s0, s0, s6
	s_addc_u32 s1, s1, s2
	s_waitcnt vmcnt(0)
	v_readfirstlane_b32 s2, v1
	s_lshl_b32 s7, s2, 3
	s_load_dwordx2 s[2:3], s[4:5], s7 offset:0x120
	s_load_dwordx2 s[14:15], s[4:5], s7 offset:0x240
	;; [unrolled: 1-line block ×3, first 2 shown]
	s_waitcnt lgkmcnt(0)
	global_load_sshort v13, v2, s[2:3]
	s_load_dword s6, s[0:1], 0x6e0
	s_load_dwordx2 s[18:19], s[4:5], s7 offset:0x0
	s_load_dwordx2 s[10:11], s[4:5], s7 offset:0x480
	s_mov_b32 s3, s9
	s_waitcnt lgkmcnt(0)
	s_ashr_i32 s7, s6, 31
	s_lshl_b64 s[0:1], s[6:7], 17
	s_add_u32 s27, s18, s0
	s_addc_u32 s28, s19, s1
	s_add_u32 s2, s2, s0
	s_and_b32 s8, s27, 7
	s_and_b32 s2, s2, 7
	s_cmp_lg_u64 s[2:3], 0
	s_cselect_b64 s[2:3], -1, 0
	s_add_u32 s29, s14, s0
	s_addc_u32 s30, s15, s1
	s_add_u32 s31, s16, s0
	s_addc_u32 s33, s17, s1
	s_or_b32 s12, s31, s29
	s_and_b32 s12, s12, 7
	s_cmp_lg_u32 s12, 0
	s_cselect_b64 s[12:13], -1, 0
	s_or_b64 s[2:3], s[12:13], s[2:3]
	s_lshl_b64 s[6:7], s[6:7], 16
	s_sub_u32 s12, s10, s6
	s_subb_u32 s13, s11, s7
	s_and_b32 s6, s10, 3
	s_mov_b32 s7, s9
	s_or_b64 s[6:7], s[8:9], s[6:7]
	s_cmp_lg_u64 s[6:7], 0
	s_cselect_b64 s[6:7], -1, 0
	s_or_b64 s[2:3], s[2:3], s[6:7]
	s_andn2_b64 vcc, exec, s[2:3]
	s_mov_b64 s[2:3], -1
	s_cbranch_vccz .LBB59_5
; %bb.1:
	v_mov_b32_e32 v3, 0x10000
	v_mov_b32_e32 v4, 0
	v_cmp_lt_i64_e32 vcc, s[12:13], v[3:4]
	v_lshlrev_b32_e32 v1, 2, v0
	s_and_b64 s[2:3], vcc, exec
	s_cselect_b32 s21, s13, 0
	s_cselect_b32 s20, s12, 0x10000
	v_cmp_gt_i64_e32 vcc, s[20:21], v[1:2]
	s_and_saveexec_b64 s[22:23], vcc
	s_cbranch_execz .LBB59_4
; %bb.2:
	s_load_dword s2, s[4:5], 0xbfc
	s_waitcnt vmcnt(0)
	v_cvt_f32_i32_e32 v3, v13
	v_mov_b32_e32 v1, v2
	v_lshlrev_b32_e32 v2, 3, v0
	v_mov_b32_e32 v5, s1
	s_waitcnt lgkmcnt(0)
	s_and_b32 s34, s2, 0xffff
	v_add_co_u32_e32 v4, vcc, s0, v2
	v_mov_b32_e32 v2, v1
	v_addc_co_u32_e32 v5, vcc, 0, v5, vcc
	s_lshl_b32 s35, s34, 3
	s_mov_b64 s[24:25], 0
	v_mov_b32_e32 v6, s19
	v_mov_b32_e32 v7, s15
	;; [unrolled: 1-line block ×4, first 2 shown]
.LBB59_3:                               ; =>This Inner Loop Header: Depth=1
	v_add_co_u32_e32 v9, vcc, s14, v4
	v_addc_co_u32_e32 v10, vcc, v7, v5, vcc
	global_load_dwordx2 v[9:10], v[9:10], off
	v_add_co_u32_e32 v1, vcc, s34, v1
	v_addc_co_u32_e32 v2, vcc, 0, v2, vcc
	v_lshlrev_b64 v[11:12], 2, v[1:2]
	v_cmp_le_i64_e32 vcc, s[20:21], v[11:12]
	s_or_b64 s[24:25], vcc, s[24:25]
	s_waitcnt vmcnt(0)
	v_cvt_f32_i32_sdwa v12, sext(v9) dst_sel:DWORD dst_unused:UNUSED_PAD src0_sel:WORD_0
	v_cvt_f32_i32_sdwa v15, sext(v9) dst_sel:DWORD dst_unused:UNUSED_PAD src0_sel:WORD_1
	v_xor_b32_sdwa v11, v13, sext(v9) dst_sel:DWORD dst_unused:UNUSED_PAD src0_sel:DWORD src1_sel:WORD_0
	v_xor_b32_sdwa v14, v13, sext(v9) dst_sel:DWORD dst_unused:UNUSED_PAD src0_sel:DWORD src1_sel:WORD_1
	v_rcp_iflag_f32_e32 v18, v12
	v_rcp_iflag_f32_e32 v19, v15
	v_alignbit_b32 v9, v10, v9, 16
	v_xor_b32_sdwa v16, v13, sext(v10) dst_sel:DWORD dst_unused:UNUSED_PAD src0_sel:DWORD src1_sel:WORD_1
	v_cvt_f32_i32_sdwa v10, sext(v10) dst_sel:DWORD dst_unused:UNUSED_PAD src0_sel:WORD_1
	v_xor_b32_sdwa v17, v13, sext(v9) dst_sel:DWORD dst_unused:UNUSED_PAD src0_sel:DWORD src1_sel:WORD_1
	v_cvt_f32_i32_sdwa v9, sext(v9) dst_sel:DWORD dst_unused:UNUSED_PAD src0_sel:WORD_1
	v_mul_f32_e32 v18, v3, v18
	v_trunc_f32_e32 v18, v18
	v_mul_f32_e32 v19, v3, v19
	v_mad_f32 v20, -v18, v12, v3
	v_trunc_f32_e32 v19, v19
	v_cmp_ge_f32_e64 s[0:1], |v20|, |v12|
	v_rcp_iflag_f32_e32 v12, v10
	v_mad_f32 v20, -v19, v15, v3
	v_cmp_ge_f32_e64 s[2:3], |v20|, |v15|
	v_rcp_iflag_f32_e32 v15, v9
	v_mul_f32_e32 v12, v3, v12
	v_trunc_f32_e32 v20, v12
	v_mad_f32 v12, -v20, v10, v3
	v_mul_f32_e32 v15, v3, v15
	v_trunc_f32_e32 v15, v15
	v_cmp_ge_f32_e64 s[6:7], |v12|, |v10|
	v_mad_f32 v10, -v15, v9, v3
	v_cmp_ge_f32_e64 s[8:9], |v10|, |v9|
	v_add_co_u32_e64 v9, s[10:11], s18, v4
	v_addc_co_u32_e64 v10, s[10:11], v6, v5, s[10:11]
	global_load_dwordx2 v[9:10], v[9:10], off
	v_cvt_i32_f32_e32 v12, v18
	v_cvt_i32_f32_e32 v19, v19
	v_ashrrev_i32_e32 v11, 30, v11
	v_ashrrev_i32_e32 v14, 30, v14
	v_cvt_i32_f32_e32 v20, v20
	v_ashrrev_i32_e32 v16, 30, v16
	v_or_b32_e32 v11, 1, v11
	v_or_b32_e32 v14, 1, v14
	v_cvt_i32_f32_e32 v15, v15
	v_ashrrev_i32_e32 v17, 30, v17
	v_or_b32_e32 v16, 1, v16
	v_cndmask_b32_e64 v11, 0, v11, s[0:1]
	v_cndmask_b32_e64 v14, 0, v14, s[2:3]
	v_or_b32_e32 v17, 1, v17
	v_add_u32_e32 v18, v12, v11
	v_add_u32_e32 v14, v19, v14
	v_cndmask_b32_e64 v16, 0, v16, s[6:7]
	v_add_co_u32_e64 v11, s[0:1], s16, v4
	v_add_u32_e32 v16, v20, v16
	v_cndmask_b32_e64 v17, 0, v17, s[8:9]
	v_mul_lo_u16_e32 v18, s26, v18
	v_addc_co_u32_e64 v12, s[0:1], v8, v5, s[0:1]
	v_add_u32_e32 v15, v15, v17
	v_add_co_u32_e64 v4, s[0:1], s35, v4
	v_addc_co_u32_e64 v5, s[0:1], 0, v5, s[0:1]
	s_waitcnt vmcnt(0)
	v_lshrrev_b32_e32 v19, 16, v9
	v_lshrrev_b32_e32 v20, 16, v10
	v_mad_legacy_u16 v14, s26, v14, v19
	v_mad_legacy_u16 v16, s26, v16, v20
	v_add_u16_e32 v9, v18, v9
	v_lshlrev_b32_e32 v14, 16, v14
	v_mad_legacy_u16 v10, s26, v15, v10
	v_lshlrev_b32_e32 v15, 16, v16
	v_or_b32_e32 v9, v14, v9
	v_or3_b32 v10, v10, 0, v15
	v_or3_b32 v9, 0, v9, 0
	global_store_dwordx2 v[11:12], v[9:10], off
	s_andn2_b64 exec, exec, s[24:25]
	s_cbranch_execnz .LBB59_3
.LBB59_4:
	s_or_b64 exec, exec, s[22:23]
	s_mov_b64 s[2:3], 0
.LBB59_5:
	s_andn2_b64 vcc, exec, s[2:3]
	s_cbranch_vccnz .LBB59_25
; %bb.6:
	v_cmp_lt_i64_e64 s[0:1], s[12:13], 1
	s_and_b64 vcc, exec, s[0:1]
	s_cbranch_vccnz .LBB59_25
; %bb.7:
	v_mov_b32_e32 v1, 0x10000
	s_load_dword s2, s[4:5], 0xbfc
	v_mov_b32_e32 v2, 0
	v_cmp_lt_i64_e32 vcc, s[12:13], v[1:2]
	s_waitcnt vmcnt(0)
	v_cvt_f32_i32_e32 v14, v13
	s_and_b64 s[0:1], vcc, exec
	v_cmp_lt_u64_e32 vcc, s[12:13], v[1:2]
	s_cselect_b32 s1, s13, 0
	s_cselect_b32 s0, s12, 0x10000
	s_waitcnt lgkmcnt(0)
	s_and_b32 s9, s2, 0xffff
	s_and_b64 s[2:3], vcc, exec
	s_mov_b32 s8, 0
	s_cselect_b32 s3, s13, 0
	s_cselect_b32 s2, s12, 0x10000
	s_lshl_b32 s10, s9, 1
	s_mul_i32 s11, s9, 3
	s_lshl_b32 s12, s9, 2
	s_mov_b64 s[4:5], 0
	s_branch .LBB59_9
.LBB59_8:                               ;   in Loop: Header=BB59_9 Depth=1
	s_or_b64 exec, exec, s[6:7]
	s_add_u32 s4, s4, s12
	v_mov_b32_e32 v2, s1
	s_addc_u32 s5, s5, 0
	v_mov_b32_e32 v1, s0
	v_cmp_ge_i64_e32 vcc, s[4:5], v[1:2]
	s_cbranch_vccnz .LBB59_25
.LBB59_9:                               ; =>This Inner Loop Header: Depth=1
	v_mov_b32_e32 v1, s5
	v_add_co_u32_e32 v5, vcc, s4, v0
	v_addc_co_u32_e32 v6, vcc, 0, v1, vcc
	v_cmp_gt_i64_e32 vcc, s[0:1], v[5:6]
	v_mov_b32_e32 v1, 0
	v_mov_b32_e32 v3, 0
	;; [unrolled: 1-line block ×4, first 2 shown]
	s_and_saveexec_b64 s[6:7], vcc
	s_cbranch_execz .LBB59_11
; %bb.10:                               ;   in Loop: Header=BB59_9 Depth=1
	v_lshlrev_b64 v[1:2], 1, v[5:6]
	v_mov_b32_e32 v4, s28
	v_add_co_u32_e32 v3, vcc, s27, v1
	v_addc_co_u32_e32 v4, vcc, v4, v2, vcc
	v_mov_b32_e32 v7, s30
	v_add_co_u32_e32 v1, vcc, s29, v1
	v_addc_co_u32_e32 v2, vcc, v7, v2, vcc
	global_load_ushort v7, v[3:4], off
	global_load_ushort v8, v[1:2], off
	v_mov_b32_e32 v4, s8
	v_mov_b32_e32 v2, s8
	s_waitcnt vmcnt(1)
	v_and_b32_e32 v3, 0xffff, v7
	s_waitcnt vmcnt(0)
	v_and_b32_e32 v1, 0xffff, v8
.LBB59_11:                              ;   in Loop: Header=BB59_9 Depth=1
	s_or_b64 exec, exec, s[6:7]
	v_add_co_u32_e32 v7, vcc, s9, v5
	v_addc_co_u32_e32 v8, vcc, 0, v6, vcc
	v_cmp_gt_i64_e32 vcc, s[0:1], v[7:8]
	s_and_saveexec_b64 s[6:7], vcc
	s_cbranch_execz .LBB59_13
; %bb.12:                               ;   in Loop: Header=BB59_9 Depth=1
	v_lshlrev_b64 v[9:10], 1, v[7:8]
	v_mov_b32_e32 v12, s30
	v_add_co_u32_e32 v11, vcc, s29, v9
	v_addc_co_u32_e32 v12, vcc, v12, v10, vcc
	v_mov_b32_e32 v15, s28
	v_add_co_u32_e32 v9, vcc, s27, v9
	v_addc_co_u32_e32 v10, vcc, v15, v10, vcc
	global_load_ushort v15, v[9:10], off
	global_load_ushort v16, v[11:12], off
	s_waitcnt vmcnt(1)
	v_lshl_or_b32 v3, v15, 16, v3
	s_waitcnt vmcnt(0)
	v_lshl_or_b32 v1, v16, 16, v1
.LBB59_13:                              ;   in Loop: Header=BB59_9 Depth=1
	s_or_b64 exec, exec, s[6:7]
	v_add_co_u32_e32 v9, vcc, s10, v5
	v_addc_co_u32_e32 v10, vcc, 0, v6, vcc
	v_cmp_gt_i64_e32 vcc, s[0:1], v[9:10]
	s_and_saveexec_b64 s[6:7], vcc
	s_cbranch_execz .LBB59_15
; %bb.14:                               ;   in Loop: Header=BB59_9 Depth=1
	v_lshlrev_b64 v[11:12], 1, v[9:10]
	v_mov_b32_e32 v16, s30
	v_add_co_u32_e32 v15, vcc, s29, v11
	v_addc_co_u32_e32 v16, vcc, v16, v12, vcc
	v_mov_b32_e32 v17, s28
	v_add_co_u32_e32 v11, vcc, s27, v11
	v_addc_co_u32_e32 v12, vcc, v17, v12, vcc
	global_load_ushort v17, v[11:12], off
	global_load_ushort v18, v[15:16], off
	s_waitcnt vmcnt(1)
	v_or_b32_e32 v4, v17, v4
	s_waitcnt vmcnt(0)
	v_or_b32_e32 v2, v18, v2
.LBB59_15:                              ;   in Loop: Header=BB59_9 Depth=1
	s_or_b64 exec, exec, s[6:7]
	v_add_co_u32_e32 v11, vcc, s11, v5
	v_addc_co_u32_e32 v12, vcc, 0, v6, vcc
	v_cmp_gt_i64_e32 vcc, s[0:1], v[11:12]
	s_and_saveexec_b64 s[6:7], vcc
	s_cbranch_execnz .LBB59_20
; %bb.16:                               ;   in Loop: Header=BB59_9 Depth=1
	s_or_b64 exec, exec, s[6:7]
	v_cmp_gt_u64_e32 vcc, s[2:3], v[5:6]
	s_and_saveexec_b64 s[6:7], vcc
	s_cbranch_execnz .LBB59_21
.LBB59_17:                              ;   in Loop: Header=BB59_9 Depth=1
	s_or_b64 exec, exec, s[6:7]
	v_cmp_gt_u64_e32 vcc, s[2:3], v[7:8]
	s_and_saveexec_b64 s[6:7], vcc
	s_cbranch_execnz .LBB59_22
.LBB59_18:                              ;   in Loop: Header=BB59_9 Depth=1
	s_or_b64 exec, exec, s[6:7]
	v_cmp_gt_u64_e32 vcc, s[2:3], v[9:10]
	s_and_saveexec_b64 s[6:7], vcc
	s_cbranch_execnz .LBB59_23
.LBB59_19:                              ;   in Loop: Header=BB59_9 Depth=1
	s_or_b64 exec, exec, s[6:7]
	v_cmp_gt_u64_e32 vcc, s[2:3], v[11:12]
	s_and_saveexec_b64 s[6:7], vcc
	s_cbranch_execz .LBB59_8
	s_branch .LBB59_24
.LBB59_20:                              ;   in Loop: Header=BB59_9 Depth=1
	v_lshlrev_b64 v[15:16], 1, v[11:12]
	v_mov_b32_e32 v18, s30
	v_add_co_u32_e32 v17, vcc, s29, v15
	v_addc_co_u32_e32 v18, vcc, v18, v16, vcc
	v_mov_b32_e32 v19, s28
	v_add_co_u32_e32 v15, vcc, s27, v15
	v_addc_co_u32_e32 v16, vcc, v19, v16, vcc
	global_load_ushort v19, v[15:16], off
	global_load_ushort v20, v[17:18], off
	s_waitcnt vmcnt(1)
	v_lshlrev_b32_e32 v15, 16, v19
	s_waitcnt vmcnt(0)
	v_lshlrev_b32_e32 v16, 16, v20
	v_or_b32_e32 v4, v15, v4
	v_or_b32_e32 v2, v16, v2
	s_or_b64 exec, exec, s[6:7]
	v_cmp_gt_u64_e32 vcc, s[2:3], v[5:6]
	s_and_saveexec_b64 s[6:7], vcc
	s_cbranch_execz .LBB59_17
.LBB59_21:                              ;   in Loop: Header=BB59_9 Depth=1
	v_cvt_f32_i32_sdwa v15, sext(v1) dst_sel:DWORD dst_unused:UNUSED_PAD src0_sel:WORD_0
	v_xor_b32_sdwa v16, v13, sext(v1) dst_sel:DWORD dst_unused:UNUSED_PAD src0_sel:DWORD src1_sel:WORD_0
	v_ashrrev_i32_e32 v16, 30, v16
	v_lshlrev_b64 v[5:6], 1, v[5:6]
	v_rcp_iflag_f32_e32 v17, v15
	v_or_b32_e32 v16, 1, v16
	v_mov_b32_e32 v18, s33
	v_mul_f32_e32 v17, v14, v17
	v_trunc_f32_e32 v17, v17
	v_cvt_i32_f32_e32 v19, v17
	v_mad_f32 v17, -v17, v15, v14
	v_cmp_ge_f32_e64 vcc, |v17|, |v15|
	v_cndmask_b32_e32 v15, 0, v16, vcc
	v_add_u32_e32 v15, v19, v15
	v_add_co_u32_e32 v5, vcc, s31, v5
	v_mad_legacy_u16 v15, s26, v15, v3
	v_addc_co_u32_e32 v6, vcc, v18, v6, vcc
	global_store_short v[5:6], v15, off
	s_or_b64 exec, exec, s[6:7]
	v_cmp_gt_u64_e32 vcc, s[2:3], v[7:8]
	s_and_saveexec_b64 s[6:7], vcc
	s_cbranch_execz .LBB59_18
.LBB59_22:                              ;   in Loop: Header=BB59_9 Depth=1
	v_cvt_f32_i32_sdwa v15, sext(v1) dst_sel:DWORD dst_unused:UNUSED_PAD src0_sel:WORD_1
	v_lshlrev_b64 v[5:6], 1, v[7:8]
	v_xor_b32_sdwa v16, v13, sext(v1) dst_sel:DWORD dst_unused:UNUSED_PAD src0_sel:DWORD src1_sel:WORD_1
	v_ashrrev_i32_e32 v16, 30, v16
	v_rcp_iflag_f32_e32 v7, v15
	v_or_b32_e32 v16, 1, v16
	v_lshrrev_b32_e32 v3, 16, v3
	v_mov_b32_e32 v8, s33
	v_mul_f32_e32 v7, v14, v7
	v_trunc_f32_e32 v7, v7
	v_cvt_i32_f32_e32 v17, v7
	v_mad_f32 v7, -v7, v15, v14
	v_cmp_ge_f32_e64 vcc, |v7|, |v15|
	v_cndmask_b32_e32 v7, 0, v16, vcc
	v_add_u32_e32 v7, v17, v7
	v_add_co_u32_e32 v5, vcc, s31, v5
	v_mad_legacy_u16 v3, s26, v7, v3
	v_addc_co_u32_e32 v6, vcc, v8, v6, vcc
	global_store_short v[5:6], v3, off
	s_or_b64 exec, exec, s[6:7]
	v_cmp_gt_u64_e32 vcc, s[2:3], v[9:10]
	s_and_saveexec_b64 s[6:7], vcc
	s_cbranch_execz .LBB59_19
.LBB59_23:                              ;   in Loop: Header=BB59_9 Depth=1
	v_alignbit_b32 v1, v2, v1, 16
	v_cvt_f32_i32_sdwa v3, sext(v1) dst_sel:DWORD dst_unused:UNUSED_PAD src0_sel:WORD_1
	v_lshlrev_b64 v[5:6], 1, v[9:10]
	v_xor_b32_sdwa v1, v13, sext(v1) dst_sel:DWORD dst_unused:UNUSED_PAD src0_sel:DWORD src1_sel:WORD_1
	v_ashrrev_i32_e32 v1, 30, v1
	v_rcp_iflag_f32_e32 v8, v3
	v_or_b32_e32 v1, 1, v1
	v_mov_b32_e32 v7, s33
	v_mul_f32_e32 v8, v14, v8
	v_trunc_f32_e32 v8, v8
	v_cvt_i32_f32_e32 v9, v8
	v_mad_f32 v8, -v8, v3, v14
	v_cmp_ge_f32_e64 vcc, |v8|, |v3|
	v_cndmask_b32_e32 v1, 0, v1, vcc
	v_add_u32_e32 v1, v9, v1
	v_add_co_u32_e32 v5, vcc, s31, v5
	v_mad_legacy_u16 v1, s26, v1, v4
	v_addc_co_u32_e32 v6, vcc, v7, v6, vcc
	global_store_short v[5:6], v1, off
	s_or_b64 exec, exec, s[6:7]
	v_cmp_gt_u64_e32 vcc, s[2:3], v[11:12]
	s_and_saveexec_b64 s[6:7], vcc
	s_cbranch_execz .LBB59_8
.LBB59_24:                              ;   in Loop: Header=BB59_9 Depth=1
	v_cvt_f32_i32_sdwa v3, sext(v2) dst_sel:DWORD dst_unused:UNUSED_PAD src0_sel:WORD_1
	v_xor_b32_sdwa v5, v13, sext(v2) dst_sel:DWORD dst_unused:UNUSED_PAD src0_sel:DWORD src1_sel:WORD_1
	v_ashrrev_i32_e32 v5, 30, v5
	v_lshlrev_b64 v[1:2], 1, v[11:12]
	v_rcp_iflag_f32_e32 v6, v3
	v_or_b32_e32 v5, 1, v5
	v_lshrrev_b32_e32 v4, 16, v4
	v_mov_b32_e32 v7, s33
	v_mul_f32_e32 v6, v14, v6
	v_trunc_f32_e32 v6, v6
	v_cvt_i32_f32_e32 v8, v6
	v_mad_f32 v6, -v6, v3, v14
	v_cmp_ge_f32_e64 vcc, |v6|, |v3|
	v_cndmask_b32_e32 v3, 0, v5, vcc
	v_add_u32_e32 v3, v8, v3
	v_add_co_u32_e32 v1, vcc, s31, v1
	v_mad_legacy_u16 v3, s26, v3, v4
	v_addc_co_u32_e32 v2, vcc, v7, v2, vcc
	global_store_short v[1:2], v3, off
	s_branch .LBB59_8
.LBB59_25:
	s_endpgm
	.section	.rodata,"a",@progbits
	.p2align	6, 0x0
	.amdhsa_kernel _ZN2at6native12_GLOBAL__N_125multi_tensor_apply_kernelINS1_18TensorListMetadataILi4EEENS1_32PointwiseOpScalar0dTensorFunctorIsLi4ELi2ELi3EEEJSt7dividesIsEsEEEvT_T0_DpT1_
		.amdhsa_group_segment_fixed_size 0
		.amdhsa_private_segment_fixed_size 0
		.amdhsa_kernarg_size 3312
		.amdhsa_user_sgpr_count 6
		.amdhsa_user_sgpr_private_segment_buffer 1
		.amdhsa_user_sgpr_dispatch_ptr 0
		.amdhsa_user_sgpr_queue_ptr 0
		.amdhsa_user_sgpr_kernarg_segment_ptr 1
		.amdhsa_user_sgpr_dispatch_id 0
		.amdhsa_user_sgpr_flat_scratch_init 0
		.amdhsa_user_sgpr_private_segment_size 0
		.amdhsa_uses_dynamic_stack 0
		.amdhsa_system_sgpr_private_segment_wavefront_offset 0
		.amdhsa_system_sgpr_workgroup_id_x 1
		.amdhsa_system_sgpr_workgroup_id_y 0
		.amdhsa_system_sgpr_workgroup_id_z 0
		.amdhsa_system_sgpr_workgroup_info 0
		.amdhsa_system_vgpr_workitem_id 0
		.amdhsa_next_free_vgpr 21
		.amdhsa_next_free_sgpr 36
		.amdhsa_reserve_vcc 1
		.amdhsa_reserve_flat_scratch 0
		.amdhsa_float_round_mode_32 0
		.amdhsa_float_round_mode_16_64 0
		.amdhsa_float_denorm_mode_32 3
		.amdhsa_float_denorm_mode_16_64 3
		.amdhsa_dx10_clamp 1
		.amdhsa_ieee_mode 1
		.amdhsa_fp16_overflow 0
		.amdhsa_exception_fp_ieee_invalid_op 0
		.amdhsa_exception_fp_denorm_src 0
		.amdhsa_exception_fp_ieee_div_zero 0
		.amdhsa_exception_fp_ieee_overflow 0
		.amdhsa_exception_fp_ieee_underflow 0
		.amdhsa_exception_fp_ieee_inexact 0
		.amdhsa_exception_int_div_zero 0
	.end_amdhsa_kernel
	.section	.text._ZN2at6native12_GLOBAL__N_125multi_tensor_apply_kernelINS1_18TensorListMetadataILi4EEENS1_32PointwiseOpScalar0dTensorFunctorIsLi4ELi2ELi3EEEJSt7dividesIsEsEEEvT_T0_DpT1_,"axG",@progbits,_ZN2at6native12_GLOBAL__N_125multi_tensor_apply_kernelINS1_18TensorListMetadataILi4EEENS1_32PointwiseOpScalar0dTensorFunctorIsLi4ELi2ELi3EEEJSt7dividesIsEsEEEvT_T0_DpT1_,comdat
.Lfunc_end59:
	.size	_ZN2at6native12_GLOBAL__N_125multi_tensor_apply_kernelINS1_18TensorListMetadataILi4EEENS1_32PointwiseOpScalar0dTensorFunctorIsLi4ELi2ELi3EEEJSt7dividesIsEsEEEvT_T0_DpT1_, .Lfunc_end59-_ZN2at6native12_GLOBAL__N_125multi_tensor_apply_kernelINS1_18TensorListMetadataILi4EEENS1_32PointwiseOpScalar0dTensorFunctorIsLi4ELi2ELi3EEEJSt7dividesIsEsEEEvT_T0_DpT1_
                                        ; -- End function
	.set _ZN2at6native12_GLOBAL__N_125multi_tensor_apply_kernelINS1_18TensorListMetadataILi4EEENS1_32PointwiseOpScalar0dTensorFunctorIsLi4ELi2ELi3EEEJSt7dividesIsEsEEEvT_T0_DpT1_.num_vgpr, 21
	.set _ZN2at6native12_GLOBAL__N_125multi_tensor_apply_kernelINS1_18TensorListMetadataILi4EEENS1_32PointwiseOpScalar0dTensorFunctorIsLi4ELi2ELi3EEEJSt7dividesIsEsEEEvT_T0_DpT1_.num_agpr, 0
	.set _ZN2at6native12_GLOBAL__N_125multi_tensor_apply_kernelINS1_18TensorListMetadataILi4EEENS1_32PointwiseOpScalar0dTensorFunctorIsLi4ELi2ELi3EEEJSt7dividesIsEsEEEvT_T0_DpT1_.numbered_sgpr, 36
	.set _ZN2at6native12_GLOBAL__N_125multi_tensor_apply_kernelINS1_18TensorListMetadataILi4EEENS1_32PointwiseOpScalar0dTensorFunctorIsLi4ELi2ELi3EEEJSt7dividesIsEsEEEvT_T0_DpT1_.num_named_barrier, 0
	.set _ZN2at6native12_GLOBAL__N_125multi_tensor_apply_kernelINS1_18TensorListMetadataILi4EEENS1_32PointwiseOpScalar0dTensorFunctorIsLi4ELi2ELi3EEEJSt7dividesIsEsEEEvT_T0_DpT1_.private_seg_size, 0
	.set _ZN2at6native12_GLOBAL__N_125multi_tensor_apply_kernelINS1_18TensorListMetadataILi4EEENS1_32PointwiseOpScalar0dTensorFunctorIsLi4ELi2ELi3EEEJSt7dividesIsEsEEEvT_T0_DpT1_.uses_vcc, 1
	.set _ZN2at6native12_GLOBAL__N_125multi_tensor_apply_kernelINS1_18TensorListMetadataILi4EEENS1_32PointwiseOpScalar0dTensorFunctorIsLi4ELi2ELi3EEEJSt7dividesIsEsEEEvT_T0_DpT1_.uses_flat_scratch, 0
	.set _ZN2at6native12_GLOBAL__N_125multi_tensor_apply_kernelINS1_18TensorListMetadataILi4EEENS1_32PointwiseOpScalar0dTensorFunctorIsLi4ELi2ELi3EEEJSt7dividesIsEsEEEvT_T0_DpT1_.has_dyn_sized_stack, 0
	.set _ZN2at6native12_GLOBAL__N_125multi_tensor_apply_kernelINS1_18TensorListMetadataILi4EEENS1_32PointwiseOpScalar0dTensorFunctorIsLi4ELi2ELi3EEEJSt7dividesIsEsEEEvT_T0_DpT1_.has_recursion, 0
	.set _ZN2at6native12_GLOBAL__N_125multi_tensor_apply_kernelINS1_18TensorListMetadataILi4EEENS1_32PointwiseOpScalar0dTensorFunctorIsLi4ELi2ELi3EEEJSt7dividesIsEsEEEvT_T0_DpT1_.has_indirect_call, 0
	.section	.AMDGPU.csdata,"",@progbits
; Kernel info:
; codeLenInByte = 1972
; TotalNumSgprs: 40
; NumVgprs: 21
; ScratchSize: 0
; MemoryBound: 0
; FloatMode: 240
; IeeeMode: 1
; LDSByteSize: 0 bytes/workgroup (compile time only)
; SGPRBlocks: 4
; VGPRBlocks: 5
; NumSGPRsForWavesPerEU: 40
; NumVGPRsForWavesPerEU: 21
; Occupancy: 10
; WaveLimiterHint : 0
; COMPUTE_PGM_RSRC2:SCRATCH_EN: 0
; COMPUTE_PGM_RSRC2:USER_SGPR: 6
; COMPUTE_PGM_RSRC2:TRAP_HANDLER: 0
; COMPUTE_PGM_RSRC2:TGID_X_EN: 1
; COMPUTE_PGM_RSRC2:TGID_Y_EN: 0
; COMPUTE_PGM_RSRC2:TGID_Z_EN: 0
; COMPUTE_PGM_RSRC2:TIDIG_COMP_CNT: 0
	.section	.text._ZN2at6native12_GLOBAL__N_125multi_tensor_apply_kernelINS1_18TensorListMetadataILi4EEENS1_32PointwiseOpScalar0dTensorFunctorIdLi4ELi2ELi3EEEJSt7dividesIdEdEEEvT_T0_DpT1_,"axG",@progbits,_ZN2at6native12_GLOBAL__N_125multi_tensor_apply_kernelINS1_18TensorListMetadataILi4EEENS1_32PointwiseOpScalar0dTensorFunctorIdLi4ELi2ELi3EEEJSt7dividesIdEdEEEvT_T0_DpT1_,comdat
	.globl	_ZN2at6native12_GLOBAL__N_125multi_tensor_apply_kernelINS1_18TensorListMetadataILi4EEENS1_32PointwiseOpScalar0dTensorFunctorIdLi4ELi2ELi3EEEJSt7dividesIdEdEEEvT_T0_DpT1_ ; -- Begin function _ZN2at6native12_GLOBAL__N_125multi_tensor_apply_kernelINS1_18TensorListMetadataILi4EEENS1_32PointwiseOpScalar0dTensorFunctorIdLi4ELi2ELi3EEEJSt7dividesIdEdEEEvT_T0_DpT1_
	.p2align	8
	.type	_ZN2at6native12_GLOBAL__N_125multi_tensor_apply_kernelINS1_18TensorListMetadataILi4EEENS1_32PointwiseOpScalar0dTensorFunctorIdLi4ELi2ELi3EEEJSt7dividesIdEdEEEvT_T0_DpT1_,@function
_ZN2at6native12_GLOBAL__N_125multi_tensor_apply_kernelINS1_18TensorListMetadataILi4EEENS1_32PointwiseOpScalar0dTensorFunctorIdLi4ELi2ELi3EEEJSt7dividesIdEdEEEvT_T0_DpT1_: ; @_ZN2at6native12_GLOBAL__N_125multi_tensor_apply_kernelINS1_18TensorListMetadataILi4EEENS1_32PointwiseOpScalar0dTensorFunctorIdLi4ELi2ELi3EEEJSt7dividesIdEdEEEvT_T0_DpT1_
; %bb.0:
	v_mov_b32_e32 v1, s6
	global_load_ubyte v1, v1, s[4:5] offset:1440
	s_add_u32 s0, s4, s6
	s_mul_hi_u32 s1, s6, 3
	s_mul_i32 s6, s6, 3
	s_addc_u32 s2, s5, 0
	s_add_u32 s0, s0, s6
	s_addc_u32 s1, s2, s1
	s_load_dword s0, s[0:1], 0x6e0
	s_mov_b32 s3, 0
	s_mov_b32 s7, s3
	;; [unrolled: 1-line block ×3, first 2 shown]
	s_waitcnt lgkmcnt(0)
	s_ashr_i32 s1, s0, 31
	s_lshl_b64 s[16:17], s[0:1], 19
	s_waitcnt vmcnt(0)
	v_readfirstlane_b32 s2, v1
	s_lshl_b32 s2, s2, 3
	s_load_dwordx2 s[10:11], s[4:5], s2 offset:0x0
	s_load_dwordx2 s[14:15], s[4:5], s2 offset:0x120
	s_load_dwordx2 s[8:9], s[4:5], 0xbf0
	s_load_dwordx2 s[22:23], s[4:5], s2 offset:0x480
	s_load_dwordx2 s[18:19], s[4:5], s2 offset:0x240
	;; [unrolled: 1-line block ×3, first 2 shown]
	s_waitcnt lgkmcnt(0)
	s_add_u32 s10, s10, s16
	s_addc_u32 s11, s11, s17
	s_add_u32 s6, s14, s16
	s_and_b32 s2, s10, 31
	s_and_b32 s6, s6, 31
	s_cmp_lg_u64 s[6:7], 0
	s_load_dwordx2 s[12:13], s[14:15], 0x0
	s_cselect_b64 s[6:7], -1, 0
	s_add_u32 s14, s18, s16
	s_addc_u32 s15, s19, s17
	s_add_u32 s16, s24, s16
	s_addc_u32 s17, s25, s17
	s_or_b32 s18, s16, s14
	s_and_b32 s18, s18, 31
	s_cmp_lg_u32 s18, 0
	s_cselect_b64 s[18:19], -1, 0
	s_lshl_b64 s[0:1], s[0:1], 16
	s_or_b64 s[6:7], s[18:19], s[6:7]
	s_sub_u32 s18, s22, s0
	s_subb_u32 s19, s23, s1
	s_and_b32 s20, s22, 3
	s_or_b64 s[0:1], s[2:3], s[20:21]
	s_cmp_lg_u64 s[0:1], 0
	s_cselect_b64 s[0:1], -1, 0
	s_or_b64 s[0:1], s[6:7], s[0:1]
	s_andn2_b64 vcc, exec, s[0:1]
	s_mov_b64 s[0:1], -1
	s_cbranch_vccz .LBB60_5
; %bb.1:
	v_mov_b32_e32 v1, 0x10000
	v_mov_b32_e32 v2, 0
	v_cmp_lt_i64_e32 vcc, s[18:19], v[1:2]
	v_mov_b32_e32 v2, 0
	s_and_b64 s[0:1], vcc, exec
	s_cselect_b32 s21, s19, 0
	s_cselect_b32 s20, s18, 0x10000
	v_lshlrev_b32_e32 v1, 2, v0
	v_cmp_gt_i64_e32 vcc, s[20:21], v[1:2]
	s_and_saveexec_b64 s[22:23], vcc
	s_cbranch_execz .LBB60_4
; %bb.2:
	v_cmp_eq_f64_e64 s[0:1], s[8:9], 1.0
	s_load_dword s2, s[4:5], 0xc04
	v_mov_b32_e32 v1, v2
	v_mov_b32_e32 v2, v1
	v_lshlrev_b32_e32 v3, 5, v0
	s_mov_b64 s[24:25], 0
	s_waitcnt lgkmcnt(0)
	s_and_b32 s33, s2, 0xffff
	s_lshl_b32 s34, s33, 5
	s_mov_b64 s[26:27], s[14:15]
	s_mov_b64 s[28:29], s[10:11]
	;; [unrolled: 1-line block ×3, first 2 shown]
	v_mov_b32_e32 v1, v0
.LBB60_3:                               ; =>This Inner Loop Header: Depth=1
	v_mov_b32_e32 v4, s27
	v_add_co_u32_e64 v18, s[2:3], s26, v3
	v_mov_b32_e32 v5, s29
	v_add_co_u32_e32 v16, vcc, s28, v3
	v_addc_co_u32_e64 v19, s[2:3], 0, v4, s[2:3]
	v_addc_co_u32_e32 v17, vcc, 0, v5, vcc
	global_load_dwordx4 v[4:7], v[18:19], off
	global_load_dwordx4 v[8:11], v[18:19], off offset:16
	global_load_dwordx4 v[12:15], v[16:17], off
	s_waitcnt vmcnt(2)
	v_div_scale_f64 v[18:19], s[2:3], v[4:5], v[4:5], s[12:13]
	v_div_scale_f64 v[20:21], vcc, s[12:13], v[4:5], s[12:13]
	v_div_scale_f64 v[22:23], s[2:3], v[6:7], v[6:7], s[12:13]
	v_div_scale_f64 v[24:25], s[2:3], s[12:13], v[6:7], s[12:13]
	s_waitcnt vmcnt(1)
	v_div_scale_f64 v[26:27], s[6:7], v[8:9], v[8:9], s[12:13]
	v_rcp_f64_e32 v[28:29], v[18:19]
	v_fma_f64 v[30:31], -v[18:19], v[28:29], 1.0
	v_fma_f64 v[28:29], v[28:29], v[30:31], v[28:29]
	v_fma_f64 v[30:31], -v[18:19], v[28:29], 1.0
	v_fma_f64 v[28:29], v[28:29], v[30:31], v[28:29]
	v_mul_f64 v[30:31], v[20:21], v[28:29]
	v_fma_f64 v[18:19], -v[18:19], v[30:31], v[20:21]
	v_div_scale_f64 v[20:21], s[6:7], s[12:13], v[8:9], s[12:13]
	v_div_fmas_f64 v[28:29], v[18:19], v[28:29], v[30:31]
	v_rcp_f64_e32 v[18:19], v[22:23]
	s_mov_b64 vcc, s[2:3]
	v_div_fixup_f64 v[4:5], v[28:29], v[4:5], s[12:13]
	v_fma_f64 v[30:31], -v[22:23], v[18:19], 1.0
	v_fma_f64 v[18:19], v[18:19], v[30:31], v[18:19]
	v_fma_f64 v[30:31], -v[22:23], v[18:19], 1.0
	v_fma_f64 v[18:19], v[18:19], v[30:31], v[18:19]
	v_mul_f64 v[30:31], v[24:25], v[18:19]
	v_fma_f64 v[22:23], -v[22:23], v[30:31], v[24:25]
	v_div_scale_f64 v[24:25], s[36:37], v[10:11], v[10:11], s[12:13]
	v_div_fmas_f64 v[22:23], v[22:23], v[18:19], v[30:31]
	v_rcp_f64_e32 v[18:19], v[26:27]
	s_mov_b64 vcc, s[6:7]
	v_div_fixup_f64 v[6:7], v[22:23], v[6:7], s[12:13]
	v_fma_f64 v[30:31], -v[26:27], v[18:19], 1.0
	v_fma_f64 v[18:19], v[18:19], v[30:31], v[18:19]
	v_fma_f64 v[30:31], -v[26:27], v[18:19], 1.0
	v_fma_f64 v[18:19], v[18:19], v[30:31], v[18:19]
	v_mul_f64 v[30:31], v[20:21], v[18:19]
	v_fma_f64 v[20:21], -v[26:27], v[30:31], v[20:21]
	v_div_scale_f64 v[26:27], s[2:3], s[12:13], v[10:11], s[12:13]
	v_div_fmas_f64 v[20:21], v[20:21], v[18:19], v[30:31]
	v_rcp_f64_e32 v[18:19], v[24:25]
	s_mov_b64 vcc, s[2:3]
	v_add_co_u32_e64 v1, s[2:3], s33, v1
	v_addc_co_u32_e64 v2, s[2:3], 0, v2, s[2:3]
	v_div_fixup_f64 v[8:9], v[20:21], v[8:9], s[12:13]
	v_fma_f64 v[30:31], -v[24:25], v[18:19], 1.0
	s_waitcnt vmcnt(0)
	v_add_f64 v[20:21], v[12:13], v[4:5]
	v_fma_f64 v[4:5], s[8:9], v[4:5], v[12:13]
	v_add_f64 v[12:13], v[14:15], v[6:7]
	v_fma_f64 v[6:7], s[8:9], v[6:7], v[14:15]
	v_fma_f64 v[18:19], v[18:19], v[30:31], v[18:19]
	v_cndmask_b32_e64 v5, v5, v21, s[0:1]
	v_cndmask_b32_e64 v4, v4, v20, s[0:1]
	;; [unrolled: 1-line block ×4, first 2 shown]
	v_fma_f64 v[30:31], -v[24:25], v[18:19], 1.0
	v_fma_f64 v[30:31], v[18:19], v[30:31], v[18:19]
	global_load_dwordx4 v[16:19], v[16:17], off offset:16
	v_mul_f64 v[32:33], v[26:27], v[30:31]
	v_fma_f64 v[24:25], -v[24:25], v[32:33], v[26:27]
	v_mov_b32_e32 v27, s31
	v_div_fmas_f64 v[24:25], v[24:25], v[30:31], v[32:33]
	v_add_co_u32_e32 v26, vcc, s30, v3
	s_add_u32 s30, s30, s34
	s_addc_u32 s31, s31, 0
	v_lshlrev_b64 v[30:31], 2, v[1:2]
	s_add_u32 s28, s28, s34
	v_addc_co_u32_e32 v27, vcc, 0, v27, vcc
	s_addc_u32 s29, s29, 0
	v_cmp_le_i64_e32 vcc, s[20:21], v[30:31]
	s_add_u32 s26, s26, s34
	s_addc_u32 s27, s27, 0
	s_or_b64 s[24:25], vcc, s[24:25]
	global_store_dwordx4 v[26:27], v[4:7], off
	v_div_fixup_f64 v[10:11], v[24:25], v[10:11], s[12:13]
	s_waitcnt vmcnt(1)
	v_add_f64 v[14:15], v[16:17], v[8:9]
	v_fma_f64 v[8:9], s[8:9], v[8:9], v[16:17]
	v_add_f64 v[16:17], v[18:19], v[10:11]
	v_fma_f64 v[10:11], s[8:9], v[10:11], v[18:19]
	v_cndmask_b32_e64 v9, v9, v15, s[0:1]
	v_cndmask_b32_e64 v8, v8, v14, s[0:1]
	;; [unrolled: 1-line block ×4, first 2 shown]
	global_store_dwordx4 v[26:27], v[8:11], off offset:16
	s_andn2_b64 exec, exec, s[24:25]
	s_cbranch_execnz .LBB60_3
.LBB60_4:
	s_or_b64 exec, exec, s[22:23]
	s_mov_b64 s[0:1], 0
.LBB60_5:
	s_andn2_b64 vcc, exec, s[0:1]
	s_cbranch_vccnz .LBB60_25
; %bb.6:
	v_cmp_lt_i64_e64 s[0:1], s[18:19], 1
	s_and_b64 vcc, exec, s[0:1]
	s_cbranch_vccnz .LBB60_25
; %bb.7:
	v_mov_b32_e32 v1, 0x10000
	v_mov_b32_e32 v2, 0
	v_cmp_lt_i64_e32 vcc, s[18:19], v[1:2]
	s_load_dword s4, s[4:5], 0xc04
	s_and_b64 s[0:1], vcc, exec
	v_cmp_eq_f64_e64 s[0:1], s[8:9], 1.0
	v_cmp_lt_u64_e32 vcc, s[18:19], v[1:2]
	s_cselect_b32 s3, s19, 0
	s_cselect_b32 s2, s18, 0x10000
	s_waitcnt lgkmcnt(0)
	s_and_b32 s20, s4, 0xffff
	s_and_b64 s[4:5], vcc, exec
	s_cselect_b32 s5, s19, 0
	s_cselect_b32 s4, s18, 0x10000
	s_lshl_b32 s21, s20, 1
	s_mul_i32 s22, s20, 3
	s_lshl_b32 s23, s20, 2
	s_mov_b64 s[6:7], 0
	s_branch .LBB60_9
.LBB60_8:                               ;   in Loop: Header=BB60_9 Depth=1
	s_or_b64 exec, exec, s[18:19]
	s_add_u32 s6, s6, s23
	s_waitcnt vmcnt(0)
	v_mov_b32_e32 v1, s2
	s_addc_u32 s7, s7, 0
	v_mov_b32_e32 v2, s3
	v_cmp_ge_i64_e32 vcc, s[6:7], v[1:2]
	s_cbranch_vccnz .LBB60_25
.LBB60_9:                               ; =>This Inner Loop Header: Depth=1
	v_mov_b32_e32 v1, s7
	v_add_co_u32_e32 v11, vcc, s6, v0
	v_addc_co_u32_e32 v12, vcc, 0, v1, vcc
	v_cmp_gt_i64_e32 vcc, s[2:3], v[11:12]
	v_mov_b32_e32 v3, 0
	v_mov_b32_e32 v23, 0
	;; [unrolled: 1-line block ×6, first 2 shown]
	s_and_saveexec_b64 s[18:19], vcc
	s_cbranch_execz .LBB60_11
; %bb.10:                               ;   in Loop: Header=BB60_9 Depth=1
	v_lshlrev_b64 v[1:2], 3, v[11:12]
	v_mov_b32_e32 v6, s11
	v_add_co_u32_e32 v5, vcc, s10, v1
	v_addc_co_u32_e32 v6, vcc, v6, v2, vcc
	v_mov_b32_e32 v7, s15
	v_add_co_u32_e32 v1, vcc, s14, v1
	v_addc_co_u32_e32 v2, vcc, v7, v2, vcc
	global_load_dwordx2 v[21:22], v[5:6], off
	global_load_dwordx2 v[23:24], v[1:2], off
.LBB60_11:                              ;   in Loop: Header=BB60_9 Depth=1
	s_or_b64 exec, exec, s[18:19]
	v_add_co_u32_e32 v9, vcc, s20, v11
	v_addc_co_u32_e32 v10, vcc, 0, v12, vcc
	v_cmp_gt_i64_e32 vcc, s[2:3], v[9:10]
	v_mov_b32_e32 v17, 0
	v_mov_b32_e32 v18, 0
	s_and_saveexec_b64 s[18:19], vcc
	s_cbranch_execz .LBB60_13
; %bb.12:                               ;   in Loop: Header=BB60_9 Depth=1
	v_lshlrev_b64 v[1:2], 3, v[9:10]
	v_mov_b32_e32 v3, s11
	v_add_co_u32_e32 v5, vcc, s10, v1
	v_addc_co_u32_e32 v6, vcc, v3, v2, vcc
	v_mov_b32_e32 v3, s15
	v_add_co_u32_e32 v1, vcc, s14, v1
	v_addc_co_u32_e32 v2, vcc, v3, v2, vcc
	global_load_dwordx2 v[17:18], v[5:6], off
	global_load_dwordx2 v[3:4], v[1:2], off
.LBB60_13:                              ;   in Loop: Header=BB60_9 Depth=1
	s_or_b64 exec, exec, s[18:19]
	v_add_co_u32_e32 v7, vcc, s21, v11
	v_addc_co_u32_e32 v8, vcc, 0, v12, vcc
	v_cmp_gt_i64_e32 vcc, s[2:3], v[7:8]
	v_mov_b32_e32 v1, 0
	v_mov_b32_e32 v19, 0
	v_mov_b32_e32 v15, 0
	v_mov_b32_e32 v2, 0
	v_mov_b32_e32 v20, 0
	v_mov_b32_e32 v16, 0
	s_and_saveexec_b64 s[18:19], vcc
	s_cbranch_execz .LBB60_15
; %bb.14:                               ;   in Loop: Header=BB60_9 Depth=1
	v_lshlrev_b64 v[5:6], 3, v[7:8]
	v_mov_b32_e32 v14, s11
	v_add_co_u32_e32 v13, vcc, s10, v5
	v_addc_co_u32_e32 v14, vcc, v14, v6, vcc
	v_mov_b32_e32 v15, s15
	v_add_co_u32_e32 v5, vcc, s14, v5
	v_addc_co_u32_e32 v6, vcc, v15, v6, vcc
	global_load_dwordx2 v[15:16], v[13:14], off
	global_load_dwordx2 v[19:20], v[5:6], off
.LBB60_15:                              ;   in Loop: Header=BB60_9 Depth=1
	s_or_b64 exec, exec, s[18:19]
	v_add_co_u32_e32 v5, vcc, s22, v11
	v_addc_co_u32_e32 v6, vcc, 0, v12, vcc
	v_cmp_gt_i64_e32 vcc, s[2:3], v[5:6]
	v_mov_b32_e32 v13, 0
	v_mov_b32_e32 v14, 0
	s_and_saveexec_b64 s[18:19], vcc
	s_cbranch_execnz .LBB60_20
; %bb.16:                               ;   in Loop: Header=BB60_9 Depth=1
	s_or_b64 exec, exec, s[18:19]
	v_cmp_gt_u64_e32 vcc, s[4:5], v[11:12]
	s_and_saveexec_b64 s[18:19], vcc
	s_cbranch_execnz .LBB60_21
.LBB60_17:                              ;   in Loop: Header=BB60_9 Depth=1
	s_or_b64 exec, exec, s[18:19]
	v_cmp_gt_u64_e32 vcc, s[4:5], v[9:10]
	s_and_saveexec_b64 s[18:19], vcc
	s_cbranch_execnz .LBB60_22
.LBB60_18:                              ;   in Loop: Header=BB60_9 Depth=1
	s_or_b64 exec, exec, s[18:19]
	v_cmp_gt_u64_e32 vcc, s[4:5], v[7:8]
	s_and_saveexec_b64 s[18:19], vcc
	s_cbranch_execnz .LBB60_23
.LBB60_19:                              ;   in Loop: Header=BB60_9 Depth=1
	s_or_b64 exec, exec, s[18:19]
	v_cmp_gt_u64_e32 vcc, s[4:5], v[5:6]
	s_and_saveexec_b64 s[18:19], vcc
	s_cbranch_execz .LBB60_8
	s_branch .LBB60_24
.LBB60_20:                              ;   in Loop: Header=BB60_9 Depth=1
	v_lshlrev_b64 v[1:2], 3, v[5:6]
	v_mov_b32_e32 v13, s11
	v_add_co_u32_e32 v25, vcc, s10, v1
	v_addc_co_u32_e32 v26, vcc, v13, v2, vcc
	v_mov_b32_e32 v13, s15
	v_add_co_u32_e32 v27, vcc, s14, v1
	v_addc_co_u32_e32 v28, vcc, v13, v2, vcc
	global_load_dwordx2 v[13:14], v[25:26], off
	global_load_dwordx2 v[1:2], v[27:28], off
	s_or_b64 exec, exec, s[18:19]
	v_cmp_gt_u64_e32 vcc, s[4:5], v[11:12]
	s_and_saveexec_b64 s[18:19], vcc
	s_cbranch_execz .LBB60_17
.LBB60_21:                              ;   in Loop: Header=BB60_9 Depth=1
	s_waitcnt vmcnt(0)
	v_div_scale_f64 v[25:26], s[24:25], v[23:24], v[23:24], s[12:13]
	v_lshlrev_b64 v[11:12], 3, v[11:12]
	v_rcp_f64_e32 v[27:28], v[25:26]
	v_fma_f64 v[29:30], -v[25:26], v[27:28], 1.0
	v_fma_f64 v[27:28], v[27:28], v[29:30], v[27:28]
	v_div_scale_f64 v[29:30], vcc, s[12:13], v[23:24], s[12:13]
	v_fma_f64 v[31:32], -v[25:26], v[27:28], 1.0
	v_fma_f64 v[27:28], v[27:28], v[31:32], v[27:28]
	v_mul_f64 v[31:32], v[29:30], v[27:28]
	v_fma_f64 v[25:26], -v[25:26], v[31:32], v[29:30]
	v_div_fmas_f64 v[25:26], v[25:26], v[27:28], v[31:32]
	v_add_co_u32_e32 v11, vcc, s16, v11
	v_div_fixup_f64 v[23:24], v[25:26], v[23:24], s[12:13]
	v_add_f64 v[25:26], v[21:22], v[23:24]
	v_fma_f64 v[21:22], s[8:9], v[23:24], v[21:22]
	v_mov_b32_e32 v23, s17
	v_addc_co_u32_e32 v12, vcc, v23, v12, vcc
	v_cndmask_b32_e64 v22, v22, v26, s[0:1]
	v_cndmask_b32_e64 v21, v21, v25, s[0:1]
	global_store_dwordx2 v[11:12], v[21:22], off
	s_or_b64 exec, exec, s[18:19]
	v_cmp_gt_u64_e32 vcc, s[4:5], v[9:10]
	s_and_saveexec_b64 s[18:19], vcc
	s_cbranch_execz .LBB60_18
.LBB60_22:                              ;   in Loop: Header=BB60_9 Depth=1
	s_waitcnt vmcnt(0)
	v_div_scale_f64 v[11:12], s[24:25], v[3:4], v[3:4], s[12:13]
	v_lshlrev_b64 v[9:10], 3, v[9:10]
	v_rcp_f64_e32 v[21:22], v[11:12]
	v_fma_f64 v[23:24], -v[11:12], v[21:22], 1.0
	v_fma_f64 v[21:22], v[21:22], v[23:24], v[21:22]
	v_div_scale_f64 v[23:24], vcc, s[12:13], v[3:4], s[12:13]
	v_fma_f64 v[25:26], -v[11:12], v[21:22], 1.0
	v_fma_f64 v[21:22], v[21:22], v[25:26], v[21:22]
	v_mul_f64 v[25:26], v[23:24], v[21:22]
	v_fma_f64 v[11:12], -v[11:12], v[25:26], v[23:24]
	v_div_fmas_f64 v[11:12], v[11:12], v[21:22], v[25:26]
	v_add_co_u32_e32 v9, vcc, s16, v9
	v_div_fixup_f64 v[3:4], v[11:12], v[3:4], s[12:13]
	v_add_f64 v[11:12], v[17:18], v[3:4]
	v_fma_f64 v[3:4], s[8:9], v[3:4], v[17:18]
	v_mov_b32_e32 v17, s17
	v_addc_co_u32_e32 v10, vcc, v17, v10, vcc
	v_cndmask_b32_e64 v4, v4, v12, s[0:1]
	v_cndmask_b32_e64 v3, v3, v11, s[0:1]
	global_store_dwordx2 v[9:10], v[3:4], off
	s_or_b64 exec, exec, s[18:19]
	v_cmp_gt_u64_e32 vcc, s[4:5], v[7:8]
	s_and_saveexec_b64 s[18:19], vcc
	s_cbranch_execz .LBB60_19
.LBB60_23:                              ;   in Loop: Header=BB60_9 Depth=1
	s_waitcnt vmcnt(0)
	v_div_scale_f64 v[3:4], s[24:25], v[19:20], v[19:20], s[12:13]
	v_lshlrev_b64 v[7:8], 3, v[7:8]
	v_rcp_f64_e32 v[9:10], v[3:4]
	v_fma_f64 v[11:12], -v[3:4], v[9:10], 1.0
	v_fma_f64 v[9:10], v[9:10], v[11:12], v[9:10]
	v_div_scale_f64 v[11:12], vcc, s[12:13], v[19:20], s[12:13]
	v_fma_f64 v[17:18], -v[3:4], v[9:10], 1.0
	v_fma_f64 v[9:10], v[9:10], v[17:18], v[9:10]
	v_mul_f64 v[17:18], v[11:12], v[9:10]
	v_fma_f64 v[3:4], -v[3:4], v[17:18], v[11:12]
	v_mov_b32_e32 v11, s17
	v_div_fmas_f64 v[3:4], v[3:4], v[9:10], v[17:18]
	v_add_co_u32_e32 v7, vcc, s16, v7
	v_addc_co_u32_e32 v8, vcc, v11, v8, vcc
	v_div_fixup_f64 v[3:4], v[3:4], v[19:20], s[12:13]
	v_add_f64 v[9:10], v[15:16], v[3:4]
	v_fma_f64 v[3:4], s[8:9], v[3:4], v[15:16]
	v_cndmask_b32_e64 v4, v4, v10, s[0:1]
	v_cndmask_b32_e64 v3, v3, v9, s[0:1]
	global_store_dwordx2 v[7:8], v[3:4], off
	s_or_b64 exec, exec, s[18:19]
	v_cmp_gt_u64_e32 vcc, s[4:5], v[5:6]
	s_and_saveexec_b64 s[18:19], vcc
	s_cbranch_execz .LBB60_8
.LBB60_24:                              ;   in Loop: Header=BB60_9 Depth=1
	s_waitcnt vmcnt(0)
	v_div_scale_f64 v[3:4], s[24:25], v[1:2], v[1:2], s[12:13]
	v_lshlrev_b64 v[5:6], 3, v[5:6]
	v_rcp_f64_e32 v[7:8], v[3:4]
	v_fma_f64 v[9:10], -v[3:4], v[7:8], 1.0
	v_fma_f64 v[7:8], v[7:8], v[9:10], v[7:8]
	v_div_scale_f64 v[9:10], vcc, s[12:13], v[1:2], s[12:13]
	v_fma_f64 v[11:12], -v[3:4], v[7:8], 1.0
	v_fma_f64 v[7:8], v[7:8], v[11:12], v[7:8]
	v_mul_f64 v[11:12], v[9:10], v[7:8]
	v_fma_f64 v[3:4], -v[3:4], v[11:12], v[9:10]
	v_div_fmas_f64 v[3:4], v[3:4], v[7:8], v[11:12]
	v_mov_b32_e32 v7, s17
	v_div_fixup_f64 v[1:2], v[3:4], v[1:2], s[12:13]
	v_add_f64 v[3:4], v[13:14], v[1:2]
	v_fma_f64 v[1:2], s[8:9], v[1:2], v[13:14]
	v_cndmask_b32_e64 v1, v1, v3, s[0:1]
	v_add_co_u32_e32 v3, vcc, s16, v5
	v_cndmask_b32_e64 v2, v2, v4, s[0:1]
	v_addc_co_u32_e32 v4, vcc, v7, v6, vcc
	global_store_dwordx2 v[3:4], v[1:2], off
	s_branch .LBB60_8
.LBB60_25:
	s_endpgm
	.section	.rodata,"a",@progbits
	.p2align	6, 0x0
	.amdhsa_kernel _ZN2at6native12_GLOBAL__N_125multi_tensor_apply_kernelINS1_18TensorListMetadataILi4EEENS1_32PointwiseOpScalar0dTensorFunctorIdLi4ELi2ELi3EEEJSt7dividesIdEdEEEvT_T0_DpT1_
		.amdhsa_group_segment_fixed_size 0
		.amdhsa_private_segment_fixed_size 0
		.amdhsa_kernarg_size 3320
		.amdhsa_user_sgpr_count 6
		.amdhsa_user_sgpr_private_segment_buffer 1
		.amdhsa_user_sgpr_dispatch_ptr 0
		.amdhsa_user_sgpr_queue_ptr 0
		.amdhsa_user_sgpr_kernarg_segment_ptr 1
		.amdhsa_user_sgpr_dispatch_id 0
		.amdhsa_user_sgpr_flat_scratch_init 0
		.amdhsa_user_sgpr_private_segment_size 0
		.amdhsa_uses_dynamic_stack 0
		.amdhsa_system_sgpr_private_segment_wavefront_offset 0
		.amdhsa_system_sgpr_workgroup_id_x 1
		.amdhsa_system_sgpr_workgroup_id_y 0
		.amdhsa_system_sgpr_workgroup_id_z 0
		.amdhsa_system_sgpr_workgroup_info 0
		.amdhsa_system_vgpr_workitem_id 0
		.amdhsa_next_free_vgpr 34
		.amdhsa_next_free_sgpr 38
		.amdhsa_reserve_vcc 1
		.amdhsa_reserve_flat_scratch 0
		.amdhsa_float_round_mode_32 0
		.amdhsa_float_round_mode_16_64 0
		.amdhsa_float_denorm_mode_32 3
		.amdhsa_float_denorm_mode_16_64 3
		.amdhsa_dx10_clamp 1
		.amdhsa_ieee_mode 1
		.amdhsa_fp16_overflow 0
		.amdhsa_exception_fp_ieee_invalid_op 0
		.amdhsa_exception_fp_denorm_src 0
		.amdhsa_exception_fp_ieee_div_zero 0
		.amdhsa_exception_fp_ieee_overflow 0
		.amdhsa_exception_fp_ieee_underflow 0
		.amdhsa_exception_fp_ieee_inexact 0
		.amdhsa_exception_int_div_zero 0
	.end_amdhsa_kernel
	.section	.text._ZN2at6native12_GLOBAL__N_125multi_tensor_apply_kernelINS1_18TensorListMetadataILi4EEENS1_32PointwiseOpScalar0dTensorFunctorIdLi4ELi2ELi3EEEJSt7dividesIdEdEEEvT_T0_DpT1_,"axG",@progbits,_ZN2at6native12_GLOBAL__N_125multi_tensor_apply_kernelINS1_18TensorListMetadataILi4EEENS1_32PointwiseOpScalar0dTensorFunctorIdLi4ELi2ELi3EEEJSt7dividesIdEdEEEvT_T0_DpT1_,comdat
.Lfunc_end60:
	.size	_ZN2at6native12_GLOBAL__N_125multi_tensor_apply_kernelINS1_18TensorListMetadataILi4EEENS1_32PointwiseOpScalar0dTensorFunctorIdLi4ELi2ELi3EEEJSt7dividesIdEdEEEvT_T0_DpT1_, .Lfunc_end60-_ZN2at6native12_GLOBAL__N_125multi_tensor_apply_kernelINS1_18TensorListMetadataILi4EEENS1_32PointwiseOpScalar0dTensorFunctorIdLi4ELi2ELi3EEEJSt7dividesIdEdEEEvT_T0_DpT1_
                                        ; -- End function
	.set _ZN2at6native12_GLOBAL__N_125multi_tensor_apply_kernelINS1_18TensorListMetadataILi4EEENS1_32PointwiseOpScalar0dTensorFunctorIdLi4ELi2ELi3EEEJSt7dividesIdEdEEEvT_T0_DpT1_.num_vgpr, 34
	.set _ZN2at6native12_GLOBAL__N_125multi_tensor_apply_kernelINS1_18TensorListMetadataILi4EEENS1_32PointwiseOpScalar0dTensorFunctorIdLi4ELi2ELi3EEEJSt7dividesIdEdEEEvT_T0_DpT1_.num_agpr, 0
	.set _ZN2at6native12_GLOBAL__N_125multi_tensor_apply_kernelINS1_18TensorListMetadataILi4EEENS1_32PointwiseOpScalar0dTensorFunctorIdLi4ELi2ELi3EEEJSt7dividesIdEdEEEvT_T0_DpT1_.numbered_sgpr, 38
	.set _ZN2at6native12_GLOBAL__N_125multi_tensor_apply_kernelINS1_18TensorListMetadataILi4EEENS1_32PointwiseOpScalar0dTensorFunctorIdLi4ELi2ELi3EEEJSt7dividesIdEdEEEvT_T0_DpT1_.num_named_barrier, 0
	.set _ZN2at6native12_GLOBAL__N_125multi_tensor_apply_kernelINS1_18TensorListMetadataILi4EEENS1_32PointwiseOpScalar0dTensorFunctorIdLi4ELi2ELi3EEEJSt7dividesIdEdEEEvT_T0_DpT1_.private_seg_size, 0
	.set _ZN2at6native12_GLOBAL__N_125multi_tensor_apply_kernelINS1_18TensorListMetadataILi4EEENS1_32PointwiseOpScalar0dTensorFunctorIdLi4ELi2ELi3EEEJSt7dividesIdEdEEEvT_T0_DpT1_.uses_vcc, 1
	.set _ZN2at6native12_GLOBAL__N_125multi_tensor_apply_kernelINS1_18TensorListMetadataILi4EEENS1_32PointwiseOpScalar0dTensorFunctorIdLi4ELi2ELi3EEEJSt7dividesIdEdEEEvT_T0_DpT1_.uses_flat_scratch, 0
	.set _ZN2at6native12_GLOBAL__N_125multi_tensor_apply_kernelINS1_18TensorListMetadataILi4EEENS1_32PointwiseOpScalar0dTensorFunctorIdLi4ELi2ELi3EEEJSt7dividesIdEdEEEvT_T0_DpT1_.has_dyn_sized_stack, 0
	.set _ZN2at6native12_GLOBAL__N_125multi_tensor_apply_kernelINS1_18TensorListMetadataILi4EEENS1_32PointwiseOpScalar0dTensorFunctorIdLi4ELi2ELi3EEEJSt7dividesIdEdEEEvT_T0_DpT1_.has_recursion, 0
	.set _ZN2at6native12_GLOBAL__N_125multi_tensor_apply_kernelINS1_18TensorListMetadataILi4EEENS1_32PointwiseOpScalar0dTensorFunctorIdLi4ELi2ELi3EEEJSt7dividesIdEdEEEvT_T0_DpT1_.has_indirect_call, 0
	.section	.AMDGPU.csdata,"",@progbits
; Kernel info:
; codeLenInByte = 2260
; TotalNumSgprs: 42
; NumVgprs: 34
; ScratchSize: 0
; MemoryBound: 0
; FloatMode: 240
; IeeeMode: 1
; LDSByteSize: 0 bytes/workgroup (compile time only)
; SGPRBlocks: 5
; VGPRBlocks: 8
; NumSGPRsForWavesPerEU: 42
; NumVGPRsForWavesPerEU: 34
; Occupancy: 7
; WaveLimiterHint : 0
; COMPUTE_PGM_RSRC2:SCRATCH_EN: 0
; COMPUTE_PGM_RSRC2:USER_SGPR: 6
; COMPUTE_PGM_RSRC2:TRAP_HANDLER: 0
; COMPUTE_PGM_RSRC2:TGID_X_EN: 1
; COMPUTE_PGM_RSRC2:TGID_Y_EN: 0
; COMPUTE_PGM_RSRC2:TGID_Z_EN: 0
; COMPUTE_PGM_RSRC2:TIDIG_COMP_CNT: 0
	.section	.text._ZN2at6native12_GLOBAL__N_125multi_tensor_apply_kernelINS1_18TensorListMetadataILi4EEENS1_32PointwiseOpScalar0dTensorFunctorIfLi4ELi2ELi3EEEJSt7dividesIfEfEEEvT_T0_DpT1_,"axG",@progbits,_ZN2at6native12_GLOBAL__N_125multi_tensor_apply_kernelINS1_18TensorListMetadataILi4EEENS1_32PointwiseOpScalar0dTensorFunctorIfLi4ELi2ELi3EEEJSt7dividesIfEfEEEvT_T0_DpT1_,comdat
	.globl	_ZN2at6native12_GLOBAL__N_125multi_tensor_apply_kernelINS1_18TensorListMetadataILi4EEENS1_32PointwiseOpScalar0dTensorFunctorIfLi4ELi2ELi3EEEJSt7dividesIfEfEEEvT_T0_DpT1_ ; -- Begin function _ZN2at6native12_GLOBAL__N_125multi_tensor_apply_kernelINS1_18TensorListMetadataILi4EEENS1_32PointwiseOpScalar0dTensorFunctorIfLi4ELi2ELi3EEEJSt7dividesIfEfEEEvT_T0_DpT1_
	.p2align	8
	.type	_ZN2at6native12_GLOBAL__N_125multi_tensor_apply_kernelINS1_18TensorListMetadataILi4EEENS1_32PointwiseOpScalar0dTensorFunctorIfLi4ELi2ELi3EEEJSt7dividesIfEfEEEvT_T0_DpT1_,@function
_ZN2at6native12_GLOBAL__N_125multi_tensor_apply_kernelINS1_18TensorListMetadataILi4EEENS1_32PointwiseOpScalar0dTensorFunctorIfLi4ELi2ELi3EEEJSt7dividesIfEfEEEvT_T0_DpT1_: ; @_ZN2at6native12_GLOBAL__N_125multi_tensor_apply_kernelINS1_18TensorListMetadataILi4EEENS1_32PointwiseOpScalar0dTensorFunctorIfLi4ELi2ELi3EEEJSt7dividesIfEfEEEvT_T0_DpT1_
; %bb.0:
	v_mov_b32_e32 v1, s6
	global_load_ubyte v1, v1, s[4:5] offset:1440
	s_add_u32 s0, s4, s6
	s_mul_hi_u32 s1, s6, 3
	s_mul_i32 s6, s6, 3
	s_addc_u32 s2, s5, 0
	s_add_u32 s0, s0, s6
	s_addc_u32 s1, s2, s1
	s_load_dword s0, s[0:1], 0x6e0
	s_mov_b32 s3, 0
	s_mov_b32 s7, s3
	s_mov_b32 s9, s3
	s_waitcnt lgkmcnt(0)
	s_ashr_i32 s1, s0, 31
	s_lshl_b64 s[10:11], s[0:1], 18
	s_waitcnt vmcnt(0)
	v_readfirstlane_b32 s2, v1
	s_lshl_b32 s2, s2, 3
	s_load_dwordx2 s[12:13], s[4:5], s2 offset:0x0
	s_load_dwordx2 s[14:15], s[4:5], s2 offset:0x120
	s_load_dword s33, s[4:5], 0xbec
	s_load_dwordx2 s[20:21], s[4:5], s2 offset:0x480
	s_load_dwordx2 s[16:17], s[4:5], s2 offset:0x240
	;; [unrolled: 1-line block ×3, first 2 shown]
	s_waitcnt lgkmcnt(0)
	s_add_u32 s12, s12, s10
	s_addc_u32 s13, s13, s11
	s_add_u32 s6, s14, s10
	s_and_b32 s2, s12, 15
	s_and_b32 s6, s6, 15
	s_cmp_lg_u64 s[6:7], 0
	s_load_dword s34, s[14:15], 0x0
	s_cselect_b64 s[6:7], -1, 0
	s_add_u32 s14, s16, s10
	s_addc_u32 s15, s17, s11
	s_add_u32 s16, s18, s10
	s_addc_u32 s17, s19, s11
	s_or_b32 s8, s16, s14
	s_and_b32 s8, s8, 15
	s_cmp_lg_u32 s8, 0
	s_cselect_b64 s[10:11], -1, 0
	s_lshl_b64 s[0:1], s[0:1], 16
	s_or_b64 s[6:7], s[10:11], s[6:7]
	s_sub_u32 s18, s20, s0
	s_subb_u32 s19, s21, s1
	s_and_b32 s8, s20, 3
	s_or_b64 s[0:1], s[2:3], s[8:9]
	s_cmp_lg_u64 s[0:1], 0
	s_cselect_b64 s[0:1], -1, 0
	s_or_b64 s[0:1], s[6:7], s[0:1]
	s_andn2_b64 vcc, exec, s[0:1]
	s_mov_b64 s[0:1], -1
	s_cbranch_vccz .LBB61_5
; %bb.1:
	v_mov_b32_e32 v1, 0x10000
	v_mov_b32_e32 v2, 0
	v_cmp_lt_i64_e32 vcc, s[18:19], v[1:2]
	v_mov_b32_e32 v2, 0
	s_and_b64 s[0:1], vcc, exec
	s_cselect_b32 s21, s19, 0
	s_cselect_b32 s20, s18, 0x10000
	v_lshlrev_b32_e32 v1, 2, v0
	v_cmp_gt_i64_e32 vcc, s[20:21], v[1:2]
	s_and_saveexec_b64 s[22:23], vcc
	s_cbranch_execz .LBB61_4
; %bb.2:
	s_load_dword s2, s[4:5], 0xbfc
	v_mov_b32_e32 v1, v2
	v_mov_b32_e32 v2, v1
	v_cmp_eq_f32_e64 s[0:1], s33, 1.0
	v_lshlrev_b32_e32 v3, 4, v0
	s_waitcnt lgkmcnt(0)
	s_and_b32 s35, s2, 0xffff
	s_mov_b64 s[24:25], 0
	s_lshl_b32 s36, s35, 4
	s_mov_b64 s[26:27], s[14:15]
	s_mov_b64 s[28:29], s[12:13]
	;; [unrolled: 1-line block ×3, first 2 shown]
	v_mov_b32_e32 v1, v0
.LBB61_3:                               ; =>This Inner Loop Header: Depth=1
	v_add_co_u32_e64 v1, s[2:3], s35, v1
	v_addc_co_u32_e64 v2, s[2:3], 0, v2, s[2:3]
	v_mov_b32_e32 v5, s29
	v_mov_b32_e32 v6, s27
	v_add_co_u32_e32 v4, vcc, s26, v3
	v_add_co_u32_e64 v8, s[2:3], s28, v3
	v_addc_co_u32_e64 v9, s[2:3], 0, v5, s[2:3]
	v_addc_co_u32_e32 v5, vcc, 0, v6, vcc
	global_load_dwordx4 v[4:7], v[4:5], off
	v_lshlrev_b64 v[10:11], 2, v[1:2]
	v_cmp_le_i64_e64 s[2:3], s[20:21], v[10:11]
	s_waitcnt vmcnt(0)
	v_div_scale_f32 v10, s[6:7], v4, v4, s34
	v_div_scale_f32 v11, s[6:7], v5, v5, s34
	;; [unrolled: 1-line block ×4, first 2 shown]
	v_div_scale_f32 v14, vcc, s34, v4, s34
	v_rcp_f32_e32 v15, v10
	v_rcp_f32_e32 v16, v11
	;; [unrolled: 1-line block ×3, first 2 shown]
	v_fma_f32 v19, -v10, v15, 1.0
	v_rcp_f32_e32 v18, v13
	v_fma_f32 v20, -v11, v16, 1.0
	v_fmac_f32_e32 v15, v19, v15
	v_fma_f32 v19, -v12, v17, 1.0
	v_fmac_f32_e32 v16, v20, v16
	;; [unrolled: 2-line block ×3, first 2 shown]
	v_mul_f32_e32 v19, v14, v15
	v_fmac_f32_e32 v18, v20, v18
	v_fma_f32 v20, -v10, v19, v14
	v_fmac_f32_e32 v19, v20, v15
	v_div_scale_f32 v20, s[6:7], s34, v5, s34
	v_fma_f32 v10, -v10, v19, v14
	v_div_scale_f32 v14, s[8:9], s34, v6, s34
	v_div_fmas_f32 v15, v10, v15, v19
	s_mov_b64 vcc, s[6:7]
	v_mul_f32_e32 v10, v20, v16
	v_fma_f32 v19, -v11, v10, v20
	v_fmac_f32_e32 v10, v19, v16
	v_mul_f32_e32 v19, v14, v17
	v_fma_f32 v21, -v12, v19, v14
	v_fmac_f32_e32 v19, v21, v17
	v_fma_f32 v11, -v11, v10, v20
	v_fma_f32 v12, -v12, v19, v14
	v_div_fmas_f32 v14, v11, v16, v10
	global_load_dwordx4 v[8:11], v[8:9], off
	v_div_scale_f32 v21, s[10:11], s34, v7, s34
	s_mov_b64 vcc, s[8:9]
	v_div_fmas_f32 v12, v12, v17, v19
	s_mov_b64 vcc, s[10:11]
	v_div_fixup_f32 v4, v15, v4, s34
	v_mov_b32_e32 v16, s31
	v_div_fixup_f32 v5, v14, v5, s34
	v_mul_f32_e32 v22, v21, v18
	v_fma_f32 v23, -v13, v22, v21
	v_fmac_f32_e32 v22, v23, v18
	v_fma_f32 v13, -v13, v22, v21
	v_div_fmas_f32 v13, v13, v18, v22
	v_div_fixup_f32 v6, v12, v6, s34
	v_div_fixup_f32 v7, v13, v7, s34
	s_waitcnt vmcnt(0)
	v_add_f32_e32 v15, v8, v4
	v_fma_f32 v4, s33, v4, v8
	v_add_f32_e32 v8, v9, v5
	v_fma_f32 v5, s33, v5, v9
	v_cndmask_b32_e64 v5, v5, v8, s[0:1]
	v_add_co_u32_e32 v8, vcc, s30, v3
	s_add_u32 s30, s30, s36
	s_addc_u32 s31, s31, 0
	s_add_u32 s28, s28, s36
	s_addc_u32 s29, s29, 0
	;; [unrolled: 2-line block ×3, first 2 shown]
	v_add_f32_e32 v12, v10, v6
	v_fma_f32 v6, s33, v6, v10
	v_add_f32_e32 v10, v11, v7
	v_fmac_f32_e32 v11, s33, v7
	v_cndmask_b32_e64 v4, v4, v15, s[0:1]
	v_addc_co_u32_e32 v9, vcc, 0, v16, vcc
	s_or_b64 s[24:25], s[2:3], s[24:25]
	v_cndmask_b32_e64 v6, v6, v12, s[0:1]
	v_cndmask_b32_e64 v7, v11, v10, s[0:1]
	global_store_dwordx4 v[8:9], v[4:7], off
	s_andn2_b64 exec, exec, s[24:25]
	s_cbranch_execnz .LBB61_3
.LBB61_4:
	s_or_b64 exec, exec, s[22:23]
	s_mov_b64 s[0:1], 0
.LBB61_5:
	s_andn2_b64 vcc, exec, s[0:1]
	s_cbranch_vccnz .LBB61_25
; %bb.6:
	v_cmp_lt_i64_e64 s[0:1], s[18:19], 1
	s_and_b64 vcc, exec, s[0:1]
	s_cbranch_vccnz .LBB61_25
; %bb.7:
	v_mov_b32_e32 v1, 0x10000
	s_load_dword s4, s[4:5], 0xbfc
	v_mov_b32_e32 v2, 0
	v_cmp_lt_i64_e32 vcc, s[18:19], v[1:2]
	s_mov_b64 s[6:7], 0
	s_and_b64 s[0:1], vcc, exec
	v_cmp_lt_u64_e32 vcc, s[18:19], v[1:2]
	s_cselect_b32 s3, s19, 0
	s_cselect_b32 s2, s18, 0x10000
	s_waitcnt lgkmcnt(0)
	s_and_b32 s10, s4, 0xffff
	s_and_b64 s[4:5], vcc, exec
	v_cmp_eq_f32_e64 s[0:1], s33, 1.0
	s_cselect_b32 s5, s19, 0
	s_cselect_b32 s4, s18, 0x10000
	s_lshl_b32 s11, s10, 1
	s_mul_i32 s18, s10, 3
	s_lshl_b32 s19, s10, 2
	s_branch .LBB61_9
.LBB61_8:                               ;   in Loop: Header=BB61_9 Depth=1
	s_or_b64 exec, exec, s[8:9]
	s_add_u32 s6, s6, s19
	v_mov_b32_e32 v1, s2
	s_addc_u32 s7, s7, 0
	v_mov_b32_e32 v2, s3
	v_cmp_ge_i64_e32 vcc, s[6:7], v[1:2]
	s_cbranch_vccnz .LBB61_25
.LBB61_9:                               ; =>This Inner Loop Header: Depth=1
	v_mov_b32_e32 v1, s7
	v_add_co_u32_e32 v7, vcc, s6, v0
	v_addc_co_u32_e32 v8, vcc, 0, v1, vcc
	v_cmp_gt_i64_e32 vcc, s[2:3], v[7:8]
	s_waitcnt vmcnt(0)
	v_mov_b32_e32 v16, 0
	v_mov_b32_e32 v15, 0
	s_and_saveexec_b64 s[8:9], vcc
	s_cbranch_execz .LBB61_11
; %bb.10:                               ;   in Loop: Header=BB61_9 Depth=1
	v_lshlrev_b64 v[1:2], 2, v[7:8]
	v_mov_b32_e32 v4, s13
	v_add_co_u32_e32 v3, vcc, s12, v1
	v_addc_co_u32_e32 v4, vcc, v4, v2, vcc
	v_mov_b32_e32 v5, s15
	v_add_co_u32_e32 v1, vcc, s14, v1
	v_addc_co_u32_e32 v2, vcc, v5, v2, vcc
	global_load_dword v15, v[3:4], off
	global_load_dword v16, v[1:2], off
.LBB61_11:                              ;   in Loop: Header=BB61_9 Depth=1
	s_or_b64 exec, exec, s[8:9]
	v_add_co_u32_e32 v5, vcc, s10, v7
	v_addc_co_u32_e32 v6, vcc, 0, v8, vcc
	v_cmp_gt_i64_e32 vcc, s[2:3], v[5:6]
	v_mov_b32_e32 v9, 0
	v_mov_b32_e32 v14, 0
	;; [unrolled: 1-line block ×3, first 2 shown]
	s_and_saveexec_b64 s[8:9], vcc
	s_cbranch_execz .LBB61_13
; %bb.12:                               ;   in Loop: Header=BB61_9 Depth=1
	v_lshlrev_b64 v[1:2], 2, v[5:6]
	v_mov_b32_e32 v4, s13
	v_add_co_u32_e32 v3, vcc, s12, v1
	v_addc_co_u32_e32 v4, vcc, v4, v2, vcc
	v_mov_b32_e32 v10, s15
	v_add_co_u32_e32 v1, vcc, s14, v1
	v_addc_co_u32_e32 v2, vcc, v10, v2, vcc
	global_load_dword v13, v[3:4], off
	global_load_dword v14, v[1:2], off
.LBB61_13:                              ;   in Loop: Header=BB61_9 Depth=1
	s_or_b64 exec, exec, s[8:9]
	v_add_co_u32_e32 v3, vcc, s11, v7
	v_addc_co_u32_e32 v4, vcc, 0, v8, vcc
	v_cmp_gt_i64_e32 vcc, s[2:3], v[3:4]
	v_mov_b32_e32 v12, 0
	s_and_saveexec_b64 s[8:9], vcc
	s_cbranch_execz .LBB61_15
; %bb.14:                               ;   in Loop: Header=BB61_9 Depth=1
	v_lshlrev_b64 v[1:2], 2, v[3:4]
	v_mov_b32_e32 v9, s13
	v_add_co_u32_e32 v10, vcc, s12, v1
	v_addc_co_u32_e32 v11, vcc, v9, v2, vcc
	v_mov_b32_e32 v9, s15
	v_add_co_u32_e32 v1, vcc, s14, v1
	v_addc_co_u32_e32 v2, vcc, v9, v2, vcc
	global_load_dword v12, v[10:11], off
	global_load_dword v9, v[1:2], off
.LBB61_15:                              ;   in Loop: Header=BB61_9 Depth=1
	s_or_b64 exec, exec, s[8:9]
	v_add_co_u32_e32 v1, vcc, s18, v7
	v_addc_co_u32_e32 v2, vcc, 0, v8, vcc
	v_cmp_gt_i64_e32 vcc, s[2:3], v[1:2]
	v_mov_b32_e32 v11, 0
	v_mov_b32_e32 v10, 0
	s_and_saveexec_b64 s[8:9], vcc
	s_cbranch_execnz .LBB61_20
; %bb.16:                               ;   in Loop: Header=BB61_9 Depth=1
	s_or_b64 exec, exec, s[8:9]
	v_cmp_gt_u64_e32 vcc, s[4:5], v[7:8]
	s_and_saveexec_b64 s[8:9], vcc
	s_cbranch_execnz .LBB61_21
.LBB61_17:                              ;   in Loop: Header=BB61_9 Depth=1
	s_or_b64 exec, exec, s[8:9]
	v_cmp_gt_u64_e32 vcc, s[4:5], v[5:6]
	s_and_saveexec_b64 s[8:9], vcc
	s_cbranch_execnz .LBB61_22
.LBB61_18:                              ;   in Loop: Header=BB61_9 Depth=1
	s_or_b64 exec, exec, s[8:9]
	v_cmp_gt_u64_e32 vcc, s[4:5], v[3:4]
	s_and_saveexec_b64 s[8:9], vcc
	s_cbranch_execnz .LBB61_23
.LBB61_19:                              ;   in Loop: Header=BB61_9 Depth=1
	s_or_b64 exec, exec, s[8:9]
	v_cmp_gt_u64_e32 vcc, s[4:5], v[1:2]
	s_and_saveexec_b64 s[8:9], vcc
	s_cbranch_execz .LBB61_8
	s_branch .LBB61_24
.LBB61_20:                              ;   in Loop: Header=BB61_9 Depth=1
	v_lshlrev_b64 v[10:11], 2, v[1:2]
	v_mov_b32_e32 v18, s13
	v_add_co_u32_e32 v17, vcc, s12, v10
	v_addc_co_u32_e32 v18, vcc, v18, v11, vcc
	v_mov_b32_e32 v20, s15
	v_add_co_u32_e32 v19, vcc, s14, v10
	v_addc_co_u32_e32 v20, vcc, v20, v11, vcc
	global_load_dword v10, v[17:18], off
	global_load_dword v11, v[19:20], off
	s_or_b64 exec, exec, s[8:9]
	v_cmp_gt_u64_e32 vcc, s[4:5], v[7:8]
	s_and_saveexec_b64 s[8:9], vcc
	s_cbranch_execz .LBB61_17
.LBB61_21:                              ;   in Loop: Header=BB61_9 Depth=1
	s_waitcnt vmcnt(0)
	v_div_scale_f32 v17, s[20:21], v16, v16, s34
	v_div_scale_f32 v18, vcc, s34, v16, s34
	v_lshlrev_b64 v[7:8], 2, v[7:8]
	v_rcp_f32_e32 v19, v17
	v_fma_f32 v20, -v17, v19, 1.0
	v_fmac_f32_e32 v19, v20, v19
	v_mul_f32_e32 v20, v18, v19
	v_fma_f32 v21, -v17, v20, v18
	v_fmac_f32_e32 v20, v21, v19
	v_fma_f32 v17, -v17, v20, v18
	v_div_fmas_f32 v17, v17, v19, v20
	v_mov_b32_e32 v18, s17
	v_add_co_u32_e32 v7, vcc, s16, v7
	v_addc_co_u32_e32 v8, vcc, v18, v8, vcc
	v_div_fixup_f32 v16, v17, v16, s34
	v_add_f32_e32 v17, v15, v16
	v_fmac_f32_e32 v15, s33, v16
	v_cndmask_b32_e64 v15, v15, v17, s[0:1]
	global_store_dword v[7:8], v15, off
	s_or_b64 exec, exec, s[8:9]
	v_cmp_gt_u64_e32 vcc, s[4:5], v[5:6]
	s_and_saveexec_b64 s[8:9], vcc
	s_cbranch_execz .LBB61_18
.LBB61_22:                              ;   in Loop: Header=BB61_9 Depth=1
	s_waitcnt vmcnt(0)
	v_div_scale_f32 v7, s[20:21], v14, v14, s34
	v_div_scale_f32 v8, vcc, s34, v14, s34
	v_lshlrev_b64 v[5:6], 2, v[5:6]
	v_rcp_f32_e32 v15, v7
	v_fma_f32 v16, -v7, v15, 1.0
	v_fmac_f32_e32 v15, v16, v15
	v_mul_f32_e32 v16, v8, v15
	v_fma_f32 v17, -v7, v16, v8
	v_fmac_f32_e32 v16, v17, v15
	v_fma_f32 v7, -v7, v16, v8
	v_div_fmas_f32 v7, v7, v15, v16
	v_mov_b32_e32 v8, s17
	v_add_co_u32_e32 v5, vcc, s16, v5
	v_addc_co_u32_e32 v6, vcc, v8, v6, vcc
	v_div_fixup_f32 v7, v7, v14, s34
	v_add_f32_e32 v14, v13, v7
	v_fmac_f32_e32 v13, s33, v7
	v_cndmask_b32_e64 v7, v13, v14, s[0:1]
	global_store_dword v[5:6], v7, off
	s_or_b64 exec, exec, s[8:9]
	v_cmp_gt_u64_e32 vcc, s[4:5], v[3:4]
	s_and_saveexec_b64 s[8:9], vcc
	s_cbranch_execz .LBB61_19
.LBB61_23:                              ;   in Loop: Header=BB61_9 Depth=1
	s_waitcnt vmcnt(0)
	v_div_scale_f32 v5, s[20:21], v9, v9, s34
	v_div_scale_f32 v6, vcc, s34, v9, s34
	v_lshlrev_b64 v[3:4], 2, v[3:4]
	v_rcp_f32_e32 v7, v5
	v_fma_f32 v8, -v5, v7, 1.0
	v_fmac_f32_e32 v7, v8, v7
	v_mul_f32_e32 v8, v6, v7
	v_fma_f32 v13, -v5, v8, v6
	v_fmac_f32_e32 v8, v13, v7
	v_fma_f32 v5, -v5, v8, v6
	v_div_fmas_f32 v5, v5, v7, v8
	v_mov_b32_e32 v6, s17
	v_add_co_u32_e32 v3, vcc, s16, v3
	v_addc_co_u32_e32 v4, vcc, v6, v4, vcc
	v_div_fixup_f32 v5, v5, v9, s34
	v_add_f32_e32 v7, v12, v5
	v_fmac_f32_e32 v12, s33, v5
	v_cndmask_b32_e64 v5, v12, v7, s[0:1]
	global_store_dword v[3:4], v5, off
	s_or_b64 exec, exec, s[8:9]
	v_cmp_gt_u64_e32 vcc, s[4:5], v[1:2]
	s_and_saveexec_b64 s[8:9], vcc
	s_cbranch_execz .LBB61_8
.LBB61_24:                              ;   in Loop: Header=BB61_9 Depth=1
	s_waitcnt vmcnt(0)
	v_div_scale_f32 v3, s[20:21], v11, v11, s34
	v_div_scale_f32 v4, vcc, s34, v11, s34
	v_lshlrev_b64 v[1:2], 2, v[1:2]
	v_rcp_f32_e32 v5, v3
	v_fma_f32 v6, -v3, v5, 1.0
	v_fmac_f32_e32 v5, v6, v5
	v_mul_f32_e32 v6, v4, v5
	v_fma_f32 v7, -v3, v6, v4
	v_fmac_f32_e32 v6, v7, v5
	v_fma_f32 v3, -v3, v6, v4
	v_div_fmas_f32 v3, v3, v5, v6
	v_mov_b32_e32 v4, s17
	v_add_co_u32_e32 v1, vcc, s16, v1
	v_addc_co_u32_e32 v2, vcc, v4, v2, vcc
	v_div_fixup_f32 v3, v3, v11, s34
	v_add_f32_e32 v5, v10, v3
	v_fmac_f32_e32 v10, s33, v3
	v_cndmask_b32_e64 v3, v10, v5, s[0:1]
	global_store_dword v[1:2], v3, off
	s_branch .LBB61_8
.LBB61_25:
	s_endpgm
	.section	.rodata,"a",@progbits
	.p2align	6, 0x0
	.amdhsa_kernel _ZN2at6native12_GLOBAL__N_125multi_tensor_apply_kernelINS1_18TensorListMetadataILi4EEENS1_32PointwiseOpScalar0dTensorFunctorIfLi4ELi2ELi3EEEJSt7dividesIfEfEEEvT_T0_DpT1_
		.amdhsa_group_segment_fixed_size 0
		.amdhsa_private_segment_fixed_size 0
		.amdhsa_kernarg_size 3312
		.amdhsa_user_sgpr_count 6
		.amdhsa_user_sgpr_private_segment_buffer 1
		.amdhsa_user_sgpr_dispatch_ptr 0
		.amdhsa_user_sgpr_queue_ptr 0
		.amdhsa_user_sgpr_kernarg_segment_ptr 1
		.amdhsa_user_sgpr_dispatch_id 0
		.amdhsa_user_sgpr_flat_scratch_init 0
		.amdhsa_user_sgpr_private_segment_size 0
		.amdhsa_uses_dynamic_stack 0
		.amdhsa_system_sgpr_private_segment_wavefront_offset 0
		.amdhsa_system_sgpr_workgroup_id_x 1
		.amdhsa_system_sgpr_workgroup_id_y 0
		.amdhsa_system_sgpr_workgroup_id_z 0
		.amdhsa_system_sgpr_workgroup_info 0
		.amdhsa_system_vgpr_workitem_id 0
		.amdhsa_next_free_vgpr 24
		.amdhsa_next_free_sgpr 37
		.amdhsa_reserve_vcc 1
		.amdhsa_reserve_flat_scratch 0
		.amdhsa_float_round_mode_32 0
		.amdhsa_float_round_mode_16_64 0
		.amdhsa_float_denorm_mode_32 3
		.amdhsa_float_denorm_mode_16_64 3
		.amdhsa_dx10_clamp 1
		.amdhsa_ieee_mode 1
		.amdhsa_fp16_overflow 0
		.amdhsa_exception_fp_ieee_invalid_op 0
		.amdhsa_exception_fp_denorm_src 0
		.amdhsa_exception_fp_ieee_div_zero 0
		.amdhsa_exception_fp_ieee_overflow 0
		.amdhsa_exception_fp_ieee_underflow 0
		.amdhsa_exception_fp_ieee_inexact 0
		.amdhsa_exception_int_div_zero 0
	.end_amdhsa_kernel
	.section	.text._ZN2at6native12_GLOBAL__N_125multi_tensor_apply_kernelINS1_18TensorListMetadataILi4EEENS1_32PointwiseOpScalar0dTensorFunctorIfLi4ELi2ELi3EEEJSt7dividesIfEfEEEvT_T0_DpT1_,"axG",@progbits,_ZN2at6native12_GLOBAL__N_125multi_tensor_apply_kernelINS1_18TensorListMetadataILi4EEENS1_32PointwiseOpScalar0dTensorFunctorIfLi4ELi2ELi3EEEJSt7dividesIfEfEEEvT_T0_DpT1_,comdat
.Lfunc_end61:
	.size	_ZN2at6native12_GLOBAL__N_125multi_tensor_apply_kernelINS1_18TensorListMetadataILi4EEENS1_32PointwiseOpScalar0dTensorFunctorIfLi4ELi2ELi3EEEJSt7dividesIfEfEEEvT_T0_DpT1_, .Lfunc_end61-_ZN2at6native12_GLOBAL__N_125multi_tensor_apply_kernelINS1_18TensorListMetadataILi4EEENS1_32PointwiseOpScalar0dTensorFunctorIfLi4ELi2ELi3EEEJSt7dividesIfEfEEEvT_T0_DpT1_
                                        ; -- End function
	.set _ZN2at6native12_GLOBAL__N_125multi_tensor_apply_kernelINS1_18TensorListMetadataILi4EEENS1_32PointwiseOpScalar0dTensorFunctorIfLi4ELi2ELi3EEEJSt7dividesIfEfEEEvT_T0_DpT1_.num_vgpr, 24
	.set _ZN2at6native12_GLOBAL__N_125multi_tensor_apply_kernelINS1_18TensorListMetadataILi4EEENS1_32PointwiseOpScalar0dTensorFunctorIfLi4ELi2ELi3EEEJSt7dividesIfEfEEEvT_T0_DpT1_.num_agpr, 0
	.set _ZN2at6native12_GLOBAL__N_125multi_tensor_apply_kernelINS1_18TensorListMetadataILi4EEENS1_32PointwiseOpScalar0dTensorFunctorIfLi4ELi2ELi3EEEJSt7dividesIfEfEEEvT_T0_DpT1_.numbered_sgpr, 37
	.set _ZN2at6native12_GLOBAL__N_125multi_tensor_apply_kernelINS1_18TensorListMetadataILi4EEENS1_32PointwiseOpScalar0dTensorFunctorIfLi4ELi2ELi3EEEJSt7dividesIfEfEEEvT_T0_DpT1_.num_named_barrier, 0
	.set _ZN2at6native12_GLOBAL__N_125multi_tensor_apply_kernelINS1_18TensorListMetadataILi4EEENS1_32PointwiseOpScalar0dTensorFunctorIfLi4ELi2ELi3EEEJSt7dividesIfEfEEEvT_T0_DpT1_.private_seg_size, 0
	.set _ZN2at6native12_GLOBAL__N_125multi_tensor_apply_kernelINS1_18TensorListMetadataILi4EEENS1_32PointwiseOpScalar0dTensorFunctorIfLi4ELi2ELi3EEEJSt7dividesIfEfEEEvT_T0_DpT1_.uses_vcc, 1
	.set _ZN2at6native12_GLOBAL__N_125multi_tensor_apply_kernelINS1_18TensorListMetadataILi4EEENS1_32PointwiseOpScalar0dTensorFunctorIfLi4ELi2ELi3EEEJSt7dividesIfEfEEEvT_T0_DpT1_.uses_flat_scratch, 0
	.set _ZN2at6native12_GLOBAL__N_125multi_tensor_apply_kernelINS1_18TensorListMetadataILi4EEENS1_32PointwiseOpScalar0dTensorFunctorIfLi4ELi2ELi3EEEJSt7dividesIfEfEEEvT_T0_DpT1_.has_dyn_sized_stack, 0
	.set _ZN2at6native12_GLOBAL__N_125multi_tensor_apply_kernelINS1_18TensorListMetadataILi4EEENS1_32PointwiseOpScalar0dTensorFunctorIfLi4ELi2ELi3EEEJSt7dividesIfEfEEEvT_T0_DpT1_.has_recursion, 0
	.set _ZN2at6native12_GLOBAL__N_125multi_tensor_apply_kernelINS1_18TensorListMetadataILi4EEENS1_32PointwiseOpScalar0dTensorFunctorIfLi4ELi2ELi3EEEJSt7dividesIfEfEEEvT_T0_DpT1_.has_indirect_call, 0
	.section	.AMDGPU.csdata,"",@progbits
; Kernel info:
; codeLenInByte = 1988
; TotalNumSgprs: 41
; NumVgprs: 24
; ScratchSize: 0
; MemoryBound: 0
; FloatMode: 240
; IeeeMode: 1
; LDSByteSize: 0 bytes/workgroup (compile time only)
; SGPRBlocks: 5
; VGPRBlocks: 5
; NumSGPRsForWavesPerEU: 41
; NumVGPRsForWavesPerEU: 24
; Occupancy: 10
; WaveLimiterHint : 0
; COMPUTE_PGM_RSRC2:SCRATCH_EN: 0
; COMPUTE_PGM_RSRC2:USER_SGPR: 6
; COMPUTE_PGM_RSRC2:TRAP_HANDLER: 0
; COMPUTE_PGM_RSRC2:TGID_X_EN: 1
; COMPUTE_PGM_RSRC2:TGID_Y_EN: 0
; COMPUTE_PGM_RSRC2:TGID_Z_EN: 0
; COMPUTE_PGM_RSRC2:TIDIG_COMP_CNT: 0
	.section	.text._ZN2at6native12_GLOBAL__N_125multi_tensor_apply_kernelINS1_18TensorListMetadataILi4EEENS1_32PointwiseOpScalar0dTensorFunctorIN3c107complexIdEELi4ELi2ELi3EEEJSt7dividesIS8_ES8_EEEvT_T0_DpT1_,"axG",@progbits,_ZN2at6native12_GLOBAL__N_125multi_tensor_apply_kernelINS1_18TensorListMetadataILi4EEENS1_32PointwiseOpScalar0dTensorFunctorIN3c107complexIdEELi4ELi2ELi3EEEJSt7dividesIS8_ES8_EEEvT_T0_DpT1_,comdat
	.globl	_ZN2at6native12_GLOBAL__N_125multi_tensor_apply_kernelINS1_18TensorListMetadataILi4EEENS1_32PointwiseOpScalar0dTensorFunctorIN3c107complexIdEELi4ELi2ELi3EEEJSt7dividesIS8_ES8_EEEvT_T0_DpT1_ ; -- Begin function _ZN2at6native12_GLOBAL__N_125multi_tensor_apply_kernelINS1_18TensorListMetadataILi4EEENS1_32PointwiseOpScalar0dTensorFunctorIN3c107complexIdEELi4ELi2ELi3EEEJSt7dividesIS8_ES8_EEEvT_T0_DpT1_
	.p2align	8
	.type	_ZN2at6native12_GLOBAL__N_125multi_tensor_apply_kernelINS1_18TensorListMetadataILi4EEENS1_32PointwiseOpScalar0dTensorFunctorIN3c107complexIdEELi4ELi2ELi3EEEJSt7dividesIS8_ES8_EEEvT_T0_DpT1_,@function
_ZN2at6native12_GLOBAL__N_125multi_tensor_apply_kernelINS1_18TensorListMetadataILi4EEENS1_32PointwiseOpScalar0dTensorFunctorIN3c107complexIdEELi4ELi2ELi3EEEJSt7dividesIS8_ES8_EEEvT_T0_DpT1_: ; @_ZN2at6native12_GLOBAL__N_125multi_tensor_apply_kernelINS1_18TensorListMetadataILi4EEENS1_32PointwiseOpScalar0dTensorFunctorIN3c107complexIdEELi4ELi2ELi3EEEJSt7dividesIS8_ES8_EEEvT_T0_DpT1_
; %bb.0:
	v_mov_b32_e32 v1, s6
	global_load_ubyte v1, v1, s[4:5] offset:1440
	s_add_u32 s0, s4, s6
	s_mul_hi_u32 s1, s6, 3
	s_mul_i32 s6, s6, 3
	s_addc_u32 s2, s5, 0
	s_add_u32 s0, s0, s6
	s_addc_u32 s1, s2, s1
	s_load_dword s0, s[0:1], 0x6e0
	s_mov_b32 s3, 0
	s_mov_b32 s7, s3
	s_waitcnt lgkmcnt(0)
	s_ashr_i32 s1, s0, 31
	s_lshl_b64 s[20:21], s[0:1], 20
	s_waitcnt vmcnt(0)
	v_lshlrev_b32_e32 v1, 3, v1
	v_readfirstlane_b32 s2, v1
	s_load_dwordx2 s[16:17], s[4:5], s2 offset:0x0
	s_load_dwordx2 s[18:19], s[4:5], s2 offset:0x120
	s_load_dwordx4 s[8:11], s[4:5], 0xbf0
	s_load_dwordx2 s[22:23], s[4:5], s2 offset:0x480
	s_load_dwordx2 s[24:25], s[4:5], s2 offset:0x240
	;; [unrolled: 1-line block ×3, first 2 shown]
	s_waitcnt lgkmcnt(0)
	s_add_u32 s16, s16, s20
	s_addc_u32 s17, s17, s21
	s_add_u32 s2, s18, s20
	s_and_b32 s2, s2, 63
	s_load_dwordx4 s[12:15], s[18:19], 0x0
	s_add_u32 s18, s24, s20
	s_addc_u32 s19, s25, s21
	s_add_u32 s20, s26, s20
	s_addc_u32 s21, s27, s21
	s_or_b32 s6, s20, s18
	s_and_b32 s6, s6, 63
	s_cmp_lg_u32 s6, 0
	s_cselect_b64 s[24:25], -1, 0
	s_lshl_b64 s[0:1], s[0:1], 16
	s_and_b32 s6, s16, 63
	s_cmp_lg_u64 s[2:3], 0
	s_cselect_b64 s[26:27], -1, 0
	s_or_b64 s[24:25], s[24:25], s[26:27]
	s_sub_u32 s26, s22, s0
	s_subb_u32 s27, s23, s1
	s_and_b32 s2, s22, 3
	s_or_b64 s[0:1], s[6:7], s[2:3]
	s_cmp_lg_u64 s[0:1], 0
	s_cselect_b64 s[0:1], -1, 0
	s_or_b64 s[0:1], s[24:25], s[0:1]
	s_andn2_b64 vcc, exec, s[0:1]
	s_mov_b64 s[0:1], -1
	s_cbranch_vccz .LBB62_85
; %bb.1:
	v_mov_b32_e32 v1, 0x10000
	v_mov_b32_e32 v2, 0
	v_cmp_lt_i64_e32 vcc, s[26:27], v[1:2]
	v_mov_b32_e32 v2, 0
	s_and_b64 s[0:1], vcc, exec
	s_cselect_b32 s23, s27, 0
	s_cselect_b32 s22, s26, 0x10000
	v_lshlrev_b32_e32 v1, 2, v0
	v_cmp_gt_i64_e32 vcc, s[22:23], v[1:2]
	s_and_saveexec_b64 s[24:25], vcc
	s_cbranch_execz .LBB62_84
; %bb.2:
	v_cmp_neq_f64_e64 s[0:1], s[8:9], 1.0
	v_cmp_neq_f64_e64 s[2:3], s[10:11], 0
	s_load_dword s6, s[4:5], 0xc0c
	v_mov_b32_e32 v1, v2
	v_mov_b32_e32 v34, v1
	s_mov_b64 s[28:29], 0
	v_lshlrev_b32_e32 v43, 6, v0
	s_waitcnt lgkmcnt(0)
	s_and_b32 s33, s6, 0xffff
	s_lshl_b32 s44, s33, 6
	s_or_b64 s[30:31], s[0:1], s[2:3]
	s_mov_b64 s[34:35], s[18:19]
	s_mov_b64 s[36:37], s[16:17]
	;; [unrolled: 1-line block ×3, first 2 shown]
	v_mov_b32_e32 v33, v0
	s_branch .LBB62_5
.LBB62_3:                               ;   in Loop: Header=BB62_5 Depth=1
	s_or_b64 exec, exec, s[0:1]
.LBB62_4:                               ;   in Loop: Header=BB62_5 Depth=1
	v_add_f64 v[7:8], v[7:8], v[37:38]
	v_add_f64 v[5:6], v[5:6], v[35:36]
	;; [unrolled: 1-line block ×6, first 2 shown]
	v_mov_b32_e32 v18, s39
	v_add_co_u32_e32 v17, vcc, s38, v43
	v_add_f64 v[3:4], v[3:4], v[41:42]
	v_add_f64 v[1:2], v[1:2], v[39:40]
	v_addc_co_u32_e32 v18, vcc, 0, v18, vcc
	v_add_co_u32_e32 v33, vcc, s33, v33
	s_add_u32 s38, s38, s44
	v_addc_co_u32_e32 v34, vcc, 0, v34, vcc
	s_addc_u32 s39, s39, 0
	global_store_dwordx4 v[17:18], v[5:8], off
	global_store_dwordx4 v[17:18], v[9:12], off offset:16
	global_store_dwordx4 v[17:18], v[13:16], off offset:32
	v_lshlrev_b64 v[5:6], 2, v[33:34]
	s_add_u32 s36, s36, s44
	s_addc_u32 s37, s37, 0
	s_add_u32 s34, s34, s44
	v_cmp_le_i64_e32 vcc, s[22:23], v[5:6]
	s_addc_u32 s35, s35, 0
	s_or_b64 s[28:29], vcc, s[28:29]
	global_store_dwordx4 v[17:18], v[1:4], off offset:48
	s_andn2_b64 exec, exec, s[28:29]
	s_cbranch_execz .LBB62_84
.LBB62_5:                               ; =>This Inner Loop Header: Depth=1
	v_mov_b32_e32 v1, s35
	v_add_co_u32_e32 v35, vcc, s34, v43
	v_addc_co_u32_e32 v36, vcc, 0, v1, vcc
	global_load_dwordx4 v[29:32], v[35:36], off
	v_mov_b32_e32 v1, s37
	v_add_co_u32_e32 v37, vcc, s36, v43
	v_addc_co_u32_e32 v38, vcc, 0, v1, vcc
	global_load_dwordx4 v[1:4], v[37:38], off offset:48
	global_load_dwordx4 v[13:16], v[37:38], off offset:32
	;; [unrolled: 1-line block ×3, first 2 shown]
	global_load_dwordx4 v[5:8], v[37:38], off
	global_load_dwordx4 v[25:28], v[35:36], off offset:16
	global_load_dwordx4 v[17:20], v[35:36], off offset:48
	;; [unrolled: 1-line block ×3, first 2 shown]
	s_mov_b64 s[2:3], -1
                                        ; implicit-def: $vgpr37_vgpr38
	s_waitcnt vmcnt(7)
	v_cmp_gt_f64_e32 vcc, 0, v[29:30]
	v_xor_b32_e32 v35, 0x80000000, v30
	v_xor_b32_e32 v36, 0x80000000, v32
	v_mov_b32_e32 v39, v29
	v_mov_b32_e32 v41, v31
	v_cndmask_b32_e32 v40, v30, v35, vcc
	v_cmp_gt_f64_e32 vcc, 0, v[31:32]
	v_cndmask_b32_e32 v42, v32, v36, vcc
	v_cmp_ge_f64_e64 s[0:1], v[39:40], v[41:42]
	s_and_b64 vcc, exec, s[30:31]
                                        ; implicit-def: $vgpr35_vgpr36
	s_cbranch_vccz .LBB62_15
; %bb.6:                                ;   in Loop: Header=BB62_5 Depth=1
                                        ; implicit-def: $vgpr35_vgpr36
                                        ; implicit-def: $vgpr37_vgpr38
	s_and_saveexec_b64 s[2:3], s[0:1]
	s_xor_b64 s[6:7], exec, s[2:3]
	s_cbranch_execz .LBB62_12
; %bb.7:                                ;   in Loop: Header=BB62_5 Depth=1
	v_cmp_neq_f64_e32 vcc, 0, v[29:30]
	v_cmp_neq_f64_e64 s[2:3], 0, v[31:32]
                                        ; implicit-def: $vgpr35_vgpr36
                                        ; implicit-def: $vgpr37_vgpr38
	s_or_b64 s[2:3], vcc, s[2:3]
	s_and_saveexec_b64 s[40:41], s[2:3]
	s_xor_b64 s[2:3], exec, s[40:41]
	s_cbranch_execz .LBB62_9
; %bb.8:                                ;   in Loop: Header=BB62_5 Depth=1
	v_div_scale_f64 v[35:36], s[40:41], v[29:30], v[29:30], v[31:32]
	v_rcp_f64_e32 v[37:38], v[35:36]
	v_fma_f64 v[44:45], -v[35:36], v[37:38], 1.0
	v_fma_f64 v[37:38], v[37:38], v[44:45], v[37:38]
	v_div_scale_f64 v[44:45], vcc, v[31:32], v[29:30], v[31:32]
	v_fma_f64 v[46:47], -v[35:36], v[37:38], 1.0
	v_fma_f64 v[37:38], v[37:38], v[46:47], v[37:38]
	v_mul_f64 v[46:47], v[44:45], v[37:38]
	v_fma_f64 v[35:36], -v[35:36], v[46:47], v[44:45]
	v_div_fmas_f64 v[35:36], v[35:36], v[37:38], v[46:47]
	v_div_fixup_f64 v[35:36], v[35:36], v[29:30], v[31:32]
	v_fma_f64 v[37:38], v[31:32], v[35:36], v[29:30]
	v_div_scale_f64 v[44:45], s[40:41], v[37:38], v[37:38], 1.0
	v_rcp_f64_e32 v[46:47], v[44:45]
	v_fma_f64 v[48:49], -v[44:45], v[46:47], 1.0
	v_fma_f64 v[46:47], v[46:47], v[48:49], v[46:47]
	v_div_scale_f64 v[48:49], vcc, 1.0, v[37:38], 1.0
	v_fma_f64 v[50:51], -v[44:45], v[46:47], 1.0
	v_fma_f64 v[46:47], v[46:47], v[50:51], v[46:47]
	v_mul_f64 v[50:51], v[48:49], v[46:47]
	v_fma_f64 v[44:45], -v[44:45], v[50:51], v[48:49]
	v_mov_b32_e32 v49, s15
	v_mov_b32_e32 v48, s14
	v_div_fmas_f64 v[44:45], v[44:45], v[46:47], v[50:51]
	v_mov_b32_e32 v47, s13
	v_mov_b32_e32 v46, s12
	v_fma_f64 v[46:47], s[14:15], v[35:36], v[46:47]
	v_fma_f64 v[35:36], -s[12:13], v[35:36], v[48:49]
	v_div_fixup_f64 v[44:45], v[44:45], v[37:38], 1.0
	v_mul_f64 v[37:38], v[46:47], v[44:45]
	v_mul_f64 v[35:36], v[35:36], v[44:45]
.LBB62_9:                               ;   in Loop: Header=BB62_5 Depth=1
	s_andn2_saveexec_b64 s[40:41], s[2:3]
	s_cbranch_execz .LBB62_11
; %bb.10:                               ;   in Loop: Header=BB62_5 Depth=1
	v_div_scale_f64 v[35:36], s[2:3], v[39:40], v[39:40], s[12:13]
	v_div_scale_f64 v[37:38], s[2:3], v[41:42], v[41:42], s[14:15]
	;; [unrolled: 1-line block ×3, first 2 shown]
	v_rcp_f64_e32 v[44:45], v[35:36]
	v_rcp_f64_e32 v[46:47], v[37:38]
	v_fma_f64 v[48:49], -v[35:36], v[44:45], 1.0
	v_fma_f64 v[50:51], -v[37:38], v[46:47], 1.0
	v_fma_f64 v[44:45], v[44:45], v[48:49], v[44:45]
	v_div_scale_f64 v[48:49], vcc, s[12:13], v[39:40], s[12:13]
	v_fma_f64 v[46:47], v[46:47], v[50:51], v[46:47]
	v_fma_f64 v[50:51], -v[35:36], v[44:45], 1.0
	v_fma_f64 v[54:55], -v[37:38], v[46:47], 1.0
	v_fma_f64 v[44:45], v[44:45], v[50:51], v[44:45]
	v_fma_f64 v[46:47], v[46:47], v[54:55], v[46:47]
	v_mul_f64 v[50:51], v[48:49], v[44:45]
	v_mul_f64 v[54:55], v[52:53], v[46:47]
	v_fma_f64 v[35:36], -v[35:36], v[50:51], v[48:49]
	v_fma_f64 v[37:38], -v[37:38], v[54:55], v[52:53]
	v_div_fmas_f64 v[35:36], v[35:36], v[44:45], v[50:51]
	s_mov_b64 vcc, s[2:3]
	v_div_fmas_f64 v[44:45], v[37:38], v[46:47], v[54:55]
	v_div_fixup_f64 v[37:38], v[35:36], v[39:40], s[12:13]
	v_div_fixup_f64 v[35:36], v[44:45], v[41:42], s[14:15]
.LBB62_11:                              ;   in Loop: Header=BB62_5 Depth=1
	s_or_b64 exec, exec, s[40:41]
.LBB62_12:                              ;   in Loop: Header=BB62_5 Depth=1
	s_andn2_saveexec_b64 s[2:3], s[6:7]
	s_cbranch_execz .LBB62_14
; %bb.13:                               ;   in Loop: Header=BB62_5 Depth=1
	v_div_scale_f64 v[35:36], s[6:7], v[31:32], v[31:32], v[29:30]
	v_rcp_f64_e32 v[37:38], v[35:36]
	v_fma_f64 v[44:45], -v[35:36], v[37:38], 1.0
	v_fma_f64 v[37:38], v[37:38], v[44:45], v[37:38]
	v_div_scale_f64 v[44:45], vcc, v[29:30], v[31:32], v[29:30]
	v_fma_f64 v[46:47], -v[35:36], v[37:38], 1.0
	v_fma_f64 v[37:38], v[37:38], v[46:47], v[37:38]
	v_mul_f64 v[46:47], v[44:45], v[37:38]
	v_fma_f64 v[35:36], -v[35:36], v[46:47], v[44:45]
	v_div_fmas_f64 v[35:36], v[35:36], v[37:38], v[46:47]
	v_div_fixup_f64 v[35:36], v[35:36], v[31:32], v[29:30]
	v_fma_f64 v[37:38], v[29:30], v[35:36], v[31:32]
	v_div_scale_f64 v[44:45], s[6:7], v[37:38], v[37:38], 1.0
	v_rcp_f64_e32 v[46:47], v[44:45]
	v_fma_f64 v[48:49], -v[44:45], v[46:47], 1.0
	v_fma_f64 v[46:47], v[46:47], v[48:49], v[46:47]
	v_div_scale_f64 v[48:49], vcc, 1.0, v[37:38], 1.0
	v_fma_f64 v[50:51], -v[44:45], v[46:47], 1.0
	v_fma_f64 v[46:47], v[46:47], v[50:51], v[46:47]
	v_mul_f64 v[50:51], v[48:49], v[46:47]
	v_fma_f64 v[44:45], -v[44:45], v[50:51], v[48:49]
	v_mov_b32_e32 v49, s13
	v_mov_b32_e32 v48, s12
	v_div_fmas_f64 v[44:45], v[44:45], v[46:47], v[50:51]
	v_mov_b32_e32 v47, s15
	v_mov_b32_e32 v46, s14
	v_fma_f64 v[46:47], s[12:13], v[35:36], v[46:47]
	v_fma_f64 v[35:36], s[14:15], v[35:36], -v[48:49]
	v_div_fixup_f64 v[44:45], v[44:45], v[37:38], 1.0
	v_mul_f64 v[37:38], v[46:47], v[44:45]
	v_mul_f64 v[35:36], v[35:36], v[44:45]
.LBB62_14:                              ;   in Loop: Header=BB62_5 Depth=1
	s_or_b64 exec, exec, s[2:3]
	v_mul_f64 v[44:45], s[10:11], v[35:36]
	v_mul_f64 v[46:47], s[8:9], v[35:36]
	s_mov_b64 s[2:3], 0
	v_fma_f64 v[35:36], s[8:9], v[37:38], -v[44:45]
	v_fma_f64 v[37:38], s[10:11], v[37:38], v[46:47]
.LBB62_15:                              ;   in Loop: Header=BB62_5 Depth=1
	s_and_b64 vcc, exec, s[2:3]
	s_cbranch_vccz .LBB62_25
; %bb.16:                               ;   in Loop: Header=BB62_5 Depth=1
                                        ; implicit-def: $vgpr37_vgpr38
                                        ; implicit-def: $vgpr35_vgpr36
	s_and_saveexec_b64 s[2:3], s[0:1]
	s_xor_b64 s[2:3], exec, s[2:3]
	s_cbranch_execz .LBB62_22
; %bb.17:                               ;   in Loop: Header=BB62_5 Depth=1
	v_cmp_neq_f64_e32 vcc, 0, v[29:30]
	v_cmp_neq_f64_e64 s[0:1], 0, v[31:32]
                                        ; implicit-def: $vgpr37_vgpr38
                                        ; implicit-def: $vgpr35_vgpr36
	s_or_b64 s[0:1], vcc, s[0:1]
	s_and_saveexec_b64 s[6:7], s[0:1]
	s_xor_b64 s[0:1], exec, s[6:7]
	s_cbranch_execz .LBB62_19
; %bb.18:                               ;   in Loop: Header=BB62_5 Depth=1
	v_div_scale_f64 v[35:36], s[6:7], v[29:30], v[29:30], v[31:32]
	v_rcp_f64_e32 v[37:38], v[35:36]
	v_fma_f64 v[39:40], -v[35:36], v[37:38], 1.0
	v_fma_f64 v[37:38], v[37:38], v[39:40], v[37:38]
	v_div_scale_f64 v[39:40], vcc, v[31:32], v[29:30], v[31:32]
	v_fma_f64 v[41:42], -v[35:36], v[37:38], 1.0
	v_fma_f64 v[37:38], v[37:38], v[41:42], v[37:38]
	v_mul_f64 v[41:42], v[39:40], v[37:38]
	v_fma_f64 v[35:36], -v[35:36], v[41:42], v[39:40]
	v_div_fmas_f64 v[35:36], v[35:36], v[37:38], v[41:42]
	v_div_fixup_f64 v[35:36], v[35:36], v[29:30], v[31:32]
	v_fma_f64 v[29:30], v[31:32], v[35:36], v[29:30]
	v_div_scale_f64 v[31:32], s[6:7], v[29:30], v[29:30], 1.0
	v_rcp_f64_e32 v[37:38], v[31:32]
	v_fma_f64 v[39:40], -v[31:32], v[37:38], 1.0
	v_fma_f64 v[37:38], v[37:38], v[39:40], v[37:38]
	v_div_scale_f64 v[39:40], vcc, 1.0, v[29:30], 1.0
	v_fma_f64 v[41:42], -v[31:32], v[37:38], 1.0
	v_fma_f64 v[37:38], v[37:38], v[41:42], v[37:38]
	v_mul_f64 v[41:42], v[39:40], v[37:38]
	v_fma_f64 v[31:32], -v[31:32], v[41:42], v[39:40]
	v_mov_b32_e32 v40, s15
	v_mov_b32_e32 v39, s14
	v_div_fmas_f64 v[31:32], v[31:32], v[37:38], v[41:42]
	v_mov_b32_e32 v38, s13
	v_mov_b32_e32 v37, s12
	v_fma_f64 v[37:38], s[14:15], v[35:36], v[37:38]
                                        ; implicit-def: $vgpr41_vgpr42
	v_div_fixup_f64 v[29:30], v[31:32], v[29:30], 1.0
	v_fma_f64 v[31:32], -s[12:13], v[35:36], v[39:40]
                                        ; implicit-def: $vgpr39_vgpr40
	v_mul_f64 v[35:36], v[37:38], v[29:30]
	v_mul_f64 v[37:38], v[31:32], v[29:30]
.LBB62_19:                              ;   in Loop: Header=BB62_5 Depth=1
	s_andn2_saveexec_b64 s[6:7], s[0:1]
	s_cbranch_execz .LBB62_21
; %bb.20:                               ;   in Loop: Header=BB62_5 Depth=1
	v_div_scale_f64 v[29:30], s[0:1], v[39:40], v[39:40], s[12:13]
	v_div_scale_f64 v[31:32], s[0:1], v[41:42], v[41:42], s[14:15]
	;; [unrolled: 1-line block ×3, first 2 shown]
	v_rcp_f64_e32 v[35:36], v[29:30]
	v_rcp_f64_e32 v[37:38], v[31:32]
	v_fma_f64 v[44:45], -v[29:30], v[35:36], 1.0
	v_fma_f64 v[46:47], -v[31:32], v[37:38], 1.0
	v_fma_f64 v[35:36], v[35:36], v[44:45], v[35:36]
	v_div_scale_f64 v[44:45], vcc, s[12:13], v[39:40], s[12:13]
	v_fma_f64 v[37:38], v[37:38], v[46:47], v[37:38]
	v_fma_f64 v[46:47], -v[29:30], v[35:36], 1.0
	v_fma_f64 v[50:51], -v[31:32], v[37:38], 1.0
	v_fma_f64 v[35:36], v[35:36], v[46:47], v[35:36]
	v_fma_f64 v[37:38], v[37:38], v[50:51], v[37:38]
	v_mul_f64 v[46:47], v[44:45], v[35:36]
	v_mul_f64 v[50:51], v[48:49], v[37:38]
	v_fma_f64 v[29:30], -v[29:30], v[46:47], v[44:45]
	v_fma_f64 v[31:32], -v[31:32], v[50:51], v[48:49]
	v_div_fmas_f64 v[29:30], v[29:30], v[35:36], v[46:47]
	s_mov_b64 vcc, s[0:1]
	v_div_fmas_f64 v[31:32], v[31:32], v[37:38], v[50:51]
	v_div_fixup_f64 v[35:36], v[29:30], v[39:40], s[12:13]
	v_div_fixup_f64 v[37:38], v[31:32], v[41:42], s[14:15]
.LBB62_21:                              ;   in Loop: Header=BB62_5 Depth=1
	s_or_b64 exec, exec, s[6:7]
                                        ; implicit-def: $vgpr31_vgpr32
.LBB62_22:                              ;   in Loop: Header=BB62_5 Depth=1
	s_andn2_saveexec_b64 s[0:1], s[2:3]
	s_cbranch_execz .LBB62_24
; %bb.23:                               ;   in Loop: Header=BB62_5 Depth=1
	v_div_scale_f64 v[35:36], s[2:3], v[31:32], v[31:32], v[29:30]
	v_rcp_f64_e32 v[37:38], v[35:36]
	v_fma_f64 v[39:40], -v[35:36], v[37:38], 1.0
	v_fma_f64 v[37:38], v[37:38], v[39:40], v[37:38]
	v_div_scale_f64 v[39:40], vcc, v[29:30], v[31:32], v[29:30]
	v_fma_f64 v[41:42], -v[35:36], v[37:38], 1.0
	v_fma_f64 v[37:38], v[37:38], v[41:42], v[37:38]
	v_mul_f64 v[41:42], v[39:40], v[37:38]
	v_fma_f64 v[35:36], -v[35:36], v[41:42], v[39:40]
	v_div_fmas_f64 v[35:36], v[35:36], v[37:38], v[41:42]
	v_div_fixup_f64 v[35:36], v[35:36], v[31:32], v[29:30]
	v_fma_f64 v[29:30], v[29:30], v[35:36], v[31:32]
	v_div_scale_f64 v[31:32], s[2:3], v[29:30], v[29:30], 1.0
	v_rcp_f64_e32 v[37:38], v[31:32]
	v_fma_f64 v[39:40], -v[31:32], v[37:38], 1.0
	v_fma_f64 v[37:38], v[37:38], v[39:40], v[37:38]
	v_div_scale_f64 v[39:40], vcc, 1.0, v[29:30], 1.0
	v_fma_f64 v[41:42], -v[31:32], v[37:38], 1.0
	v_fma_f64 v[37:38], v[37:38], v[41:42], v[37:38]
	v_mul_f64 v[41:42], v[39:40], v[37:38]
	v_fma_f64 v[31:32], -v[31:32], v[41:42], v[39:40]
	v_mov_b32_e32 v40, s13
	v_mov_b32_e32 v39, s12
	v_div_fmas_f64 v[31:32], v[31:32], v[37:38], v[41:42]
	v_mov_b32_e32 v38, s15
	v_mov_b32_e32 v37, s14
	v_fma_f64 v[37:38], s[12:13], v[35:36], v[37:38]
	v_div_fixup_f64 v[29:30], v[31:32], v[29:30], 1.0
	v_fma_f64 v[31:32], s[14:15], v[35:36], -v[39:40]
	v_mul_f64 v[35:36], v[37:38], v[29:30]
	v_mul_f64 v[37:38], v[31:32], v[29:30]
.LBB62_24:                              ;   in Loop: Header=BB62_5 Depth=1
	s_or_b64 exec, exec, s[0:1]
.LBB62_25:                              ;   in Loop: Header=BB62_5 Depth=1
	s_waitcnt vmcnt(2)
	v_cmp_gt_f64_e32 vcc, 0, v[25:26]
	v_xor_b32_e32 v29, 0x80000000, v26
	v_mov_b32_e32 v39, v25
	v_mov_b32_e32 v41, v27
	s_mov_b64 s[6:7], -1
                                        ; implicit-def: $vgpr31_vgpr32
	v_cndmask_b32_e32 v40, v26, v29, vcc
	v_cmp_gt_f64_e32 vcc, 0, v[27:28]
	v_xor_b32_e32 v29, 0x80000000, v28
	v_cndmask_b32_e32 v42, v28, v29, vcc
	v_cmp_ge_f64_e64 s[2:3], v[39:40], v[41:42]
	v_cndmask_b32_e64 v29, 0, 1, s[30:31]
	v_cmp_ne_u32_e64 s[0:1], 1, v29
	s_andn2_b64 vcc, exec, s[30:31]
                                        ; implicit-def: $vgpr29_vgpr30
	s_cbranch_vccnz .LBB62_35
; %bb.26:                               ;   in Loop: Header=BB62_5 Depth=1
                                        ; implicit-def: $vgpr29_vgpr30
                                        ; implicit-def: $vgpr31_vgpr32
	s_and_saveexec_b64 s[6:7], s[2:3]
	s_xor_b64 s[40:41], exec, s[6:7]
	s_cbranch_execz .LBB62_32
; %bb.27:                               ;   in Loop: Header=BB62_5 Depth=1
	v_cmp_neq_f64_e32 vcc, 0, v[25:26]
	v_cmp_neq_f64_e64 s[6:7], 0, v[27:28]
                                        ; implicit-def: $vgpr29_vgpr30
                                        ; implicit-def: $vgpr31_vgpr32
	s_or_b64 s[6:7], vcc, s[6:7]
	s_and_saveexec_b64 s[42:43], s[6:7]
	s_xor_b64 s[6:7], exec, s[42:43]
	s_cbranch_execz .LBB62_29
; %bb.28:                               ;   in Loop: Header=BB62_5 Depth=1
	v_div_scale_f64 v[29:30], s[42:43], v[25:26], v[25:26], v[27:28]
	v_rcp_f64_e32 v[31:32], v[29:30]
	v_fma_f64 v[44:45], -v[29:30], v[31:32], 1.0
	v_fma_f64 v[31:32], v[31:32], v[44:45], v[31:32]
	v_div_scale_f64 v[44:45], vcc, v[27:28], v[25:26], v[27:28]
	v_fma_f64 v[46:47], -v[29:30], v[31:32], 1.0
	v_fma_f64 v[31:32], v[31:32], v[46:47], v[31:32]
	v_mul_f64 v[46:47], v[44:45], v[31:32]
	v_fma_f64 v[29:30], -v[29:30], v[46:47], v[44:45]
	v_div_fmas_f64 v[29:30], v[29:30], v[31:32], v[46:47]
	v_div_fixup_f64 v[29:30], v[29:30], v[25:26], v[27:28]
	v_fma_f64 v[31:32], v[27:28], v[29:30], v[25:26]
	v_div_scale_f64 v[44:45], s[42:43], v[31:32], v[31:32], 1.0
	v_rcp_f64_e32 v[46:47], v[44:45]
	v_fma_f64 v[48:49], -v[44:45], v[46:47], 1.0
	v_fma_f64 v[46:47], v[46:47], v[48:49], v[46:47]
	v_div_scale_f64 v[48:49], vcc, 1.0, v[31:32], 1.0
	v_fma_f64 v[50:51], -v[44:45], v[46:47], 1.0
	v_fma_f64 v[46:47], v[46:47], v[50:51], v[46:47]
	v_mul_f64 v[50:51], v[48:49], v[46:47]
	v_fma_f64 v[44:45], -v[44:45], v[50:51], v[48:49]
	v_mov_b32_e32 v49, s15
	v_mov_b32_e32 v48, s14
	v_div_fmas_f64 v[44:45], v[44:45], v[46:47], v[50:51]
	v_mov_b32_e32 v47, s13
	v_mov_b32_e32 v46, s12
	v_fma_f64 v[46:47], s[14:15], v[29:30], v[46:47]
	v_fma_f64 v[29:30], -s[12:13], v[29:30], v[48:49]
	v_div_fixup_f64 v[44:45], v[44:45], v[31:32], 1.0
	v_mul_f64 v[31:32], v[46:47], v[44:45]
	v_mul_f64 v[29:30], v[29:30], v[44:45]
.LBB62_29:                              ;   in Loop: Header=BB62_5 Depth=1
	s_andn2_saveexec_b64 s[42:43], s[6:7]
	s_cbranch_execz .LBB62_31
; %bb.30:                               ;   in Loop: Header=BB62_5 Depth=1
	v_div_scale_f64 v[29:30], s[6:7], v[39:40], v[39:40], s[12:13]
	v_div_scale_f64 v[31:32], s[6:7], v[41:42], v[41:42], s[14:15]
	;; [unrolled: 1-line block ×3, first 2 shown]
	v_rcp_f64_e32 v[44:45], v[29:30]
	v_rcp_f64_e32 v[46:47], v[31:32]
	v_fma_f64 v[48:49], -v[29:30], v[44:45], 1.0
	v_fma_f64 v[50:51], -v[31:32], v[46:47], 1.0
	v_fma_f64 v[44:45], v[44:45], v[48:49], v[44:45]
	v_div_scale_f64 v[48:49], vcc, s[12:13], v[39:40], s[12:13]
	v_fma_f64 v[46:47], v[46:47], v[50:51], v[46:47]
	v_fma_f64 v[50:51], -v[29:30], v[44:45], 1.0
	v_fma_f64 v[54:55], -v[31:32], v[46:47], 1.0
	v_fma_f64 v[44:45], v[44:45], v[50:51], v[44:45]
	v_fma_f64 v[46:47], v[46:47], v[54:55], v[46:47]
	v_mul_f64 v[50:51], v[48:49], v[44:45]
	v_mul_f64 v[54:55], v[52:53], v[46:47]
	v_fma_f64 v[29:30], -v[29:30], v[50:51], v[48:49]
	v_fma_f64 v[31:32], -v[31:32], v[54:55], v[52:53]
	v_div_fmas_f64 v[29:30], v[29:30], v[44:45], v[50:51]
	s_mov_b64 vcc, s[6:7]
	v_div_fmas_f64 v[44:45], v[31:32], v[46:47], v[54:55]
	v_div_fixup_f64 v[31:32], v[29:30], v[39:40], s[12:13]
	v_div_fixup_f64 v[29:30], v[44:45], v[41:42], s[14:15]
.LBB62_31:                              ;   in Loop: Header=BB62_5 Depth=1
	s_or_b64 exec, exec, s[42:43]
.LBB62_32:                              ;   in Loop: Header=BB62_5 Depth=1
	s_andn2_saveexec_b64 s[6:7], s[40:41]
	s_cbranch_execz .LBB62_34
; %bb.33:                               ;   in Loop: Header=BB62_5 Depth=1
	v_div_scale_f64 v[29:30], s[40:41], v[27:28], v[27:28], v[25:26]
	v_rcp_f64_e32 v[31:32], v[29:30]
	v_fma_f64 v[44:45], -v[29:30], v[31:32], 1.0
	v_fma_f64 v[31:32], v[31:32], v[44:45], v[31:32]
	v_div_scale_f64 v[44:45], vcc, v[25:26], v[27:28], v[25:26]
	v_fma_f64 v[46:47], -v[29:30], v[31:32], 1.0
	v_fma_f64 v[31:32], v[31:32], v[46:47], v[31:32]
	v_mul_f64 v[46:47], v[44:45], v[31:32]
	v_fma_f64 v[29:30], -v[29:30], v[46:47], v[44:45]
	v_div_fmas_f64 v[29:30], v[29:30], v[31:32], v[46:47]
	v_div_fixup_f64 v[29:30], v[29:30], v[27:28], v[25:26]
	v_fma_f64 v[31:32], v[25:26], v[29:30], v[27:28]
	v_div_scale_f64 v[44:45], s[40:41], v[31:32], v[31:32], 1.0
	v_rcp_f64_e32 v[46:47], v[44:45]
	v_fma_f64 v[48:49], -v[44:45], v[46:47], 1.0
	v_fma_f64 v[46:47], v[46:47], v[48:49], v[46:47]
	v_div_scale_f64 v[48:49], vcc, 1.0, v[31:32], 1.0
	v_fma_f64 v[50:51], -v[44:45], v[46:47], 1.0
	v_fma_f64 v[46:47], v[46:47], v[50:51], v[46:47]
	v_mul_f64 v[50:51], v[48:49], v[46:47]
	v_fma_f64 v[44:45], -v[44:45], v[50:51], v[48:49]
	v_mov_b32_e32 v49, s13
	v_mov_b32_e32 v48, s12
	v_div_fmas_f64 v[44:45], v[44:45], v[46:47], v[50:51]
	v_mov_b32_e32 v47, s15
	v_mov_b32_e32 v46, s14
	v_fma_f64 v[46:47], s[12:13], v[29:30], v[46:47]
	v_fma_f64 v[29:30], s[14:15], v[29:30], -v[48:49]
	v_div_fixup_f64 v[44:45], v[44:45], v[31:32], 1.0
	v_mul_f64 v[31:32], v[46:47], v[44:45]
	v_mul_f64 v[29:30], v[29:30], v[44:45]
.LBB62_34:                              ;   in Loop: Header=BB62_5 Depth=1
	s_or_b64 exec, exec, s[6:7]
	v_mul_f64 v[44:45], s[10:11], v[29:30]
	v_mul_f64 v[46:47], s[8:9], v[29:30]
	s_mov_b64 s[6:7], 0
	v_fma_f64 v[29:30], s[8:9], v[31:32], -v[44:45]
	v_fma_f64 v[31:32], s[10:11], v[31:32], v[46:47]
.LBB62_35:                              ;   in Loop: Header=BB62_5 Depth=1
	s_and_b64 vcc, exec, s[6:7]
	s_cbranch_vccz .LBB62_45
; %bb.36:                               ;   in Loop: Header=BB62_5 Depth=1
                                        ; implicit-def: $vgpr31_vgpr32
                                        ; implicit-def: $vgpr29_vgpr30
	s_and_saveexec_b64 s[6:7], s[2:3]
	s_xor_b64 s[6:7], exec, s[6:7]
	s_cbranch_execz .LBB62_42
; %bb.37:                               ;   in Loop: Header=BB62_5 Depth=1
	v_cmp_neq_f64_e32 vcc, 0, v[25:26]
	v_cmp_neq_f64_e64 s[2:3], 0, v[27:28]
                                        ; implicit-def: $vgpr31_vgpr32
                                        ; implicit-def: $vgpr29_vgpr30
	s_or_b64 s[2:3], vcc, s[2:3]
	s_and_saveexec_b64 s[40:41], s[2:3]
	s_xor_b64 s[2:3], exec, s[40:41]
	s_cbranch_execz .LBB62_39
; %bb.38:                               ;   in Loop: Header=BB62_5 Depth=1
	v_div_scale_f64 v[29:30], s[40:41], v[25:26], v[25:26], v[27:28]
	v_rcp_f64_e32 v[31:32], v[29:30]
	v_fma_f64 v[39:40], -v[29:30], v[31:32], 1.0
	v_fma_f64 v[31:32], v[31:32], v[39:40], v[31:32]
	v_div_scale_f64 v[39:40], vcc, v[27:28], v[25:26], v[27:28]
	v_fma_f64 v[41:42], -v[29:30], v[31:32], 1.0
	v_fma_f64 v[31:32], v[31:32], v[41:42], v[31:32]
	v_mul_f64 v[41:42], v[39:40], v[31:32]
	v_fma_f64 v[29:30], -v[29:30], v[41:42], v[39:40]
	v_div_fmas_f64 v[29:30], v[29:30], v[31:32], v[41:42]
	v_div_fixup_f64 v[29:30], v[29:30], v[25:26], v[27:28]
	v_fma_f64 v[25:26], v[27:28], v[29:30], v[25:26]
	v_div_scale_f64 v[27:28], s[40:41], v[25:26], v[25:26], 1.0
	v_rcp_f64_e32 v[31:32], v[27:28]
	v_fma_f64 v[39:40], -v[27:28], v[31:32], 1.0
	v_fma_f64 v[31:32], v[31:32], v[39:40], v[31:32]
	v_div_scale_f64 v[39:40], vcc, 1.0, v[25:26], 1.0
	v_fma_f64 v[41:42], -v[27:28], v[31:32], 1.0
	v_fma_f64 v[31:32], v[31:32], v[41:42], v[31:32]
	v_mul_f64 v[41:42], v[39:40], v[31:32]
	v_fma_f64 v[27:28], -v[27:28], v[41:42], v[39:40]
	v_mov_b32_e32 v40, s15
	v_mov_b32_e32 v39, s14
	v_div_fmas_f64 v[27:28], v[27:28], v[31:32], v[41:42]
	v_mov_b32_e32 v32, s13
	v_mov_b32_e32 v31, s12
	v_fma_f64 v[31:32], s[14:15], v[29:30], v[31:32]
                                        ; implicit-def: $vgpr41_vgpr42
	v_div_fixup_f64 v[25:26], v[27:28], v[25:26], 1.0
	v_fma_f64 v[27:28], -s[12:13], v[29:30], v[39:40]
                                        ; implicit-def: $vgpr39_vgpr40
	v_mul_f64 v[29:30], v[31:32], v[25:26]
	v_mul_f64 v[31:32], v[27:28], v[25:26]
.LBB62_39:                              ;   in Loop: Header=BB62_5 Depth=1
	s_andn2_saveexec_b64 s[40:41], s[2:3]
	s_cbranch_execz .LBB62_41
; %bb.40:                               ;   in Loop: Header=BB62_5 Depth=1
	v_div_scale_f64 v[25:26], s[2:3], v[39:40], v[39:40], s[12:13]
	v_div_scale_f64 v[27:28], s[2:3], v[41:42], v[41:42], s[14:15]
	;; [unrolled: 1-line block ×3, first 2 shown]
	v_rcp_f64_e32 v[29:30], v[25:26]
	v_rcp_f64_e32 v[31:32], v[27:28]
	v_fma_f64 v[44:45], -v[25:26], v[29:30], 1.0
	v_fma_f64 v[46:47], -v[27:28], v[31:32], 1.0
	v_fma_f64 v[29:30], v[29:30], v[44:45], v[29:30]
	v_div_scale_f64 v[44:45], vcc, s[12:13], v[39:40], s[12:13]
	v_fma_f64 v[31:32], v[31:32], v[46:47], v[31:32]
	v_fma_f64 v[46:47], -v[25:26], v[29:30], 1.0
	v_fma_f64 v[50:51], -v[27:28], v[31:32], 1.0
	v_fma_f64 v[29:30], v[29:30], v[46:47], v[29:30]
	v_fma_f64 v[31:32], v[31:32], v[50:51], v[31:32]
	v_mul_f64 v[46:47], v[44:45], v[29:30]
	v_mul_f64 v[50:51], v[48:49], v[31:32]
	v_fma_f64 v[25:26], -v[25:26], v[46:47], v[44:45]
	v_fma_f64 v[27:28], -v[27:28], v[50:51], v[48:49]
	v_div_fmas_f64 v[25:26], v[25:26], v[29:30], v[46:47]
	s_mov_b64 vcc, s[2:3]
	v_div_fmas_f64 v[27:28], v[27:28], v[31:32], v[50:51]
	v_div_fixup_f64 v[29:30], v[25:26], v[39:40], s[12:13]
	v_div_fixup_f64 v[31:32], v[27:28], v[41:42], s[14:15]
.LBB62_41:                              ;   in Loop: Header=BB62_5 Depth=1
	s_or_b64 exec, exec, s[40:41]
                                        ; implicit-def: $vgpr27_vgpr28
.LBB62_42:                              ;   in Loop: Header=BB62_5 Depth=1
	s_andn2_saveexec_b64 s[2:3], s[6:7]
	s_cbranch_execz .LBB62_44
; %bb.43:                               ;   in Loop: Header=BB62_5 Depth=1
	v_div_scale_f64 v[29:30], s[6:7], v[27:28], v[27:28], v[25:26]
	v_rcp_f64_e32 v[31:32], v[29:30]
	v_fma_f64 v[39:40], -v[29:30], v[31:32], 1.0
	v_fma_f64 v[31:32], v[31:32], v[39:40], v[31:32]
	v_div_scale_f64 v[39:40], vcc, v[25:26], v[27:28], v[25:26]
	v_fma_f64 v[41:42], -v[29:30], v[31:32], 1.0
	v_fma_f64 v[31:32], v[31:32], v[41:42], v[31:32]
	v_mul_f64 v[41:42], v[39:40], v[31:32]
	v_fma_f64 v[29:30], -v[29:30], v[41:42], v[39:40]
	v_div_fmas_f64 v[29:30], v[29:30], v[31:32], v[41:42]
	v_div_fixup_f64 v[29:30], v[29:30], v[27:28], v[25:26]
	v_fma_f64 v[25:26], v[25:26], v[29:30], v[27:28]
	v_div_scale_f64 v[27:28], s[6:7], v[25:26], v[25:26], 1.0
	v_rcp_f64_e32 v[31:32], v[27:28]
	v_fma_f64 v[39:40], -v[27:28], v[31:32], 1.0
	v_fma_f64 v[31:32], v[31:32], v[39:40], v[31:32]
	v_div_scale_f64 v[39:40], vcc, 1.0, v[25:26], 1.0
	v_fma_f64 v[41:42], -v[27:28], v[31:32], 1.0
	v_fma_f64 v[31:32], v[31:32], v[41:42], v[31:32]
	v_mul_f64 v[41:42], v[39:40], v[31:32]
	v_fma_f64 v[27:28], -v[27:28], v[41:42], v[39:40]
	v_mov_b32_e32 v40, s13
	v_mov_b32_e32 v39, s12
	v_div_fmas_f64 v[27:28], v[27:28], v[31:32], v[41:42]
	v_mov_b32_e32 v32, s15
	v_mov_b32_e32 v31, s14
	v_fma_f64 v[31:32], s[12:13], v[29:30], v[31:32]
	v_div_fixup_f64 v[25:26], v[27:28], v[25:26], 1.0
	v_fma_f64 v[27:28], s[14:15], v[29:30], -v[39:40]
	v_mul_f64 v[29:30], v[31:32], v[25:26]
	v_mul_f64 v[31:32], v[27:28], v[25:26]
.LBB62_44:                              ;   in Loop: Header=BB62_5 Depth=1
	s_or_b64 exec, exec, s[2:3]
.LBB62_45:                              ;   in Loop: Header=BB62_5 Depth=1
	s_waitcnt vmcnt(0)
	v_cmp_gt_f64_e32 vcc, 0, v[21:22]
	v_xor_b32_e32 v25, 0x80000000, v22
	v_mov_b32_e32 v39, v21
	v_mov_b32_e32 v41, v23
	s_mov_b64 s[6:7], -1
                                        ; implicit-def: $vgpr27_vgpr28
	v_cndmask_b32_e32 v40, v22, v25, vcc
	v_cmp_gt_f64_e32 vcc, 0, v[23:24]
	v_xor_b32_e32 v25, 0x80000000, v24
	v_cndmask_b32_e32 v42, v24, v25, vcc
	v_cmp_ge_f64_e64 s[2:3], v[39:40], v[41:42]
	s_and_b64 vcc, exec, s[0:1]
                                        ; implicit-def: $vgpr25_vgpr26
	s_cbranch_vccnz .LBB62_55
; %bb.46:                               ;   in Loop: Header=BB62_5 Depth=1
                                        ; implicit-def: $vgpr25_vgpr26
                                        ; implicit-def: $vgpr27_vgpr28
	s_and_saveexec_b64 s[6:7], s[2:3]
	s_xor_b64 s[40:41], exec, s[6:7]
	s_cbranch_execz .LBB62_52
; %bb.47:                               ;   in Loop: Header=BB62_5 Depth=1
	v_cmp_neq_f64_e32 vcc, 0, v[21:22]
	v_cmp_neq_f64_e64 s[6:7], 0, v[23:24]
                                        ; implicit-def: $vgpr25_vgpr26
                                        ; implicit-def: $vgpr27_vgpr28
	s_or_b64 s[6:7], vcc, s[6:7]
	s_and_saveexec_b64 s[42:43], s[6:7]
	s_xor_b64 s[6:7], exec, s[42:43]
	s_cbranch_execz .LBB62_49
; %bb.48:                               ;   in Loop: Header=BB62_5 Depth=1
	v_div_scale_f64 v[25:26], s[42:43], v[21:22], v[21:22], v[23:24]
	v_rcp_f64_e32 v[27:28], v[25:26]
	v_fma_f64 v[44:45], -v[25:26], v[27:28], 1.0
	v_fma_f64 v[27:28], v[27:28], v[44:45], v[27:28]
	v_div_scale_f64 v[44:45], vcc, v[23:24], v[21:22], v[23:24]
	v_fma_f64 v[46:47], -v[25:26], v[27:28], 1.0
	v_fma_f64 v[27:28], v[27:28], v[46:47], v[27:28]
	v_mul_f64 v[46:47], v[44:45], v[27:28]
	v_fma_f64 v[25:26], -v[25:26], v[46:47], v[44:45]
	v_div_fmas_f64 v[25:26], v[25:26], v[27:28], v[46:47]
	v_div_fixup_f64 v[25:26], v[25:26], v[21:22], v[23:24]
	v_fma_f64 v[27:28], v[23:24], v[25:26], v[21:22]
	v_div_scale_f64 v[44:45], s[42:43], v[27:28], v[27:28], 1.0
	v_rcp_f64_e32 v[46:47], v[44:45]
	v_fma_f64 v[48:49], -v[44:45], v[46:47], 1.0
	v_fma_f64 v[46:47], v[46:47], v[48:49], v[46:47]
	v_div_scale_f64 v[48:49], vcc, 1.0, v[27:28], 1.0
	v_fma_f64 v[50:51], -v[44:45], v[46:47], 1.0
	v_fma_f64 v[46:47], v[46:47], v[50:51], v[46:47]
	v_mul_f64 v[50:51], v[48:49], v[46:47]
	v_fma_f64 v[44:45], -v[44:45], v[50:51], v[48:49]
	v_mov_b32_e32 v49, s15
	v_mov_b32_e32 v48, s14
	v_div_fmas_f64 v[44:45], v[44:45], v[46:47], v[50:51]
	v_mov_b32_e32 v47, s13
	v_mov_b32_e32 v46, s12
	v_fma_f64 v[46:47], s[14:15], v[25:26], v[46:47]
	v_fma_f64 v[25:26], -s[12:13], v[25:26], v[48:49]
	v_div_fixup_f64 v[44:45], v[44:45], v[27:28], 1.0
	v_mul_f64 v[27:28], v[46:47], v[44:45]
	v_mul_f64 v[25:26], v[25:26], v[44:45]
.LBB62_49:                              ;   in Loop: Header=BB62_5 Depth=1
	s_andn2_saveexec_b64 s[42:43], s[6:7]
	s_cbranch_execz .LBB62_51
; %bb.50:                               ;   in Loop: Header=BB62_5 Depth=1
	v_div_scale_f64 v[25:26], s[6:7], v[39:40], v[39:40], s[12:13]
	v_div_scale_f64 v[27:28], s[6:7], v[41:42], v[41:42], s[14:15]
	;; [unrolled: 1-line block ×3, first 2 shown]
	v_rcp_f64_e32 v[44:45], v[25:26]
	v_rcp_f64_e32 v[46:47], v[27:28]
	v_fma_f64 v[48:49], -v[25:26], v[44:45], 1.0
	v_fma_f64 v[50:51], -v[27:28], v[46:47], 1.0
	v_fma_f64 v[44:45], v[44:45], v[48:49], v[44:45]
	v_div_scale_f64 v[48:49], vcc, s[12:13], v[39:40], s[12:13]
	v_fma_f64 v[46:47], v[46:47], v[50:51], v[46:47]
	v_fma_f64 v[50:51], -v[25:26], v[44:45], 1.0
	v_fma_f64 v[54:55], -v[27:28], v[46:47], 1.0
	v_fma_f64 v[44:45], v[44:45], v[50:51], v[44:45]
	v_fma_f64 v[46:47], v[46:47], v[54:55], v[46:47]
	v_mul_f64 v[50:51], v[48:49], v[44:45]
	v_mul_f64 v[54:55], v[52:53], v[46:47]
	v_fma_f64 v[25:26], -v[25:26], v[50:51], v[48:49]
	v_fma_f64 v[27:28], -v[27:28], v[54:55], v[52:53]
	v_div_fmas_f64 v[25:26], v[25:26], v[44:45], v[50:51]
	s_mov_b64 vcc, s[6:7]
	v_div_fmas_f64 v[44:45], v[27:28], v[46:47], v[54:55]
	v_div_fixup_f64 v[27:28], v[25:26], v[39:40], s[12:13]
	v_div_fixup_f64 v[25:26], v[44:45], v[41:42], s[14:15]
.LBB62_51:                              ;   in Loop: Header=BB62_5 Depth=1
	s_or_b64 exec, exec, s[42:43]
.LBB62_52:                              ;   in Loop: Header=BB62_5 Depth=1
	s_andn2_saveexec_b64 s[6:7], s[40:41]
	s_cbranch_execz .LBB62_54
; %bb.53:                               ;   in Loop: Header=BB62_5 Depth=1
	v_div_scale_f64 v[25:26], s[40:41], v[23:24], v[23:24], v[21:22]
	v_rcp_f64_e32 v[27:28], v[25:26]
	v_fma_f64 v[44:45], -v[25:26], v[27:28], 1.0
	v_fma_f64 v[27:28], v[27:28], v[44:45], v[27:28]
	v_div_scale_f64 v[44:45], vcc, v[21:22], v[23:24], v[21:22]
	v_fma_f64 v[46:47], -v[25:26], v[27:28], 1.0
	v_fma_f64 v[27:28], v[27:28], v[46:47], v[27:28]
	v_mul_f64 v[46:47], v[44:45], v[27:28]
	v_fma_f64 v[25:26], -v[25:26], v[46:47], v[44:45]
	v_div_fmas_f64 v[25:26], v[25:26], v[27:28], v[46:47]
	v_div_fixup_f64 v[25:26], v[25:26], v[23:24], v[21:22]
	v_fma_f64 v[27:28], v[21:22], v[25:26], v[23:24]
	v_div_scale_f64 v[44:45], s[40:41], v[27:28], v[27:28], 1.0
	v_rcp_f64_e32 v[46:47], v[44:45]
	v_fma_f64 v[48:49], -v[44:45], v[46:47], 1.0
	v_fma_f64 v[46:47], v[46:47], v[48:49], v[46:47]
	v_div_scale_f64 v[48:49], vcc, 1.0, v[27:28], 1.0
	v_fma_f64 v[50:51], -v[44:45], v[46:47], 1.0
	v_fma_f64 v[46:47], v[46:47], v[50:51], v[46:47]
	v_mul_f64 v[50:51], v[48:49], v[46:47]
	v_fma_f64 v[44:45], -v[44:45], v[50:51], v[48:49]
	v_mov_b32_e32 v49, s13
	v_mov_b32_e32 v48, s12
	v_div_fmas_f64 v[44:45], v[44:45], v[46:47], v[50:51]
	v_mov_b32_e32 v47, s15
	v_mov_b32_e32 v46, s14
	v_fma_f64 v[46:47], s[12:13], v[25:26], v[46:47]
	v_fma_f64 v[25:26], s[14:15], v[25:26], -v[48:49]
	v_div_fixup_f64 v[44:45], v[44:45], v[27:28], 1.0
	v_mul_f64 v[27:28], v[46:47], v[44:45]
	v_mul_f64 v[25:26], v[25:26], v[44:45]
.LBB62_54:                              ;   in Loop: Header=BB62_5 Depth=1
	s_or_b64 exec, exec, s[6:7]
	v_mul_f64 v[44:45], s[10:11], v[25:26]
	v_mul_f64 v[46:47], s[8:9], v[25:26]
	s_mov_b64 s[6:7], 0
	v_fma_f64 v[25:26], s[8:9], v[27:28], -v[44:45]
	v_fma_f64 v[27:28], s[10:11], v[27:28], v[46:47]
.LBB62_55:                              ;   in Loop: Header=BB62_5 Depth=1
	s_and_b64 vcc, exec, s[6:7]
	s_cbranch_vccz .LBB62_65
; %bb.56:                               ;   in Loop: Header=BB62_5 Depth=1
                                        ; implicit-def: $vgpr27_vgpr28
                                        ; implicit-def: $vgpr25_vgpr26
	s_and_saveexec_b64 s[6:7], s[2:3]
	s_xor_b64 s[6:7], exec, s[6:7]
	s_cbranch_execz .LBB62_62
; %bb.57:                               ;   in Loop: Header=BB62_5 Depth=1
	v_cmp_neq_f64_e32 vcc, 0, v[21:22]
	v_cmp_neq_f64_e64 s[2:3], 0, v[23:24]
                                        ; implicit-def: $vgpr27_vgpr28
                                        ; implicit-def: $vgpr25_vgpr26
	s_or_b64 s[2:3], vcc, s[2:3]
	s_and_saveexec_b64 s[40:41], s[2:3]
	s_xor_b64 s[2:3], exec, s[40:41]
	s_cbranch_execz .LBB62_59
; %bb.58:                               ;   in Loop: Header=BB62_5 Depth=1
	v_div_scale_f64 v[25:26], s[40:41], v[21:22], v[21:22], v[23:24]
	v_rcp_f64_e32 v[27:28], v[25:26]
	v_fma_f64 v[39:40], -v[25:26], v[27:28], 1.0
	v_fma_f64 v[27:28], v[27:28], v[39:40], v[27:28]
	v_div_scale_f64 v[39:40], vcc, v[23:24], v[21:22], v[23:24]
	v_fma_f64 v[41:42], -v[25:26], v[27:28], 1.0
	v_fma_f64 v[27:28], v[27:28], v[41:42], v[27:28]
	v_mul_f64 v[41:42], v[39:40], v[27:28]
	v_fma_f64 v[25:26], -v[25:26], v[41:42], v[39:40]
	v_div_fmas_f64 v[25:26], v[25:26], v[27:28], v[41:42]
	v_div_fixup_f64 v[25:26], v[25:26], v[21:22], v[23:24]
	v_fma_f64 v[21:22], v[23:24], v[25:26], v[21:22]
	v_div_scale_f64 v[23:24], s[40:41], v[21:22], v[21:22], 1.0
	v_rcp_f64_e32 v[27:28], v[23:24]
	v_fma_f64 v[39:40], -v[23:24], v[27:28], 1.0
	v_fma_f64 v[27:28], v[27:28], v[39:40], v[27:28]
	v_div_scale_f64 v[39:40], vcc, 1.0, v[21:22], 1.0
	v_fma_f64 v[41:42], -v[23:24], v[27:28], 1.0
	v_fma_f64 v[27:28], v[27:28], v[41:42], v[27:28]
	v_mul_f64 v[41:42], v[39:40], v[27:28]
	v_fma_f64 v[23:24], -v[23:24], v[41:42], v[39:40]
	v_mov_b32_e32 v40, s15
	v_mov_b32_e32 v39, s14
	v_div_fmas_f64 v[23:24], v[23:24], v[27:28], v[41:42]
	v_mov_b32_e32 v28, s13
	v_mov_b32_e32 v27, s12
	v_fma_f64 v[27:28], s[14:15], v[25:26], v[27:28]
                                        ; implicit-def: $vgpr41_vgpr42
	v_div_fixup_f64 v[21:22], v[23:24], v[21:22], 1.0
	v_fma_f64 v[23:24], -s[12:13], v[25:26], v[39:40]
                                        ; implicit-def: $vgpr39_vgpr40
	v_mul_f64 v[25:26], v[27:28], v[21:22]
	v_mul_f64 v[27:28], v[23:24], v[21:22]
.LBB62_59:                              ;   in Loop: Header=BB62_5 Depth=1
	s_andn2_saveexec_b64 s[40:41], s[2:3]
	s_cbranch_execz .LBB62_61
; %bb.60:                               ;   in Loop: Header=BB62_5 Depth=1
	v_div_scale_f64 v[21:22], s[2:3], v[39:40], v[39:40], s[12:13]
	v_div_scale_f64 v[23:24], s[2:3], v[41:42], v[41:42], s[14:15]
	;; [unrolled: 1-line block ×3, first 2 shown]
	v_rcp_f64_e32 v[25:26], v[21:22]
	v_rcp_f64_e32 v[27:28], v[23:24]
	v_fma_f64 v[44:45], -v[21:22], v[25:26], 1.0
	v_fma_f64 v[46:47], -v[23:24], v[27:28], 1.0
	v_fma_f64 v[25:26], v[25:26], v[44:45], v[25:26]
	v_div_scale_f64 v[44:45], vcc, s[12:13], v[39:40], s[12:13]
	v_fma_f64 v[27:28], v[27:28], v[46:47], v[27:28]
	v_fma_f64 v[46:47], -v[21:22], v[25:26], 1.0
	v_fma_f64 v[50:51], -v[23:24], v[27:28], 1.0
	v_fma_f64 v[25:26], v[25:26], v[46:47], v[25:26]
	v_fma_f64 v[27:28], v[27:28], v[50:51], v[27:28]
	v_mul_f64 v[46:47], v[44:45], v[25:26]
	v_mul_f64 v[50:51], v[48:49], v[27:28]
	v_fma_f64 v[21:22], -v[21:22], v[46:47], v[44:45]
	v_fma_f64 v[23:24], -v[23:24], v[50:51], v[48:49]
	v_div_fmas_f64 v[21:22], v[21:22], v[25:26], v[46:47]
	s_mov_b64 vcc, s[2:3]
	v_div_fmas_f64 v[23:24], v[23:24], v[27:28], v[50:51]
	v_div_fixup_f64 v[25:26], v[21:22], v[39:40], s[12:13]
	v_div_fixup_f64 v[27:28], v[23:24], v[41:42], s[14:15]
.LBB62_61:                              ;   in Loop: Header=BB62_5 Depth=1
	s_or_b64 exec, exec, s[40:41]
                                        ; implicit-def: $vgpr23_vgpr24
.LBB62_62:                              ;   in Loop: Header=BB62_5 Depth=1
	s_andn2_saveexec_b64 s[2:3], s[6:7]
	s_cbranch_execz .LBB62_64
; %bb.63:                               ;   in Loop: Header=BB62_5 Depth=1
	v_div_scale_f64 v[25:26], s[6:7], v[23:24], v[23:24], v[21:22]
	v_rcp_f64_e32 v[27:28], v[25:26]
	v_fma_f64 v[39:40], -v[25:26], v[27:28], 1.0
	v_fma_f64 v[27:28], v[27:28], v[39:40], v[27:28]
	v_div_scale_f64 v[39:40], vcc, v[21:22], v[23:24], v[21:22]
	v_fma_f64 v[41:42], -v[25:26], v[27:28], 1.0
	v_fma_f64 v[27:28], v[27:28], v[41:42], v[27:28]
	v_mul_f64 v[41:42], v[39:40], v[27:28]
	v_fma_f64 v[25:26], -v[25:26], v[41:42], v[39:40]
	v_div_fmas_f64 v[25:26], v[25:26], v[27:28], v[41:42]
	v_div_fixup_f64 v[25:26], v[25:26], v[23:24], v[21:22]
	v_fma_f64 v[21:22], v[21:22], v[25:26], v[23:24]
	v_div_scale_f64 v[23:24], s[6:7], v[21:22], v[21:22], 1.0
	v_rcp_f64_e32 v[27:28], v[23:24]
	v_fma_f64 v[39:40], -v[23:24], v[27:28], 1.0
	v_fma_f64 v[27:28], v[27:28], v[39:40], v[27:28]
	v_div_scale_f64 v[39:40], vcc, 1.0, v[21:22], 1.0
	v_fma_f64 v[41:42], -v[23:24], v[27:28], 1.0
	v_fma_f64 v[27:28], v[27:28], v[41:42], v[27:28]
	v_mul_f64 v[41:42], v[39:40], v[27:28]
	v_fma_f64 v[23:24], -v[23:24], v[41:42], v[39:40]
	v_mov_b32_e32 v40, s13
	v_mov_b32_e32 v39, s12
	v_div_fmas_f64 v[23:24], v[23:24], v[27:28], v[41:42]
	v_mov_b32_e32 v28, s15
	v_mov_b32_e32 v27, s14
	v_fma_f64 v[27:28], s[12:13], v[25:26], v[27:28]
	v_div_fixup_f64 v[21:22], v[23:24], v[21:22], 1.0
	v_fma_f64 v[23:24], s[14:15], v[25:26], -v[39:40]
	v_mul_f64 v[25:26], v[27:28], v[21:22]
	v_mul_f64 v[27:28], v[23:24], v[21:22]
.LBB62_64:                              ;   in Loop: Header=BB62_5 Depth=1
	s_or_b64 exec, exec, s[2:3]
.LBB62_65:                              ;   in Loop: Header=BB62_5 Depth=1
	v_cmp_gt_f64_e32 vcc, 0, v[17:18]
	v_xor_b32_e32 v21, 0x80000000, v18
	v_xor_b32_e32 v23, 0x80000000, v20
                                        ; implicit-def: $vgpr41_vgpr42
                                        ; implicit-def: $vgpr39_vgpr40
	v_cndmask_b32_e32 v22, v18, v21, vcc
	v_cmp_gt_f64_e32 vcc, 0, v[19:20]
	v_mov_b32_e32 v21, v17
	v_cndmask_b32_e32 v24, v20, v23, vcc
	v_mov_b32_e32 v23, v19
	v_cmp_ge_f64_e64 s[2:3], v[21:22], v[23:24]
	s_and_b64 vcc, exec, s[0:1]
	s_mov_b64 s[0:1], -1
	s_cbranch_vccnz .LBB62_75
; %bb.66:                               ;   in Loop: Header=BB62_5 Depth=1
                                        ; implicit-def: $vgpr39_vgpr40
                                        ; implicit-def: $vgpr41_vgpr42
	s_and_saveexec_b64 s[0:1], s[2:3]
	s_xor_b64 s[6:7], exec, s[0:1]
	s_cbranch_execz .LBB62_72
; %bb.67:                               ;   in Loop: Header=BB62_5 Depth=1
	v_cmp_neq_f64_e32 vcc, 0, v[17:18]
	v_cmp_neq_f64_e64 s[0:1], 0, v[19:20]
                                        ; implicit-def: $vgpr39_vgpr40
                                        ; implicit-def: $vgpr41_vgpr42
	s_or_b64 s[0:1], vcc, s[0:1]
	s_and_saveexec_b64 s[40:41], s[0:1]
	s_xor_b64 s[0:1], exec, s[40:41]
	s_cbranch_execz .LBB62_69
; %bb.68:                               ;   in Loop: Header=BB62_5 Depth=1
	v_div_scale_f64 v[39:40], s[40:41], v[17:18], v[17:18], v[19:20]
	v_rcp_f64_e32 v[41:42], v[39:40]
	v_fma_f64 v[44:45], -v[39:40], v[41:42], 1.0
	v_fma_f64 v[41:42], v[41:42], v[44:45], v[41:42]
	v_div_scale_f64 v[44:45], vcc, v[19:20], v[17:18], v[19:20]
	v_fma_f64 v[46:47], -v[39:40], v[41:42], 1.0
	v_fma_f64 v[41:42], v[41:42], v[46:47], v[41:42]
	v_mul_f64 v[46:47], v[44:45], v[41:42]
	v_fma_f64 v[39:40], -v[39:40], v[46:47], v[44:45]
	v_div_fmas_f64 v[39:40], v[39:40], v[41:42], v[46:47]
	v_div_fixup_f64 v[39:40], v[39:40], v[17:18], v[19:20]
	v_fma_f64 v[41:42], v[19:20], v[39:40], v[17:18]
	v_div_scale_f64 v[44:45], s[40:41], v[41:42], v[41:42], 1.0
	v_rcp_f64_e32 v[46:47], v[44:45]
	v_fma_f64 v[48:49], -v[44:45], v[46:47], 1.0
	v_fma_f64 v[46:47], v[46:47], v[48:49], v[46:47]
	v_div_scale_f64 v[48:49], vcc, 1.0, v[41:42], 1.0
	v_fma_f64 v[50:51], -v[44:45], v[46:47], 1.0
	v_fma_f64 v[46:47], v[46:47], v[50:51], v[46:47]
	v_mul_f64 v[50:51], v[48:49], v[46:47]
	v_fma_f64 v[44:45], -v[44:45], v[50:51], v[48:49]
	v_mov_b32_e32 v49, s15
	v_mov_b32_e32 v48, s14
	v_div_fmas_f64 v[44:45], v[44:45], v[46:47], v[50:51]
	v_mov_b32_e32 v47, s13
	v_mov_b32_e32 v46, s12
	v_fma_f64 v[46:47], s[14:15], v[39:40], v[46:47]
	v_fma_f64 v[39:40], -s[12:13], v[39:40], v[48:49]
	v_div_fixup_f64 v[44:45], v[44:45], v[41:42], 1.0
	v_mul_f64 v[41:42], v[46:47], v[44:45]
	v_mul_f64 v[39:40], v[39:40], v[44:45]
.LBB62_69:                              ;   in Loop: Header=BB62_5 Depth=1
	s_andn2_saveexec_b64 s[40:41], s[0:1]
	s_cbranch_execz .LBB62_71
; %bb.70:                               ;   in Loop: Header=BB62_5 Depth=1
	v_div_scale_f64 v[39:40], s[0:1], v[21:22], v[21:22], s[12:13]
	v_div_scale_f64 v[41:42], s[0:1], v[23:24], v[23:24], s[14:15]
	;; [unrolled: 1-line block ×3, first 2 shown]
	v_rcp_f64_e32 v[44:45], v[39:40]
	v_rcp_f64_e32 v[46:47], v[41:42]
	v_fma_f64 v[48:49], -v[39:40], v[44:45], 1.0
	v_fma_f64 v[50:51], -v[41:42], v[46:47], 1.0
	v_fma_f64 v[44:45], v[44:45], v[48:49], v[44:45]
	v_div_scale_f64 v[48:49], vcc, s[12:13], v[21:22], s[12:13]
	v_fma_f64 v[46:47], v[46:47], v[50:51], v[46:47]
	v_fma_f64 v[50:51], -v[39:40], v[44:45], 1.0
	v_fma_f64 v[54:55], -v[41:42], v[46:47], 1.0
	v_fma_f64 v[44:45], v[44:45], v[50:51], v[44:45]
	v_fma_f64 v[46:47], v[46:47], v[54:55], v[46:47]
	v_mul_f64 v[50:51], v[48:49], v[44:45]
	v_mul_f64 v[54:55], v[52:53], v[46:47]
	v_fma_f64 v[39:40], -v[39:40], v[50:51], v[48:49]
	v_fma_f64 v[41:42], -v[41:42], v[54:55], v[52:53]
	v_div_fmas_f64 v[39:40], v[39:40], v[44:45], v[50:51]
	s_mov_b64 vcc, s[0:1]
	v_div_fmas_f64 v[44:45], v[41:42], v[46:47], v[54:55]
	v_div_fixup_f64 v[41:42], v[39:40], v[21:22], s[12:13]
	v_div_fixup_f64 v[39:40], v[44:45], v[23:24], s[14:15]
.LBB62_71:                              ;   in Loop: Header=BB62_5 Depth=1
	s_or_b64 exec, exec, s[40:41]
.LBB62_72:                              ;   in Loop: Header=BB62_5 Depth=1
	s_andn2_saveexec_b64 s[0:1], s[6:7]
	s_cbranch_execz .LBB62_74
; %bb.73:                               ;   in Loop: Header=BB62_5 Depth=1
	v_div_scale_f64 v[39:40], s[6:7], v[19:20], v[19:20], v[17:18]
	v_rcp_f64_e32 v[41:42], v[39:40]
	v_fma_f64 v[44:45], -v[39:40], v[41:42], 1.0
	v_fma_f64 v[41:42], v[41:42], v[44:45], v[41:42]
	v_div_scale_f64 v[44:45], vcc, v[17:18], v[19:20], v[17:18]
	v_fma_f64 v[46:47], -v[39:40], v[41:42], 1.0
	v_fma_f64 v[41:42], v[41:42], v[46:47], v[41:42]
	v_mul_f64 v[46:47], v[44:45], v[41:42]
	v_fma_f64 v[39:40], -v[39:40], v[46:47], v[44:45]
	v_div_fmas_f64 v[39:40], v[39:40], v[41:42], v[46:47]
	v_div_fixup_f64 v[39:40], v[39:40], v[19:20], v[17:18]
	v_fma_f64 v[41:42], v[17:18], v[39:40], v[19:20]
	v_div_scale_f64 v[44:45], s[6:7], v[41:42], v[41:42], 1.0
	v_rcp_f64_e32 v[46:47], v[44:45]
	v_fma_f64 v[48:49], -v[44:45], v[46:47], 1.0
	v_fma_f64 v[46:47], v[46:47], v[48:49], v[46:47]
	v_div_scale_f64 v[48:49], vcc, 1.0, v[41:42], 1.0
	v_fma_f64 v[50:51], -v[44:45], v[46:47], 1.0
	v_fma_f64 v[46:47], v[46:47], v[50:51], v[46:47]
	v_mul_f64 v[50:51], v[48:49], v[46:47]
	v_fma_f64 v[44:45], -v[44:45], v[50:51], v[48:49]
	v_mov_b32_e32 v49, s13
	v_mov_b32_e32 v48, s12
	v_div_fmas_f64 v[44:45], v[44:45], v[46:47], v[50:51]
	v_mov_b32_e32 v47, s15
	v_mov_b32_e32 v46, s14
	v_fma_f64 v[46:47], s[12:13], v[39:40], v[46:47]
	v_fma_f64 v[39:40], s[14:15], v[39:40], -v[48:49]
	v_div_fixup_f64 v[44:45], v[44:45], v[41:42], 1.0
	v_mul_f64 v[41:42], v[46:47], v[44:45]
	v_mul_f64 v[39:40], v[39:40], v[44:45]
.LBB62_74:                              ;   in Loop: Header=BB62_5 Depth=1
	s_or_b64 exec, exec, s[0:1]
	v_mul_f64 v[44:45], s[10:11], v[39:40]
	v_mul_f64 v[46:47], s[8:9], v[39:40]
	s_mov_b64 s[0:1], 0
	v_fma_f64 v[39:40], s[8:9], v[41:42], -v[44:45]
	v_fma_f64 v[41:42], s[10:11], v[41:42], v[46:47]
.LBB62_75:                              ;   in Loop: Header=BB62_5 Depth=1
	s_and_b64 vcc, exec, s[0:1]
	s_cbranch_vccz .LBB62_4
; %bb.76:                               ;   in Loop: Header=BB62_5 Depth=1
                                        ; implicit-def: $vgpr41_vgpr42
                                        ; implicit-def: $vgpr39_vgpr40
	s_and_saveexec_b64 s[0:1], s[2:3]
	s_xor_b64 s[2:3], exec, s[0:1]
	s_cbranch_execz .LBB62_82
; %bb.77:                               ;   in Loop: Header=BB62_5 Depth=1
	v_cmp_neq_f64_e32 vcc, 0, v[17:18]
	v_cmp_neq_f64_e64 s[0:1], 0, v[19:20]
                                        ; implicit-def: $vgpr41_vgpr42
                                        ; implicit-def: $vgpr39_vgpr40
	s_or_b64 s[0:1], vcc, s[0:1]
	s_and_saveexec_b64 s[6:7], s[0:1]
	s_xor_b64 s[0:1], exec, s[6:7]
	s_cbranch_execz .LBB62_79
; %bb.78:                               ;   in Loop: Header=BB62_5 Depth=1
	v_div_scale_f64 v[21:22], s[6:7], v[17:18], v[17:18], v[19:20]
	v_rcp_f64_e32 v[23:24], v[21:22]
	v_fma_f64 v[39:40], -v[21:22], v[23:24], 1.0
	v_fma_f64 v[23:24], v[23:24], v[39:40], v[23:24]
	v_div_scale_f64 v[39:40], vcc, v[19:20], v[17:18], v[19:20]
	v_fma_f64 v[41:42], -v[21:22], v[23:24], 1.0
	v_fma_f64 v[23:24], v[23:24], v[41:42], v[23:24]
	v_mul_f64 v[41:42], v[39:40], v[23:24]
	v_fma_f64 v[21:22], -v[21:22], v[41:42], v[39:40]
	v_div_fmas_f64 v[21:22], v[21:22], v[23:24], v[41:42]
	v_div_fixup_f64 v[21:22], v[21:22], v[17:18], v[19:20]
	v_fma_f64 v[17:18], v[19:20], v[21:22], v[17:18]
	v_div_scale_f64 v[19:20], s[6:7], v[17:18], v[17:18], 1.0
	v_rcp_f64_e32 v[23:24], v[19:20]
	v_fma_f64 v[39:40], -v[19:20], v[23:24], 1.0
	v_fma_f64 v[23:24], v[23:24], v[39:40], v[23:24]
	v_div_scale_f64 v[39:40], vcc, 1.0, v[17:18], 1.0
	v_fma_f64 v[41:42], -v[19:20], v[23:24], 1.0
	v_fma_f64 v[23:24], v[23:24], v[41:42], v[23:24]
	v_mul_f64 v[41:42], v[39:40], v[23:24]
	v_fma_f64 v[19:20], -v[19:20], v[41:42], v[39:40]
	v_mov_b32_e32 v40, s15
	v_mov_b32_e32 v39, s14
	v_div_fmas_f64 v[19:20], v[19:20], v[23:24], v[41:42]
	v_mov_b32_e32 v24, s13
	v_mov_b32_e32 v23, s12
	v_fma_f64 v[23:24], s[14:15], v[21:22], v[23:24]
	v_div_fixup_f64 v[17:18], v[19:20], v[17:18], 1.0
	v_fma_f64 v[19:20], -s[12:13], v[21:22], v[39:40]
                                        ; implicit-def: $vgpr21_vgpr22
	v_mul_f64 v[39:40], v[23:24], v[17:18]
	v_mul_f64 v[41:42], v[19:20], v[17:18]
                                        ; implicit-def: $vgpr23_vgpr24
.LBB62_79:                              ;   in Loop: Header=BB62_5 Depth=1
	s_andn2_saveexec_b64 s[6:7], s[0:1]
	s_cbranch_execz .LBB62_81
; %bb.80:                               ;   in Loop: Header=BB62_5 Depth=1
	v_div_scale_f64 v[17:18], s[0:1], v[21:22], v[21:22], s[12:13]
	v_div_scale_f64 v[19:20], s[0:1], v[23:24], v[23:24], s[14:15]
	;; [unrolled: 1-line block ×3, first 2 shown]
	v_rcp_f64_e32 v[39:40], v[17:18]
	v_rcp_f64_e32 v[41:42], v[19:20]
	v_fma_f64 v[44:45], -v[17:18], v[39:40], 1.0
	v_fma_f64 v[46:47], -v[19:20], v[41:42], 1.0
	v_fma_f64 v[39:40], v[39:40], v[44:45], v[39:40]
	v_div_scale_f64 v[44:45], vcc, s[12:13], v[21:22], s[12:13]
	v_fma_f64 v[41:42], v[41:42], v[46:47], v[41:42]
	v_fma_f64 v[46:47], -v[17:18], v[39:40], 1.0
	v_fma_f64 v[50:51], -v[19:20], v[41:42], 1.0
	v_fma_f64 v[39:40], v[39:40], v[46:47], v[39:40]
	v_fma_f64 v[41:42], v[41:42], v[50:51], v[41:42]
	v_mul_f64 v[46:47], v[44:45], v[39:40]
	v_mul_f64 v[50:51], v[48:49], v[41:42]
	v_fma_f64 v[17:18], -v[17:18], v[46:47], v[44:45]
	v_fma_f64 v[19:20], -v[19:20], v[50:51], v[48:49]
	v_div_fmas_f64 v[17:18], v[17:18], v[39:40], v[46:47]
	s_mov_b64 vcc, s[0:1]
	v_div_fmas_f64 v[19:20], v[19:20], v[41:42], v[50:51]
	v_div_fixup_f64 v[39:40], v[17:18], v[21:22], s[12:13]
	v_div_fixup_f64 v[41:42], v[19:20], v[23:24], s[14:15]
.LBB62_81:                              ;   in Loop: Header=BB62_5 Depth=1
	s_or_b64 exec, exec, s[6:7]
                                        ; implicit-def: $vgpr19_vgpr20
.LBB62_82:                              ;   in Loop: Header=BB62_5 Depth=1
	s_andn2_saveexec_b64 s[0:1], s[2:3]
	s_cbranch_execz .LBB62_3
; %bb.83:                               ;   in Loop: Header=BB62_5 Depth=1
	v_div_scale_f64 v[21:22], s[2:3], v[19:20], v[19:20], v[17:18]
	v_rcp_f64_e32 v[23:24], v[21:22]
	v_fma_f64 v[39:40], -v[21:22], v[23:24], 1.0
	v_fma_f64 v[23:24], v[23:24], v[39:40], v[23:24]
	v_div_scale_f64 v[39:40], vcc, v[17:18], v[19:20], v[17:18]
	v_fma_f64 v[41:42], -v[21:22], v[23:24], 1.0
	v_fma_f64 v[23:24], v[23:24], v[41:42], v[23:24]
	v_mul_f64 v[41:42], v[39:40], v[23:24]
	v_fma_f64 v[21:22], -v[21:22], v[41:42], v[39:40]
	v_div_fmas_f64 v[21:22], v[21:22], v[23:24], v[41:42]
	v_div_fixup_f64 v[21:22], v[21:22], v[19:20], v[17:18]
	v_fma_f64 v[17:18], v[17:18], v[21:22], v[19:20]
	v_div_scale_f64 v[19:20], s[2:3], v[17:18], v[17:18], 1.0
	v_rcp_f64_e32 v[23:24], v[19:20]
	v_fma_f64 v[39:40], -v[19:20], v[23:24], 1.0
	v_fma_f64 v[23:24], v[23:24], v[39:40], v[23:24]
	v_div_scale_f64 v[39:40], vcc, 1.0, v[17:18], 1.0
	v_fma_f64 v[41:42], -v[19:20], v[23:24], 1.0
	v_fma_f64 v[23:24], v[23:24], v[41:42], v[23:24]
	v_mul_f64 v[41:42], v[39:40], v[23:24]
	v_fma_f64 v[19:20], -v[19:20], v[41:42], v[39:40]
	v_mov_b32_e32 v40, s13
	v_mov_b32_e32 v39, s12
	v_div_fmas_f64 v[19:20], v[19:20], v[23:24], v[41:42]
	v_mov_b32_e32 v24, s15
	v_mov_b32_e32 v23, s14
	v_fma_f64 v[23:24], s[12:13], v[21:22], v[23:24]
	v_div_fixup_f64 v[17:18], v[19:20], v[17:18], 1.0
	v_fma_f64 v[19:20], s[14:15], v[21:22], -v[39:40]
	v_mul_f64 v[39:40], v[23:24], v[17:18]
	v_mul_f64 v[41:42], v[19:20], v[17:18]
	s_branch .LBB62_3
.LBB62_84:
	s_or_b64 exec, exec, s[24:25]
	s_mov_b64 s[0:1], 0
.LBB62_85:
	s_andn2_b64 vcc, exec, s[0:1]
	s_cbranch_vccnz .LBB62_185
; %bb.86:
	v_cmp_lt_i64_e64 s[0:1], s[26:27], 1
	s_and_b64 vcc, exec, s[0:1]
	s_cbranch_vccnz .LBB62_185
; %bb.87:
	v_cmp_neq_f64_e64 s[0:1], s[8:9], 1.0
	v_cmp_neq_f64_e64 s[2:3], s[10:11], 0
	v_mov_b32_e32 v1, 0x10000
	s_load_dword s22, s[4:5], 0xc0c
	v_mov_b32_e32 v2, 0
	v_cmp_lt_i64_e32 vcc, s[26:27], v[1:2]
	s_and_b64 s[4:5], vcc, exec
	v_cmp_lt_u64_e32 vcc, s[26:27], v[1:2]
	s_cselect_b32 s7, s27, 0
	s_cselect_b32 s6, s26, 0x10000
	s_waitcnt lgkmcnt(0)
	s_and_b32 s33, s22, 0xffff
	s_or_b64 s[24:25], s[0:1], s[2:3]
	s_and_b64 s[0:1], vcc, exec
	s_mov_b64 s[22:23], 0
	s_cselect_b32 s27, s27, 0
	s_cselect_b32 s26, s26, 0x10000
	s_lshl_b32 s34, s33, 1
	s_mul_i32 s35, s33, 3
	s_lshl_b32 s36, s33, 2
	s_branch .LBB62_89
.LBB62_88:                              ;   in Loop: Header=BB62_89 Depth=1
	s_or_b64 exec, exec, s[0:1]
	s_add_u32 s22, s22, s36
	v_mov_b32_e32 v1, s6
	s_addc_u32 s23, s23, 0
	v_mov_b32_e32 v2, s7
	v_cmp_ge_i64_e32 vcc, s[22:23], v[1:2]
	s_cbranch_vccnz .LBB62_185
.LBB62_89:                              ; =>This Inner Loop Header: Depth=1
	v_mov_b32_e32 v1, s23
	v_add_co_u32_e32 v33, vcc, s22, v0
	v_addc_co_u32_e32 v34, vcc, 0, v1, vcc
	v_cmp_gt_i64_e32 vcc, s[6:7], v[33:34]
	v_mov_b32_e32 v27, 0
	v_mov_b32_e32 v31, 0
	;; [unrolled: 1-line block ×10, first 2 shown]
	s_and_saveexec_b64 s[0:1], vcc
	s_cbranch_execz .LBB62_91
; %bb.90:                               ;   in Loop: Header=BB62_89 Depth=1
	v_lshlrev_b64 v[1:2], 4, v[33:34]
	v_mov_b32_e32 v3, s19
	v_add_co_u32_e32 v5, vcc, s18, v1
	v_addc_co_u32_e32 v6, vcc, v3, v2, vcc
	v_mov_b32_e32 v3, s17
	v_add_co_u32_e32 v7, vcc, s16, v1
	v_addc_co_u32_e32 v8, vcc, v3, v2, vcc
	global_load_dwordx4 v[1:4], v[7:8], off
	global_load_dwordx4 v[29:32], v[5:6], off
.LBB62_91:                              ;   in Loop: Header=BB62_89 Depth=1
	s_or_b64 exec, exec, s[0:1]
	v_add_co_u32_e32 v35, vcc, s33, v33
	v_addc_co_u32_e32 v36, vcc, 0, v34, vcc
	v_cmp_gt_i64_e32 vcc, s[6:7], v[35:36]
	v_mov_b32_e32 v25, 0
	v_mov_b32_e32 v7, 0
	v_mov_b32_e32 v5, 0
	v_mov_b32_e32 v26, 0
	v_mov_b32_e32 v8, 0
	v_mov_b32_e32 v6, 0
	s_and_saveexec_b64 s[0:1], vcc
	s_cbranch_execz .LBB62_93
; %bb.92:                               ;   in Loop: Header=BB62_89 Depth=1
	v_lshlrev_b64 v[5:6], 4, v[35:36]
	v_mov_b32_e32 v7, s19
	v_add_co_u32_e32 v9, vcc, s18, v5
	v_addc_co_u32_e32 v10, vcc, v7, v6, vcc
	v_mov_b32_e32 v7, s17
	v_add_co_u32_e32 v11, vcc, s16, v5
	v_addc_co_u32_e32 v12, vcc, v7, v6, vcc
	global_load_dwordx4 v[5:8], v[11:12], off
	global_load_dwordx4 v[25:28], v[9:10], off
.LBB62_93:                              ;   in Loop: Header=BB62_89 Depth=1
	s_or_b64 exec, exec, s[0:1]
	v_add_co_u32_e32 v37, vcc, s34, v33
	v_addc_co_u32_e32 v38, vcc, 0, v34, vcc
	v_cmp_gt_i64_e32 vcc, s[6:7], v[37:38]
	v_mov_b32_e32 v19, 0
	v_mov_b32_e32 v23, 0
	v_mov_b32_e32 v21, 0
	v_mov_b32_e32 v11, 0
	v_mov_b32_e32 v9, 0
	v_mov_b32_e32 v20, 0
	v_mov_b32_e32 v24, 0
	v_mov_b32_e32 v22, 0
	v_mov_b32_e32 v12, 0
	v_mov_b32_e32 v10, 0
	s_and_saveexec_b64 s[0:1], vcc
	s_cbranch_execz .LBB62_95
; %bb.94:                               ;   in Loop: Header=BB62_89 Depth=1
	v_lshlrev_b64 v[9:10], 4, v[37:38]
	v_mov_b32_e32 v11, s19
	v_add_co_u32_e32 v13, vcc, s18, v9
	v_addc_co_u32_e32 v14, vcc, v11, v10, vcc
	v_mov_b32_e32 v11, s17
	v_add_co_u32_e32 v15, vcc, s16, v9
	v_addc_co_u32_e32 v16, vcc, v11, v10, vcc
	global_load_dwordx4 v[9:12], v[15:16], off
	global_load_dwordx4 v[21:24], v[13:14], off
.LBB62_95:                              ;   in Loop: Header=BB62_89 Depth=1
	s_or_b64 exec, exec, s[0:1]
	v_add_co_u32_e32 v39, vcc, s35, v33
	v_addc_co_u32_e32 v40, vcc, 0, v34, vcc
	v_cmp_gt_i64_e32 vcc, s[6:7], v[39:40]
	v_mov_b32_e32 v17, 0
	v_mov_b32_e32 v15, 0
	;; [unrolled: 1-line block ×6, first 2 shown]
	s_and_saveexec_b64 s[0:1], vcc
	s_cbranch_execz .LBB62_97
; %bb.96:                               ;   in Loop: Header=BB62_89 Depth=1
	v_lshlrev_b64 v[13:14], 4, v[39:40]
	v_mov_b32_e32 v15, s19
	v_add_co_u32_e32 v41, vcc, s18, v13
	v_addc_co_u32_e32 v42, vcc, v15, v14, vcc
	v_mov_b32_e32 v15, s17
	v_add_co_u32_e32 v43, vcc, s16, v13
	v_addc_co_u32_e32 v44, vcc, v15, v14, vcc
	global_load_dwordx4 v[13:16], v[43:44], off
	global_load_dwordx4 v[17:20], v[41:42], off
.LBB62_97:                              ;   in Loop: Header=BB62_89 Depth=1
	s_or_b64 exec, exec, s[0:1]
	s_waitcnt vmcnt(0)
	v_cmp_gt_f64_e32 vcc, 0, v[29:30]
	v_xor_b32_e32 v41, 0x80000000, v30
	v_mov_b32_e32 v45, v29
	v_mov_b32_e32 v47, v31
	s_mov_b64 s[2:3], -1
                                        ; implicit-def: $vgpr43_vgpr44
	v_cndmask_b32_e32 v46, v30, v41, vcc
	v_cmp_gt_f64_e32 vcc, 0, v[31:32]
	v_xor_b32_e32 v41, 0x80000000, v32
	v_cndmask_b32_e32 v48, v32, v41, vcc
	v_cmp_ge_f64_e64 s[0:1], v[45:46], v[47:48]
	s_and_b64 vcc, exec, s[24:25]
                                        ; implicit-def: $vgpr41_vgpr42
	s_cbranch_vccz .LBB62_107
; %bb.98:                               ;   in Loop: Header=BB62_89 Depth=1
                                        ; implicit-def: $vgpr41_vgpr42
                                        ; implicit-def: $vgpr43_vgpr44
	s_and_saveexec_b64 s[2:3], s[0:1]
	s_xor_b64 s[4:5], exec, s[2:3]
	s_cbranch_execz .LBB62_104
; %bb.99:                               ;   in Loop: Header=BB62_89 Depth=1
	v_cmp_neq_f64_e32 vcc, 0, v[29:30]
	v_cmp_neq_f64_e64 s[2:3], 0, v[31:32]
                                        ; implicit-def: $vgpr41_vgpr42
                                        ; implicit-def: $vgpr43_vgpr44
	s_or_b64 s[2:3], s[2:3], vcc
	s_and_saveexec_b64 s[28:29], s[2:3]
	s_xor_b64 s[2:3], exec, s[28:29]
	s_cbranch_execz .LBB62_101
; %bb.100:                              ;   in Loop: Header=BB62_89 Depth=1
	v_div_scale_f64 v[41:42], s[28:29], v[29:30], v[29:30], v[31:32]
	v_rcp_f64_e32 v[43:44], v[41:42]
	v_fma_f64 v[49:50], -v[41:42], v[43:44], 1.0
	v_fma_f64 v[43:44], v[43:44], v[49:50], v[43:44]
	v_div_scale_f64 v[49:50], vcc, v[31:32], v[29:30], v[31:32]
	v_fma_f64 v[51:52], -v[41:42], v[43:44], 1.0
	v_fma_f64 v[43:44], v[43:44], v[51:52], v[43:44]
	v_mul_f64 v[51:52], v[49:50], v[43:44]
	v_fma_f64 v[41:42], -v[41:42], v[51:52], v[49:50]
	v_div_fmas_f64 v[41:42], v[41:42], v[43:44], v[51:52]
	v_div_fixup_f64 v[41:42], v[41:42], v[29:30], v[31:32]
	v_fma_f64 v[43:44], v[31:32], v[41:42], v[29:30]
	v_div_scale_f64 v[49:50], s[28:29], v[43:44], v[43:44], 1.0
	v_rcp_f64_e32 v[51:52], v[49:50]
	v_fma_f64 v[53:54], -v[49:50], v[51:52], 1.0
	v_fma_f64 v[51:52], v[51:52], v[53:54], v[51:52]
	v_div_scale_f64 v[53:54], vcc, 1.0, v[43:44], 1.0
	v_fma_f64 v[55:56], -v[49:50], v[51:52], 1.0
	v_fma_f64 v[51:52], v[51:52], v[55:56], v[51:52]
	v_mul_f64 v[55:56], v[53:54], v[51:52]
	v_fma_f64 v[49:50], -v[49:50], v[55:56], v[53:54]
	v_mov_b32_e32 v54, s15
	v_mov_b32_e32 v53, s14
	v_div_fmas_f64 v[49:50], v[49:50], v[51:52], v[55:56]
	v_mov_b32_e32 v52, s13
	v_mov_b32_e32 v51, s12
	v_fma_f64 v[51:52], s[14:15], v[41:42], v[51:52]
	v_fma_f64 v[41:42], -s[12:13], v[41:42], v[53:54]
	v_div_fixup_f64 v[49:50], v[49:50], v[43:44], 1.0
	v_mul_f64 v[43:44], v[51:52], v[49:50]
	v_mul_f64 v[41:42], v[41:42], v[49:50]
.LBB62_101:                             ;   in Loop: Header=BB62_89 Depth=1
	s_andn2_saveexec_b64 s[28:29], s[2:3]
	s_cbranch_execz .LBB62_103
; %bb.102:                              ;   in Loop: Header=BB62_89 Depth=1
	v_div_scale_f64 v[41:42], s[2:3], v[45:46], v[45:46], s[12:13]
	v_div_scale_f64 v[43:44], s[2:3], v[47:48], v[47:48], s[14:15]
	;; [unrolled: 1-line block ×3, first 2 shown]
	v_rcp_f64_e32 v[49:50], v[41:42]
	v_rcp_f64_e32 v[51:52], v[43:44]
	v_fma_f64 v[53:54], -v[41:42], v[49:50], 1.0
	v_fma_f64 v[55:56], -v[43:44], v[51:52], 1.0
	v_fma_f64 v[49:50], v[49:50], v[53:54], v[49:50]
	v_div_scale_f64 v[53:54], vcc, s[12:13], v[45:46], s[12:13]
	v_fma_f64 v[51:52], v[51:52], v[55:56], v[51:52]
	v_fma_f64 v[55:56], -v[41:42], v[49:50], 1.0
	v_fma_f64 v[59:60], -v[43:44], v[51:52], 1.0
	v_fma_f64 v[49:50], v[49:50], v[55:56], v[49:50]
	v_fma_f64 v[51:52], v[51:52], v[59:60], v[51:52]
	v_mul_f64 v[55:56], v[53:54], v[49:50]
	v_mul_f64 v[59:60], v[57:58], v[51:52]
	v_fma_f64 v[41:42], -v[41:42], v[55:56], v[53:54]
	v_fma_f64 v[43:44], -v[43:44], v[59:60], v[57:58]
	v_div_fmas_f64 v[41:42], v[41:42], v[49:50], v[55:56]
	s_mov_b64 vcc, s[2:3]
	v_div_fmas_f64 v[49:50], v[43:44], v[51:52], v[59:60]
	v_div_fixup_f64 v[43:44], v[41:42], v[45:46], s[12:13]
	v_div_fixup_f64 v[41:42], v[49:50], v[47:48], s[14:15]
.LBB62_103:                             ;   in Loop: Header=BB62_89 Depth=1
	s_or_b64 exec, exec, s[28:29]
.LBB62_104:                             ;   in Loop: Header=BB62_89 Depth=1
	s_andn2_saveexec_b64 s[2:3], s[4:5]
	s_cbranch_execz .LBB62_106
; %bb.105:                              ;   in Loop: Header=BB62_89 Depth=1
	v_div_scale_f64 v[41:42], s[4:5], v[31:32], v[31:32], v[29:30]
	v_rcp_f64_e32 v[43:44], v[41:42]
	v_fma_f64 v[49:50], -v[41:42], v[43:44], 1.0
	v_fma_f64 v[43:44], v[43:44], v[49:50], v[43:44]
	v_div_scale_f64 v[49:50], vcc, v[29:30], v[31:32], v[29:30]
	v_fma_f64 v[51:52], -v[41:42], v[43:44], 1.0
	v_fma_f64 v[43:44], v[43:44], v[51:52], v[43:44]
	v_mul_f64 v[51:52], v[49:50], v[43:44]
	v_fma_f64 v[41:42], -v[41:42], v[51:52], v[49:50]
	v_div_fmas_f64 v[41:42], v[41:42], v[43:44], v[51:52]
	v_div_fixup_f64 v[41:42], v[41:42], v[31:32], v[29:30]
	v_fma_f64 v[43:44], v[29:30], v[41:42], v[31:32]
	v_div_scale_f64 v[49:50], s[4:5], v[43:44], v[43:44], 1.0
	v_rcp_f64_e32 v[51:52], v[49:50]
	v_fma_f64 v[53:54], -v[49:50], v[51:52], 1.0
	v_fma_f64 v[51:52], v[51:52], v[53:54], v[51:52]
	v_div_scale_f64 v[53:54], vcc, 1.0, v[43:44], 1.0
	v_fma_f64 v[55:56], -v[49:50], v[51:52], 1.0
	v_fma_f64 v[51:52], v[51:52], v[55:56], v[51:52]
	v_mul_f64 v[55:56], v[53:54], v[51:52]
	v_fma_f64 v[49:50], -v[49:50], v[55:56], v[53:54]
	v_mov_b32_e32 v54, s13
	v_mov_b32_e32 v53, s12
	v_div_fmas_f64 v[49:50], v[49:50], v[51:52], v[55:56]
	v_mov_b32_e32 v52, s15
	v_mov_b32_e32 v51, s14
	v_fma_f64 v[51:52], s[12:13], v[41:42], v[51:52]
	v_fma_f64 v[41:42], s[14:15], v[41:42], -v[53:54]
	v_div_fixup_f64 v[49:50], v[49:50], v[43:44], 1.0
	v_mul_f64 v[43:44], v[51:52], v[49:50]
	v_mul_f64 v[41:42], v[41:42], v[49:50]
.LBB62_106:                             ;   in Loop: Header=BB62_89 Depth=1
	s_or_b64 exec, exec, s[2:3]
	v_mul_f64 v[49:50], s[10:11], v[41:42]
	v_mul_f64 v[51:52], s[8:9], v[41:42]
	s_mov_b64 s[2:3], 0
	v_fma_f64 v[41:42], s[8:9], v[43:44], -v[49:50]
	v_fma_f64 v[43:44], s[10:11], v[43:44], v[51:52]
.LBB62_107:                             ;   in Loop: Header=BB62_89 Depth=1
	s_and_b64 vcc, exec, s[2:3]
	s_cbranch_vccz .LBB62_117
; %bb.108:                              ;   in Loop: Header=BB62_89 Depth=1
                                        ; implicit-def: $vgpr43_vgpr44
                                        ; implicit-def: $vgpr41_vgpr42
	s_and_saveexec_b64 s[2:3], s[0:1]
	s_xor_b64 s[2:3], exec, s[2:3]
	s_cbranch_execz .LBB62_114
; %bb.109:                              ;   in Loop: Header=BB62_89 Depth=1
	v_cmp_neq_f64_e32 vcc, 0, v[29:30]
	v_cmp_neq_f64_e64 s[0:1], 0, v[31:32]
                                        ; implicit-def: $vgpr43_vgpr44
                                        ; implicit-def: $vgpr41_vgpr42
	s_or_b64 s[0:1], s[0:1], vcc
	s_and_saveexec_b64 s[4:5], s[0:1]
	s_xor_b64 s[0:1], exec, s[4:5]
	s_cbranch_execz .LBB62_111
; %bb.110:                              ;   in Loop: Header=BB62_89 Depth=1
	v_div_scale_f64 v[41:42], s[4:5], v[29:30], v[29:30], v[31:32]
	v_rcp_f64_e32 v[43:44], v[41:42]
	v_fma_f64 v[45:46], -v[41:42], v[43:44], 1.0
	v_fma_f64 v[43:44], v[43:44], v[45:46], v[43:44]
	v_div_scale_f64 v[45:46], vcc, v[31:32], v[29:30], v[31:32]
	v_fma_f64 v[47:48], -v[41:42], v[43:44], 1.0
	v_fma_f64 v[43:44], v[43:44], v[47:48], v[43:44]
	v_mul_f64 v[47:48], v[45:46], v[43:44]
	v_fma_f64 v[41:42], -v[41:42], v[47:48], v[45:46]
	v_div_fmas_f64 v[41:42], v[41:42], v[43:44], v[47:48]
	v_div_fixup_f64 v[41:42], v[41:42], v[29:30], v[31:32]
	v_fma_f64 v[29:30], v[31:32], v[41:42], v[29:30]
	v_div_scale_f64 v[31:32], s[4:5], v[29:30], v[29:30], 1.0
	v_rcp_f64_e32 v[43:44], v[31:32]
	v_fma_f64 v[45:46], -v[31:32], v[43:44], 1.0
	v_fma_f64 v[43:44], v[43:44], v[45:46], v[43:44]
	v_div_scale_f64 v[45:46], vcc, 1.0, v[29:30], 1.0
	v_fma_f64 v[47:48], -v[31:32], v[43:44], 1.0
	v_fma_f64 v[43:44], v[43:44], v[47:48], v[43:44]
	v_mul_f64 v[47:48], v[45:46], v[43:44]
	v_fma_f64 v[31:32], -v[31:32], v[47:48], v[45:46]
	v_mov_b32_e32 v46, s15
	v_mov_b32_e32 v45, s14
	v_div_fmas_f64 v[31:32], v[31:32], v[43:44], v[47:48]
	v_mov_b32_e32 v44, s13
	v_mov_b32_e32 v43, s12
	v_fma_f64 v[43:44], s[14:15], v[41:42], v[43:44]
                                        ; implicit-def: $vgpr47_vgpr48
	v_div_fixup_f64 v[29:30], v[31:32], v[29:30], 1.0
	v_fma_f64 v[31:32], -s[12:13], v[41:42], v[45:46]
                                        ; implicit-def: $vgpr45_vgpr46
	v_mul_f64 v[41:42], v[43:44], v[29:30]
	v_mul_f64 v[43:44], v[31:32], v[29:30]
.LBB62_111:                             ;   in Loop: Header=BB62_89 Depth=1
	s_andn2_saveexec_b64 s[4:5], s[0:1]
	s_cbranch_execz .LBB62_113
; %bb.112:                              ;   in Loop: Header=BB62_89 Depth=1
	v_div_scale_f64 v[29:30], s[0:1], v[45:46], v[45:46], s[12:13]
	v_div_scale_f64 v[31:32], s[0:1], v[47:48], v[47:48], s[14:15]
	;; [unrolled: 1-line block ×3, first 2 shown]
	v_rcp_f64_e32 v[41:42], v[29:30]
	v_rcp_f64_e32 v[43:44], v[31:32]
	v_fma_f64 v[49:50], -v[29:30], v[41:42], 1.0
	v_fma_f64 v[51:52], -v[31:32], v[43:44], 1.0
	v_fma_f64 v[41:42], v[41:42], v[49:50], v[41:42]
	v_div_scale_f64 v[49:50], vcc, s[12:13], v[45:46], s[12:13]
	v_fma_f64 v[43:44], v[43:44], v[51:52], v[43:44]
	v_fma_f64 v[51:52], -v[29:30], v[41:42], 1.0
	v_fma_f64 v[55:56], -v[31:32], v[43:44], 1.0
	v_fma_f64 v[41:42], v[41:42], v[51:52], v[41:42]
	v_fma_f64 v[43:44], v[43:44], v[55:56], v[43:44]
	v_mul_f64 v[51:52], v[49:50], v[41:42]
	v_mul_f64 v[55:56], v[53:54], v[43:44]
	v_fma_f64 v[29:30], -v[29:30], v[51:52], v[49:50]
	v_fma_f64 v[31:32], -v[31:32], v[55:56], v[53:54]
	v_div_fmas_f64 v[29:30], v[29:30], v[41:42], v[51:52]
	s_mov_b64 vcc, s[0:1]
	v_div_fmas_f64 v[31:32], v[31:32], v[43:44], v[55:56]
	v_div_fixup_f64 v[41:42], v[29:30], v[45:46], s[12:13]
	v_div_fixup_f64 v[43:44], v[31:32], v[47:48], s[14:15]
.LBB62_113:                             ;   in Loop: Header=BB62_89 Depth=1
	s_or_b64 exec, exec, s[4:5]
                                        ; implicit-def: $vgpr31_vgpr32
.LBB62_114:                             ;   in Loop: Header=BB62_89 Depth=1
	s_andn2_saveexec_b64 s[0:1], s[2:3]
	s_cbranch_execz .LBB62_116
; %bb.115:                              ;   in Loop: Header=BB62_89 Depth=1
	v_div_scale_f64 v[41:42], s[2:3], v[31:32], v[31:32], v[29:30]
	v_rcp_f64_e32 v[43:44], v[41:42]
	v_fma_f64 v[45:46], -v[41:42], v[43:44], 1.0
	v_fma_f64 v[43:44], v[43:44], v[45:46], v[43:44]
	v_div_scale_f64 v[45:46], vcc, v[29:30], v[31:32], v[29:30]
	v_fma_f64 v[47:48], -v[41:42], v[43:44], 1.0
	v_fma_f64 v[43:44], v[43:44], v[47:48], v[43:44]
	v_mul_f64 v[47:48], v[45:46], v[43:44]
	v_fma_f64 v[41:42], -v[41:42], v[47:48], v[45:46]
	v_div_fmas_f64 v[41:42], v[41:42], v[43:44], v[47:48]
	v_div_fixup_f64 v[41:42], v[41:42], v[31:32], v[29:30]
	v_fma_f64 v[29:30], v[29:30], v[41:42], v[31:32]
	v_div_scale_f64 v[31:32], s[2:3], v[29:30], v[29:30], 1.0
	v_rcp_f64_e32 v[43:44], v[31:32]
	v_fma_f64 v[45:46], -v[31:32], v[43:44], 1.0
	v_fma_f64 v[43:44], v[43:44], v[45:46], v[43:44]
	v_div_scale_f64 v[45:46], vcc, 1.0, v[29:30], 1.0
	v_fma_f64 v[47:48], -v[31:32], v[43:44], 1.0
	v_fma_f64 v[43:44], v[43:44], v[47:48], v[43:44]
	v_mul_f64 v[47:48], v[45:46], v[43:44]
	v_fma_f64 v[31:32], -v[31:32], v[47:48], v[45:46]
	v_mov_b32_e32 v46, s13
	v_mov_b32_e32 v45, s12
	v_div_fmas_f64 v[31:32], v[31:32], v[43:44], v[47:48]
	v_mov_b32_e32 v44, s15
	v_mov_b32_e32 v43, s14
	v_fma_f64 v[43:44], s[12:13], v[41:42], v[43:44]
	v_div_fixup_f64 v[29:30], v[31:32], v[29:30], 1.0
	v_fma_f64 v[31:32], s[14:15], v[41:42], -v[45:46]
	v_mul_f64 v[41:42], v[43:44], v[29:30]
	v_mul_f64 v[43:44], v[31:32], v[29:30]
.LBB62_116:                             ;   in Loop: Header=BB62_89 Depth=1
	s_or_b64 exec, exec, s[0:1]
.LBB62_117:                             ;   in Loop: Header=BB62_89 Depth=1
	v_cmp_gt_f64_e32 vcc, 0, v[25:26]
	v_xor_b32_e32 v29, 0x80000000, v26
	v_mov_b32_e32 v45, v25
	v_mov_b32_e32 v47, v27
	s_mov_b64 s[4:5], -1
                                        ; implicit-def: $vgpr31_vgpr32
	v_cndmask_b32_e32 v46, v26, v29, vcc
	v_cmp_gt_f64_e32 vcc, 0, v[27:28]
	v_xor_b32_e32 v29, 0x80000000, v28
	v_cndmask_b32_e32 v48, v28, v29, vcc
	v_cmp_ge_f64_e64 s[2:3], v[45:46], v[47:48]
	v_cndmask_b32_e64 v29, 0, 1, s[24:25]
	v_cmp_ne_u32_e64 s[0:1], 1, v29
	s_andn2_b64 vcc, exec, s[24:25]
                                        ; implicit-def: $vgpr29_vgpr30
	s_cbranch_vccnz .LBB62_127
; %bb.118:                              ;   in Loop: Header=BB62_89 Depth=1
                                        ; implicit-def: $vgpr29_vgpr30
                                        ; implicit-def: $vgpr31_vgpr32
	s_and_saveexec_b64 s[4:5], s[2:3]
	s_xor_b64 s[28:29], exec, s[4:5]
	s_cbranch_execz .LBB62_124
; %bb.119:                              ;   in Loop: Header=BB62_89 Depth=1
	v_cmp_neq_f64_e32 vcc, 0, v[25:26]
	v_cmp_neq_f64_e64 s[4:5], 0, v[27:28]
                                        ; implicit-def: $vgpr29_vgpr30
                                        ; implicit-def: $vgpr31_vgpr32
	s_or_b64 s[4:5], s[4:5], vcc
	s_and_saveexec_b64 s[30:31], s[4:5]
	s_xor_b64 s[4:5], exec, s[30:31]
	s_cbranch_execz .LBB62_121
; %bb.120:                              ;   in Loop: Header=BB62_89 Depth=1
	v_div_scale_f64 v[29:30], s[30:31], v[25:26], v[25:26], v[27:28]
	v_rcp_f64_e32 v[31:32], v[29:30]
	v_fma_f64 v[49:50], -v[29:30], v[31:32], 1.0
	v_fma_f64 v[31:32], v[31:32], v[49:50], v[31:32]
	v_div_scale_f64 v[49:50], vcc, v[27:28], v[25:26], v[27:28]
	v_fma_f64 v[51:52], -v[29:30], v[31:32], 1.0
	v_fma_f64 v[31:32], v[31:32], v[51:52], v[31:32]
	v_mul_f64 v[51:52], v[49:50], v[31:32]
	v_fma_f64 v[29:30], -v[29:30], v[51:52], v[49:50]
	v_div_fmas_f64 v[29:30], v[29:30], v[31:32], v[51:52]
	v_div_fixup_f64 v[29:30], v[29:30], v[25:26], v[27:28]
	v_fma_f64 v[31:32], v[27:28], v[29:30], v[25:26]
	v_div_scale_f64 v[49:50], s[30:31], v[31:32], v[31:32], 1.0
	v_rcp_f64_e32 v[51:52], v[49:50]
	v_fma_f64 v[53:54], -v[49:50], v[51:52], 1.0
	v_fma_f64 v[51:52], v[51:52], v[53:54], v[51:52]
	v_div_scale_f64 v[53:54], vcc, 1.0, v[31:32], 1.0
	v_fma_f64 v[55:56], -v[49:50], v[51:52], 1.0
	v_fma_f64 v[51:52], v[51:52], v[55:56], v[51:52]
	v_mul_f64 v[55:56], v[53:54], v[51:52]
	v_fma_f64 v[49:50], -v[49:50], v[55:56], v[53:54]
	v_mov_b32_e32 v54, s15
	v_mov_b32_e32 v53, s14
	v_div_fmas_f64 v[49:50], v[49:50], v[51:52], v[55:56]
	v_mov_b32_e32 v52, s13
	v_mov_b32_e32 v51, s12
	v_fma_f64 v[51:52], s[14:15], v[29:30], v[51:52]
	v_fma_f64 v[29:30], -s[12:13], v[29:30], v[53:54]
	v_div_fixup_f64 v[49:50], v[49:50], v[31:32], 1.0
	v_mul_f64 v[31:32], v[51:52], v[49:50]
	v_mul_f64 v[29:30], v[29:30], v[49:50]
.LBB62_121:                             ;   in Loop: Header=BB62_89 Depth=1
	s_andn2_saveexec_b64 s[30:31], s[4:5]
	s_cbranch_execz .LBB62_123
; %bb.122:                              ;   in Loop: Header=BB62_89 Depth=1
	v_div_scale_f64 v[29:30], s[4:5], v[45:46], v[45:46], s[12:13]
	v_div_scale_f64 v[31:32], s[4:5], v[47:48], v[47:48], s[14:15]
	;; [unrolled: 1-line block ×3, first 2 shown]
	v_rcp_f64_e32 v[49:50], v[29:30]
	v_rcp_f64_e32 v[51:52], v[31:32]
	v_fma_f64 v[53:54], -v[29:30], v[49:50], 1.0
	v_fma_f64 v[55:56], -v[31:32], v[51:52], 1.0
	v_fma_f64 v[49:50], v[49:50], v[53:54], v[49:50]
	v_div_scale_f64 v[53:54], vcc, s[12:13], v[45:46], s[12:13]
	v_fma_f64 v[51:52], v[51:52], v[55:56], v[51:52]
	v_fma_f64 v[55:56], -v[29:30], v[49:50], 1.0
	v_fma_f64 v[59:60], -v[31:32], v[51:52], 1.0
	v_fma_f64 v[49:50], v[49:50], v[55:56], v[49:50]
	v_fma_f64 v[51:52], v[51:52], v[59:60], v[51:52]
	v_mul_f64 v[55:56], v[53:54], v[49:50]
	v_mul_f64 v[59:60], v[57:58], v[51:52]
	v_fma_f64 v[29:30], -v[29:30], v[55:56], v[53:54]
	v_fma_f64 v[31:32], -v[31:32], v[59:60], v[57:58]
	v_div_fmas_f64 v[29:30], v[29:30], v[49:50], v[55:56]
	s_mov_b64 vcc, s[4:5]
	v_div_fmas_f64 v[49:50], v[31:32], v[51:52], v[59:60]
	v_div_fixup_f64 v[31:32], v[29:30], v[45:46], s[12:13]
	v_div_fixup_f64 v[29:30], v[49:50], v[47:48], s[14:15]
.LBB62_123:                             ;   in Loop: Header=BB62_89 Depth=1
	s_or_b64 exec, exec, s[30:31]
.LBB62_124:                             ;   in Loop: Header=BB62_89 Depth=1
	s_andn2_saveexec_b64 s[4:5], s[28:29]
	s_cbranch_execz .LBB62_126
; %bb.125:                              ;   in Loop: Header=BB62_89 Depth=1
	v_div_scale_f64 v[29:30], s[28:29], v[27:28], v[27:28], v[25:26]
	v_rcp_f64_e32 v[31:32], v[29:30]
	v_fma_f64 v[49:50], -v[29:30], v[31:32], 1.0
	v_fma_f64 v[31:32], v[31:32], v[49:50], v[31:32]
	v_div_scale_f64 v[49:50], vcc, v[25:26], v[27:28], v[25:26]
	v_fma_f64 v[51:52], -v[29:30], v[31:32], 1.0
	v_fma_f64 v[31:32], v[31:32], v[51:52], v[31:32]
	v_mul_f64 v[51:52], v[49:50], v[31:32]
	v_fma_f64 v[29:30], -v[29:30], v[51:52], v[49:50]
	v_div_fmas_f64 v[29:30], v[29:30], v[31:32], v[51:52]
	v_div_fixup_f64 v[29:30], v[29:30], v[27:28], v[25:26]
	v_fma_f64 v[31:32], v[25:26], v[29:30], v[27:28]
	v_div_scale_f64 v[49:50], s[28:29], v[31:32], v[31:32], 1.0
	v_rcp_f64_e32 v[51:52], v[49:50]
	v_fma_f64 v[53:54], -v[49:50], v[51:52], 1.0
	v_fma_f64 v[51:52], v[51:52], v[53:54], v[51:52]
	v_div_scale_f64 v[53:54], vcc, 1.0, v[31:32], 1.0
	v_fma_f64 v[55:56], -v[49:50], v[51:52], 1.0
	v_fma_f64 v[51:52], v[51:52], v[55:56], v[51:52]
	v_mul_f64 v[55:56], v[53:54], v[51:52]
	v_fma_f64 v[49:50], -v[49:50], v[55:56], v[53:54]
	v_mov_b32_e32 v54, s13
	v_mov_b32_e32 v53, s12
	v_div_fmas_f64 v[49:50], v[49:50], v[51:52], v[55:56]
	v_mov_b32_e32 v52, s15
	v_mov_b32_e32 v51, s14
	v_fma_f64 v[51:52], s[12:13], v[29:30], v[51:52]
	v_fma_f64 v[29:30], s[14:15], v[29:30], -v[53:54]
	v_div_fixup_f64 v[49:50], v[49:50], v[31:32], 1.0
	v_mul_f64 v[31:32], v[51:52], v[49:50]
	v_mul_f64 v[29:30], v[29:30], v[49:50]
.LBB62_126:                             ;   in Loop: Header=BB62_89 Depth=1
	s_or_b64 exec, exec, s[4:5]
	v_mul_f64 v[49:50], s[10:11], v[29:30]
	v_mul_f64 v[51:52], s[8:9], v[29:30]
	s_mov_b64 s[4:5], 0
	v_fma_f64 v[29:30], s[8:9], v[31:32], -v[49:50]
	v_fma_f64 v[31:32], s[10:11], v[31:32], v[51:52]
.LBB62_127:                             ;   in Loop: Header=BB62_89 Depth=1
	s_and_b64 vcc, exec, s[4:5]
	s_cbranch_vccz .LBB62_137
; %bb.128:                              ;   in Loop: Header=BB62_89 Depth=1
                                        ; implicit-def: $vgpr31_vgpr32
                                        ; implicit-def: $vgpr29_vgpr30
	s_and_saveexec_b64 s[4:5], s[2:3]
	s_xor_b64 s[4:5], exec, s[4:5]
	s_cbranch_execz .LBB62_134
; %bb.129:                              ;   in Loop: Header=BB62_89 Depth=1
	v_cmp_neq_f64_e32 vcc, 0, v[25:26]
	v_cmp_neq_f64_e64 s[2:3], 0, v[27:28]
                                        ; implicit-def: $vgpr31_vgpr32
                                        ; implicit-def: $vgpr29_vgpr30
	s_or_b64 s[2:3], s[2:3], vcc
	s_and_saveexec_b64 s[28:29], s[2:3]
	s_xor_b64 s[2:3], exec, s[28:29]
	s_cbranch_execz .LBB62_131
; %bb.130:                              ;   in Loop: Header=BB62_89 Depth=1
	v_div_scale_f64 v[29:30], s[28:29], v[25:26], v[25:26], v[27:28]
	v_rcp_f64_e32 v[31:32], v[29:30]
	v_fma_f64 v[45:46], -v[29:30], v[31:32], 1.0
	v_fma_f64 v[31:32], v[31:32], v[45:46], v[31:32]
	v_div_scale_f64 v[45:46], vcc, v[27:28], v[25:26], v[27:28]
	v_fma_f64 v[47:48], -v[29:30], v[31:32], 1.0
	v_fma_f64 v[31:32], v[31:32], v[47:48], v[31:32]
	v_mul_f64 v[47:48], v[45:46], v[31:32]
	v_fma_f64 v[29:30], -v[29:30], v[47:48], v[45:46]
	v_div_fmas_f64 v[29:30], v[29:30], v[31:32], v[47:48]
	v_div_fixup_f64 v[29:30], v[29:30], v[25:26], v[27:28]
	v_fma_f64 v[25:26], v[27:28], v[29:30], v[25:26]
	v_div_scale_f64 v[27:28], s[28:29], v[25:26], v[25:26], 1.0
	v_rcp_f64_e32 v[31:32], v[27:28]
	v_fma_f64 v[45:46], -v[27:28], v[31:32], 1.0
	v_fma_f64 v[31:32], v[31:32], v[45:46], v[31:32]
	v_div_scale_f64 v[45:46], vcc, 1.0, v[25:26], 1.0
	v_fma_f64 v[47:48], -v[27:28], v[31:32], 1.0
	v_fma_f64 v[31:32], v[31:32], v[47:48], v[31:32]
	v_mul_f64 v[47:48], v[45:46], v[31:32]
	v_fma_f64 v[27:28], -v[27:28], v[47:48], v[45:46]
	v_mov_b32_e32 v46, s15
	v_mov_b32_e32 v45, s14
	v_div_fmas_f64 v[27:28], v[27:28], v[31:32], v[47:48]
	v_mov_b32_e32 v32, s13
	v_mov_b32_e32 v31, s12
	v_fma_f64 v[31:32], s[14:15], v[29:30], v[31:32]
                                        ; implicit-def: $vgpr47_vgpr48
	v_div_fixup_f64 v[25:26], v[27:28], v[25:26], 1.0
	v_fma_f64 v[27:28], -s[12:13], v[29:30], v[45:46]
                                        ; implicit-def: $vgpr45_vgpr46
	v_mul_f64 v[29:30], v[31:32], v[25:26]
	v_mul_f64 v[31:32], v[27:28], v[25:26]
.LBB62_131:                             ;   in Loop: Header=BB62_89 Depth=1
	s_andn2_saveexec_b64 s[28:29], s[2:3]
	s_cbranch_execz .LBB62_133
; %bb.132:                              ;   in Loop: Header=BB62_89 Depth=1
	v_div_scale_f64 v[25:26], s[2:3], v[45:46], v[45:46], s[12:13]
	v_div_scale_f64 v[27:28], s[2:3], v[47:48], v[47:48], s[14:15]
	;; [unrolled: 1-line block ×3, first 2 shown]
	v_rcp_f64_e32 v[29:30], v[25:26]
	v_rcp_f64_e32 v[31:32], v[27:28]
	v_fma_f64 v[49:50], -v[25:26], v[29:30], 1.0
	v_fma_f64 v[51:52], -v[27:28], v[31:32], 1.0
	v_fma_f64 v[29:30], v[29:30], v[49:50], v[29:30]
	v_div_scale_f64 v[49:50], vcc, s[12:13], v[45:46], s[12:13]
	v_fma_f64 v[31:32], v[31:32], v[51:52], v[31:32]
	v_fma_f64 v[51:52], -v[25:26], v[29:30], 1.0
	v_fma_f64 v[55:56], -v[27:28], v[31:32], 1.0
	v_fma_f64 v[29:30], v[29:30], v[51:52], v[29:30]
	v_fma_f64 v[31:32], v[31:32], v[55:56], v[31:32]
	v_mul_f64 v[51:52], v[49:50], v[29:30]
	v_mul_f64 v[55:56], v[53:54], v[31:32]
	v_fma_f64 v[25:26], -v[25:26], v[51:52], v[49:50]
	v_fma_f64 v[27:28], -v[27:28], v[55:56], v[53:54]
	v_div_fmas_f64 v[25:26], v[25:26], v[29:30], v[51:52]
	s_mov_b64 vcc, s[2:3]
	v_div_fmas_f64 v[27:28], v[27:28], v[31:32], v[55:56]
	v_div_fixup_f64 v[29:30], v[25:26], v[45:46], s[12:13]
	v_div_fixup_f64 v[31:32], v[27:28], v[47:48], s[14:15]
.LBB62_133:                             ;   in Loop: Header=BB62_89 Depth=1
	s_or_b64 exec, exec, s[28:29]
                                        ; implicit-def: $vgpr27_vgpr28
.LBB62_134:                             ;   in Loop: Header=BB62_89 Depth=1
	s_andn2_saveexec_b64 s[2:3], s[4:5]
	s_cbranch_execz .LBB62_136
; %bb.135:                              ;   in Loop: Header=BB62_89 Depth=1
	v_div_scale_f64 v[29:30], s[4:5], v[27:28], v[27:28], v[25:26]
	v_rcp_f64_e32 v[31:32], v[29:30]
	v_fma_f64 v[45:46], -v[29:30], v[31:32], 1.0
	v_fma_f64 v[31:32], v[31:32], v[45:46], v[31:32]
	v_div_scale_f64 v[45:46], vcc, v[25:26], v[27:28], v[25:26]
	v_fma_f64 v[47:48], -v[29:30], v[31:32], 1.0
	v_fma_f64 v[31:32], v[31:32], v[47:48], v[31:32]
	v_mul_f64 v[47:48], v[45:46], v[31:32]
	v_fma_f64 v[29:30], -v[29:30], v[47:48], v[45:46]
	v_div_fmas_f64 v[29:30], v[29:30], v[31:32], v[47:48]
	v_div_fixup_f64 v[29:30], v[29:30], v[27:28], v[25:26]
	v_fma_f64 v[25:26], v[25:26], v[29:30], v[27:28]
	v_div_scale_f64 v[27:28], s[4:5], v[25:26], v[25:26], 1.0
	v_rcp_f64_e32 v[31:32], v[27:28]
	v_fma_f64 v[45:46], -v[27:28], v[31:32], 1.0
	v_fma_f64 v[31:32], v[31:32], v[45:46], v[31:32]
	v_div_scale_f64 v[45:46], vcc, 1.0, v[25:26], 1.0
	v_fma_f64 v[47:48], -v[27:28], v[31:32], 1.0
	v_fma_f64 v[31:32], v[31:32], v[47:48], v[31:32]
	v_mul_f64 v[47:48], v[45:46], v[31:32]
	v_fma_f64 v[27:28], -v[27:28], v[47:48], v[45:46]
	v_mov_b32_e32 v46, s13
	v_mov_b32_e32 v45, s12
	v_div_fmas_f64 v[27:28], v[27:28], v[31:32], v[47:48]
	v_mov_b32_e32 v32, s15
	v_mov_b32_e32 v31, s14
	v_fma_f64 v[31:32], s[12:13], v[29:30], v[31:32]
	v_div_fixup_f64 v[25:26], v[27:28], v[25:26], 1.0
	v_fma_f64 v[27:28], s[14:15], v[29:30], -v[45:46]
	v_mul_f64 v[29:30], v[31:32], v[25:26]
	v_mul_f64 v[31:32], v[27:28], v[25:26]
.LBB62_136:                             ;   in Loop: Header=BB62_89 Depth=1
	s_or_b64 exec, exec, s[2:3]
.LBB62_137:                             ;   in Loop: Header=BB62_89 Depth=1
	v_cmp_gt_f64_e32 vcc, 0, v[21:22]
	v_xor_b32_e32 v25, 0x80000000, v22
	v_mov_b32_e32 v45, v21
	v_mov_b32_e32 v47, v23
	s_mov_b64 s[4:5], -1
                                        ; implicit-def: $vgpr27_vgpr28
	v_cndmask_b32_e32 v46, v22, v25, vcc
	v_cmp_gt_f64_e32 vcc, 0, v[23:24]
	v_xor_b32_e32 v25, 0x80000000, v24
	v_cndmask_b32_e32 v48, v24, v25, vcc
	v_cmp_ge_f64_e64 s[2:3], v[45:46], v[47:48]
	s_and_b64 vcc, exec, s[0:1]
                                        ; implicit-def: $vgpr25_vgpr26
	s_cbranch_vccnz .LBB62_147
; %bb.138:                              ;   in Loop: Header=BB62_89 Depth=1
                                        ; implicit-def: $vgpr25_vgpr26
                                        ; implicit-def: $vgpr27_vgpr28
	s_and_saveexec_b64 s[4:5], s[2:3]
	s_xor_b64 s[28:29], exec, s[4:5]
	s_cbranch_execz .LBB62_144
; %bb.139:                              ;   in Loop: Header=BB62_89 Depth=1
	v_cmp_neq_f64_e32 vcc, 0, v[21:22]
	v_cmp_neq_f64_e64 s[4:5], 0, v[23:24]
                                        ; implicit-def: $vgpr25_vgpr26
                                        ; implicit-def: $vgpr27_vgpr28
	s_or_b64 s[4:5], s[4:5], vcc
	s_and_saveexec_b64 s[30:31], s[4:5]
	s_xor_b64 s[4:5], exec, s[30:31]
	s_cbranch_execz .LBB62_141
; %bb.140:                              ;   in Loop: Header=BB62_89 Depth=1
	v_div_scale_f64 v[25:26], s[30:31], v[21:22], v[21:22], v[23:24]
	v_rcp_f64_e32 v[27:28], v[25:26]
	v_fma_f64 v[49:50], -v[25:26], v[27:28], 1.0
	v_fma_f64 v[27:28], v[27:28], v[49:50], v[27:28]
	v_div_scale_f64 v[49:50], vcc, v[23:24], v[21:22], v[23:24]
	v_fma_f64 v[51:52], -v[25:26], v[27:28], 1.0
	v_fma_f64 v[27:28], v[27:28], v[51:52], v[27:28]
	v_mul_f64 v[51:52], v[49:50], v[27:28]
	v_fma_f64 v[25:26], -v[25:26], v[51:52], v[49:50]
	v_div_fmas_f64 v[25:26], v[25:26], v[27:28], v[51:52]
	v_div_fixup_f64 v[25:26], v[25:26], v[21:22], v[23:24]
	v_fma_f64 v[27:28], v[23:24], v[25:26], v[21:22]
	v_div_scale_f64 v[49:50], s[30:31], v[27:28], v[27:28], 1.0
	v_rcp_f64_e32 v[51:52], v[49:50]
	v_fma_f64 v[53:54], -v[49:50], v[51:52], 1.0
	v_fma_f64 v[51:52], v[51:52], v[53:54], v[51:52]
	v_div_scale_f64 v[53:54], vcc, 1.0, v[27:28], 1.0
	v_fma_f64 v[55:56], -v[49:50], v[51:52], 1.0
	v_fma_f64 v[51:52], v[51:52], v[55:56], v[51:52]
	v_mul_f64 v[55:56], v[53:54], v[51:52]
	v_fma_f64 v[49:50], -v[49:50], v[55:56], v[53:54]
	v_mov_b32_e32 v54, s15
	v_mov_b32_e32 v53, s14
	v_div_fmas_f64 v[49:50], v[49:50], v[51:52], v[55:56]
	v_mov_b32_e32 v52, s13
	v_mov_b32_e32 v51, s12
	v_fma_f64 v[51:52], s[14:15], v[25:26], v[51:52]
	v_fma_f64 v[25:26], -s[12:13], v[25:26], v[53:54]
	v_div_fixup_f64 v[49:50], v[49:50], v[27:28], 1.0
	v_mul_f64 v[27:28], v[51:52], v[49:50]
	v_mul_f64 v[25:26], v[25:26], v[49:50]
.LBB62_141:                             ;   in Loop: Header=BB62_89 Depth=1
	s_andn2_saveexec_b64 s[30:31], s[4:5]
	s_cbranch_execz .LBB62_143
; %bb.142:                              ;   in Loop: Header=BB62_89 Depth=1
	v_div_scale_f64 v[25:26], s[4:5], v[45:46], v[45:46], s[12:13]
	v_div_scale_f64 v[27:28], s[4:5], v[47:48], v[47:48], s[14:15]
	;; [unrolled: 1-line block ×3, first 2 shown]
	v_rcp_f64_e32 v[49:50], v[25:26]
	v_rcp_f64_e32 v[51:52], v[27:28]
	v_fma_f64 v[53:54], -v[25:26], v[49:50], 1.0
	v_fma_f64 v[55:56], -v[27:28], v[51:52], 1.0
	v_fma_f64 v[49:50], v[49:50], v[53:54], v[49:50]
	v_div_scale_f64 v[53:54], vcc, s[12:13], v[45:46], s[12:13]
	v_fma_f64 v[51:52], v[51:52], v[55:56], v[51:52]
	v_fma_f64 v[55:56], -v[25:26], v[49:50], 1.0
	v_fma_f64 v[59:60], -v[27:28], v[51:52], 1.0
	v_fma_f64 v[49:50], v[49:50], v[55:56], v[49:50]
	v_fma_f64 v[51:52], v[51:52], v[59:60], v[51:52]
	v_mul_f64 v[55:56], v[53:54], v[49:50]
	v_mul_f64 v[59:60], v[57:58], v[51:52]
	v_fma_f64 v[25:26], -v[25:26], v[55:56], v[53:54]
	v_fma_f64 v[27:28], -v[27:28], v[59:60], v[57:58]
	v_div_fmas_f64 v[25:26], v[25:26], v[49:50], v[55:56]
	s_mov_b64 vcc, s[4:5]
	v_div_fmas_f64 v[49:50], v[27:28], v[51:52], v[59:60]
	v_div_fixup_f64 v[27:28], v[25:26], v[45:46], s[12:13]
	v_div_fixup_f64 v[25:26], v[49:50], v[47:48], s[14:15]
.LBB62_143:                             ;   in Loop: Header=BB62_89 Depth=1
	s_or_b64 exec, exec, s[30:31]
.LBB62_144:                             ;   in Loop: Header=BB62_89 Depth=1
	s_andn2_saveexec_b64 s[4:5], s[28:29]
	s_cbranch_execz .LBB62_146
; %bb.145:                              ;   in Loop: Header=BB62_89 Depth=1
	v_div_scale_f64 v[25:26], s[28:29], v[23:24], v[23:24], v[21:22]
	v_rcp_f64_e32 v[27:28], v[25:26]
	v_fma_f64 v[49:50], -v[25:26], v[27:28], 1.0
	v_fma_f64 v[27:28], v[27:28], v[49:50], v[27:28]
	v_div_scale_f64 v[49:50], vcc, v[21:22], v[23:24], v[21:22]
	v_fma_f64 v[51:52], -v[25:26], v[27:28], 1.0
	v_fma_f64 v[27:28], v[27:28], v[51:52], v[27:28]
	v_mul_f64 v[51:52], v[49:50], v[27:28]
	v_fma_f64 v[25:26], -v[25:26], v[51:52], v[49:50]
	v_div_fmas_f64 v[25:26], v[25:26], v[27:28], v[51:52]
	v_div_fixup_f64 v[25:26], v[25:26], v[23:24], v[21:22]
	v_fma_f64 v[27:28], v[21:22], v[25:26], v[23:24]
	v_div_scale_f64 v[49:50], s[28:29], v[27:28], v[27:28], 1.0
	v_rcp_f64_e32 v[51:52], v[49:50]
	v_fma_f64 v[53:54], -v[49:50], v[51:52], 1.0
	v_fma_f64 v[51:52], v[51:52], v[53:54], v[51:52]
	v_div_scale_f64 v[53:54], vcc, 1.0, v[27:28], 1.0
	v_fma_f64 v[55:56], -v[49:50], v[51:52], 1.0
	v_fma_f64 v[51:52], v[51:52], v[55:56], v[51:52]
	v_mul_f64 v[55:56], v[53:54], v[51:52]
	v_fma_f64 v[49:50], -v[49:50], v[55:56], v[53:54]
	v_mov_b32_e32 v54, s13
	v_mov_b32_e32 v53, s12
	v_div_fmas_f64 v[49:50], v[49:50], v[51:52], v[55:56]
	v_mov_b32_e32 v52, s15
	v_mov_b32_e32 v51, s14
	v_fma_f64 v[51:52], s[12:13], v[25:26], v[51:52]
	v_fma_f64 v[25:26], s[14:15], v[25:26], -v[53:54]
	v_div_fixup_f64 v[49:50], v[49:50], v[27:28], 1.0
	v_mul_f64 v[27:28], v[51:52], v[49:50]
	v_mul_f64 v[25:26], v[25:26], v[49:50]
.LBB62_146:                             ;   in Loop: Header=BB62_89 Depth=1
	s_or_b64 exec, exec, s[4:5]
	v_mul_f64 v[49:50], s[10:11], v[25:26]
	v_mul_f64 v[51:52], s[8:9], v[25:26]
	s_mov_b64 s[4:5], 0
	v_fma_f64 v[25:26], s[8:9], v[27:28], -v[49:50]
	v_fma_f64 v[27:28], s[10:11], v[27:28], v[51:52]
.LBB62_147:                             ;   in Loop: Header=BB62_89 Depth=1
	s_and_b64 vcc, exec, s[4:5]
	s_cbranch_vccz .LBB62_157
; %bb.148:                              ;   in Loop: Header=BB62_89 Depth=1
                                        ; implicit-def: $vgpr27_vgpr28
                                        ; implicit-def: $vgpr25_vgpr26
	s_and_saveexec_b64 s[4:5], s[2:3]
	s_xor_b64 s[4:5], exec, s[4:5]
	s_cbranch_execz .LBB62_154
; %bb.149:                              ;   in Loop: Header=BB62_89 Depth=1
	v_cmp_neq_f64_e32 vcc, 0, v[21:22]
	v_cmp_neq_f64_e64 s[2:3], 0, v[23:24]
                                        ; implicit-def: $vgpr27_vgpr28
                                        ; implicit-def: $vgpr25_vgpr26
	s_or_b64 s[2:3], s[2:3], vcc
	s_and_saveexec_b64 s[28:29], s[2:3]
	s_xor_b64 s[2:3], exec, s[28:29]
	s_cbranch_execz .LBB62_151
; %bb.150:                              ;   in Loop: Header=BB62_89 Depth=1
	v_div_scale_f64 v[25:26], s[28:29], v[21:22], v[21:22], v[23:24]
	v_rcp_f64_e32 v[27:28], v[25:26]
	v_fma_f64 v[45:46], -v[25:26], v[27:28], 1.0
	v_fma_f64 v[27:28], v[27:28], v[45:46], v[27:28]
	v_div_scale_f64 v[45:46], vcc, v[23:24], v[21:22], v[23:24]
	v_fma_f64 v[47:48], -v[25:26], v[27:28], 1.0
	v_fma_f64 v[27:28], v[27:28], v[47:48], v[27:28]
	v_mul_f64 v[47:48], v[45:46], v[27:28]
	v_fma_f64 v[25:26], -v[25:26], v[47:48], v[45:46]
	v_div_fmas_f64 v[25:26], v[25:26], v[27:28], v[47:48]
	v_div_fixup_f64 v[25:26], v[25:26], v[21:22], v[23:24]
	v_fma_f64 v[21:22], v[23:24], v[25:26], v[21:22]
	v_div_scale_f64 v[23:24], s[28:29], v[21:22], v[21:22], 1.0
	v_rcp_f64_e32 v[27:28], v[23:24]
	v_fma_f64 v[45:46], -v[23:24], v[27:28], 1.0
	v_fma_f64 v[27:28], v[27:28], v[45:46], v[27:28]
	v_div_scale_f64 v[45:46], vcc, 1.0, v[21:22], 1.0
	v_fma_f64 v[47:48], -v[23:24], v[27:28], 1.0
	v_fma_f64 v[27:28], v[27:28], v[47:48], v[27:28]
	v_mul_f64 v[47:48], v[45:46], v[27:28]
	v_fma_f64 v[23:24], -v[23:24], v[47:48], v[45:46]
	v_mov_b32_e32 v46, s15
	v_mov_b32_e32 v45, s14
	v_div_fmas_f64 v[23:24], v[23:24], v[27:28], v[47:48]
	v_mov_b32_e32 v28, s13
	v_mov_b32_e32 v27, s12
	v_fma_f64 v[27:28], s[14:15], v[25:26], v[27:28]
                                        ; implicit-def: $vgpr47_vgpr48
	v_div_fixup_f64 v[21:22], v[23:24], v[21:22], 1.0
	v_fma_f64 v[23:24], -s[12:13], v[25:26], v[45:46]
                                        ; implicit-def: $vgpr45_vgpr46
	v_mul_f64 v[25:26], v[27:28], v[21:22]
	v_mul_f64 v[27:28], v[23:24], v[21:22]
.LBB62_151:                             ;   in Loop: Header=BB62_89 Depth=1
	s_andn2_saveexec_b64 s[28:29], s[2:3]
	s_cbranch_execz .LBB62_153
; %bb.152:                              ;   in Loop: Header=BB62_89 Depth=1
	v_div_scale_f64 v[21:22], s[2:3], v[45:46], v[45:46], s[12:13]
	v_div_scale_f64 v[23:24], s[2:3], v[47:48], v[47:48], s[14:15]
	;; [unrolled: 1-line block ×3, first 2 shown]
	v_rcp_f64_e32 v[25:26], v[21:22]
	v_rcp_f64_e32 v[27:28], v[23:24]
	v_fma_f64 v[49:50], -v[21:22], v[25:26], 1.0
	v_fma_f64 v[51:52], -v[23:24], v[27:28], 1.0
	v_fma_f64 v[25:26], v[25:26], v[49:50], v[25:26]
	v_div_scale_f64 v[49:50], vcc, s[12:13], v[45:46], s[12:13]
	v_fma_f64 v[27:28], v[27:28], v[51:52], v[27:28]
	v_fma_f64 v[51:52], -v[21:22], v[25:26], 1.0
	v_fma_f64 v[55:56], -v[23:24], v[27:28], 1.0
	v_fma_f64 v[25:26], v[25:26], v[51:52], v[25:26]
	v_fma_f64 v[27:28], v[27:28], v[55:56], v[27:28]
	v_mul_f64 v[51:52], v[49:50], v[25:26]
	v_mul_f64 v[55:56], v[53:54], v[27:28]
	v_fma_f64 v[21:22], -v[21:22], v[51:52], v[49:50]
	v_fma_f64 v[23:24], -v[23:24], v[55:56], v[53:54]
	v_div_fmas_f64 v[21:22], v[21:22], v[25:26], v[51:52]
	s_mov_b64 vcc, s[2:3]
	v_div_fmas_f64 v[23:24], v[23:24], v[27:28], v[55:56]
	v_div_fixup_f64 v[25:26], v[21:22], v[45:46], s[12:13]
	v_div_fixup_f64 v[27:28], v[23:24], v[47:48], s[14:15]
.LBB62_153:                             ;   in Loop: Header=BB62_89 Depth=1
	s_or_b64 exec, exec, s[28:29]
                                        ; implicit-def: $vgpr23_vgpr24
.LBB62_154:                             ;   in Loop: Header=BB62_89 Depth=1
	s_andn2_saveexec_b64 s[2:3], s[4:5]
	s_cbranch_execz .LBB62_156
; %bb.155:                              ;   in Loop: Header=BB62_89 Depth=1
	v_div_scale_f64 v[25:26], s[4:5], v[23:24], v[23:24], v[21:22]
	v_rcp_f64_e32 v[27:28], v[25:26]
	v_fma_f64 v[45:46], -v[25:26], v[27:28], 1.0
	v_fma_f64 v[27:28], v[27:28], v[45:46], v[27:28]
	v_div_scale_f64 v[45:46], vcc, v[21:22], v[23:24], v[21:22]
	v_fma_f64 v[47:48], -v[25:26], v[27:28], 1.0
	v_fma_f64 v[27:28], v[27:28], v[47:48], v[27:28]
	v_mul_f64 v[47:48], v[45:46], v[27:28]
	v_fma_f64 v[25:26], -v[25:26], v[47:48], v[45:46]
	v_div_fmas_f64 v[25:26], v[25:26], v[27:28], v[47:48]
	v_div_fixup_f64 v[25:26], v[25:26], v[23:24], v[21:22]
	v_fma_f64 v[21:22], v[21:22], v[25:26], v[23:24]
	v_div_scale_f64 v[23:24], s[4:5], v[21:22], v[21:22], 1.0
	v_rcp_f64_e32 v[27:28], v[23:24]
	v_fma_f64 v[45:46], -v[23:24], v[27:28], 1.0
	v_fma_f64 v[27:28], v[27:28], v[45:46], v[27:28]
	v_div_scale_f64 v[45:46], vcc, 1.0, v[21:22], 1.0
	v_fma_f64 v[47:48], -v[23:24], v[27:28], 1.0
	v_fma_f64 v[27:28], v[27:28], v[47:48], v[27:28]
	v_mul_f64 v[47:48], v[45:46], v[27:28]
	v_fma_f64 v[23:24], -v[23:24], v[47:48], v[45:46]
	v_mov_b32_e32 v46, s13
	v_mov_b32_e32 v45, s12
	v_div_fmas_f64 v[23:24], v[23:24], v[27:28], v[47:48]
	v_mov_b32_e32 v28, s15
	v_mov_b32_e32 v27, s14
	v_fma_f64 v[27:28], s[12:13], v[25:26], v[27:28]
	v_div_fixup_f64 v[21:22], v[23:24], v[21:22], 1.0
	v_fma_f64 v[23:24], s[14:15], v[25:26], -v[45:46]
	v_mul_f64 v[25:26], v[27:28], v[21:22]
	v_mul_f64 v[27:28], v[23:24], v[21:22]
.LBB62_156:                             ;   in Loop: Header=BB62_89 Depth=1
	s_or_b64 exec, exec, s[2:3]
.LBB62_157:                             ;   in Loop: Header=BB62_89 Depth=1
	v_cmp_gt_f64_e32 vcc, 0, v[17:18]
	v_xor_b32_e32 v21, 0x80000000, v18
	v_xor_b32_e32 v23, 0x80000000, v20
                                        ; implicit-def: $vgpr47_vgpr48
                                        ; implicit-def: $vgpr45_vgpr46
	v_cndmask_b32_e32 v22, v18, v21, vcc
	v_cmp_gt_f64_e32 vcc, 0, v[19:20]
	v_mov_b32_e32 v21, v17
	v_cndmask_b32_e32 v24, v20, v23, vcc
	v_mov_b32_e32 v23, v19
	v_cmp_ge_f64_e64 s[2:3], v[21:22], v[23:24]
	s_and_b64 vcc, exec, s[0:1]
	s_mov_b64 s[0:1], -1
	s_cbranch_vccz .LBB62_163
; %bb.158:                              ;   in Loop: Header=BB62_89 Depth=1
	s_and_b64 vcc, exec, s[0:1]
	s_cbranch_vccnz .LBB62_172
.LBB62_159:                             ;   in Loop: Header=BB62_89 Depth=1
	v_cmp_gt_u64_e32 vcc, s[26:27], v[33:34]
	s_and_saveexec_b64 s[0:1], vcc
	s_xor_b64 s[0:1], exec, s[0:1]
	s_cbranch_execnz .LBB62_181
.LBB62_160:                             ;   in Loop: Header=BB62_89 Depth=1
	s_or_b64 exec, exec, s[0:1]
	v_cmp_gt_u64_e32 vcc, s[26:27], v[35:36]
	s_and_saveexec_b64 s[0:1], vcc
	s_cbranch_execnz .LBB62_182
.LBB62_161:                             ;   in Loop: Header=BB62_89 Depth=1
	s_or_b64 exec, exec, s[0:1]
	v_cmp_gt_u64_e32 vcc, s[26:27], v[37:38]
	s_and_saveexec_b64 s[0:1], vcc
	s_cbranch_execnz .LBB62_183
.LBB62_162:                             ;   in Loop: Header=BB62_89 Depth=1
	s_or_b64 exec, exec, s[0:1]
	v_cmp_gt_u64_e32 vcc, s[26:27], v[39:40]
	s_and_saveexec_b64 s[0:1], vcc
	s_cbranch_execz .LBB62_88
	s_branch .LBB62_184
.LBB62_163:                             ;   in Loop: Header=BB62_89 Depth=1
                                        ; implicit-def: $vgpr45_vgpr46
                                        ; implicit-def: $vgpr47_vgpr48
	s_and_saveexec_b64 s[0:1], s[2:3]
	s_xor_b64 s[4:5], exec, s[0:1]
	s_cbranch_execz .LBB62_169
; %bb.164:                              ;   in Loop: Header=BB62_89 Depth=1
	v_cmp_neq_f64_e32 vcc, 0, v[17:18]
	v_cmp_neq_f64_e64 s[0:1], 0, v[19:20]
                                        ; implicit-def: $vgpr45_vgpr46
                                        ; implicit-def: $vgpr47_vgpr48
	s_or_b64 s[0:1], s[0:1], vcc
	s_and_saveexec_b64 s[28:29], s[0:1]
	s_xor_b64 s[0:1], exec, s[28:29]
	s_cbranch_execz .LBB62_166
; %bb.165:                              ;   in Loop: Header=BB62_89 Depth=1
	v_div_scale_f64 v[45:46], s[28:29], v[17:18], v[17:18], v[19:20]
	v_rcp_f64_e32 v[47:48], v[45:46]
	v_fma_f64 v[49:50], -v[45:46], v[47:48], 1.0
	v_fma_f64 v[47:48], v[47:48], v[49:50], v[47:48]
	v_div_scale_f64 v[49:50], vcc, v[19:20], v[17:18], v[19:20]
	v_fma_f64 v[51:52], -v[45:46], v[47:48], 1.0
	v_fma_f64 v[47:48], v[47:48], v[51:52], v[47:48]
	v_mul_f64 v[51:52], v[49:50], v[47:48]
	v_fma_f64 v[45:46], -v[45:46], v[51:52], v[49:50]
	v_div_fmas_f64 v[45:46], v[45:46], v[47:48], v[51:52]
	v_div_fixup_f64 v[45:46], v[45:46], v[17:18], v[19:20]
	v_fma_f64 v[47:48], v[19:20], v[45:46], v[17:18]
	v_div_scale_f64 v[49:50], s[28:29], v[47:48], v[47:48], 1.0
	v_rcp_f64_e32 v[51:52], v[49:50]
	v_fma_f64 v[53:54], -v[49:50], v[51:52], 1.0
	v_fma_f64 v[51:52], v[51:52], v[53:54], v[51:52]
	v_div_scale_f64 v[53:54], vcc, 1.0, v[47:48], 1.0
	v_fma_f64 v[55:56], -v[49:50], v[51:52], 1.0
	v_fma_f64 v[51:52], v[51:52], v[55:56], v[51:52]
	v_mul_f64 v[55:56], v[53:54], v[51:52]
	v_fma_f64 v[49:50], -v[49:50], v[55:56], v[53:54]
	v_mov_b32_e32 v54, s15
	v_mov_b32_e32 v53, s14
	v_div_fmas_f64 v[49:50], v[49:50], v[51:52], v[55:56]
	v_mov_b32_e32 v52, s13
	v_mov_b32_e32 v51, s12
	v_fma_f64 v[51:52], s[14:15], v[45:46], v[51:52]
	v_fma_f64 v[45:46], -s[12:13], v[45:46], v[53:54]
	v_div_fixup_f64 v[49:50], v[49:50], v[47:48], 1.0
	v_mul_f64 v[47:48], v[51:52], v[49:50]
	v_mul_f64 v[45:46], v[45:46], v[49:50]
.LBB62_166:                             ;   in Loop: Header=BB62_89 Depth=1
	s_andn2_saveexec_b64 s[28:29], s[0:1]
	s_cbranch_execz .LBB62_168
; %bb.167:                              ;   in Loop: Header=BB62_89 Depth=1
	v_div_scale_f64 v[45:46], s[0:1], v[21:22], v[21:22], s[12:13]
	v_div_scale_f64 v[47:48], s[0:1], v[23:24], v[23:24], s[14:15]
	;; [unrolled: 1-line block ×3, first 2 shown]
	v_rcp_f64_e32 v[49:50], v[45:46]
	v_rcp_f64_e32 v[51:52], v[47:48]
	v_fma_f64 v[53:54], -v[45:46], v[49:50], 1.0
	v_fma_f64 v[55:56], -v[47:48], v[51:52], 1.0
	v_fma_f64 v[49:50], v[49:50], v[53:54], v[49:50]
	v_div_scale_f64 v[53:54], vcc, s[12:13], v[21:22], s[12:13]
	v_fma_f64 v[51:52], v[51:52], v[55:56], v[51:52]
	v_fma_f64 v[55:56], -v[45:46], v[49:50], 1.0
	v_fma_f64 v[59:60], -v[47:48], v[51:52], 1.0
	v_fma_f64 v[49:50], v[49:50], v[55:56], v[49:50]
	v_fma_f64 v[51:52], v[51:52], v[59:60], v[51:52]
	v_mul_f64 v[55:56], v[53:54], v[49:50]
	v_mul_f64 v[59:60], v[57:58], v[51:52]
	v_fma_f64 v[45:46], -v[45:46], v[55:56], v[53:54]
	v_fma_f64 v[47:48], -v[47:48], v[59:60], v[57:58]
	v_div_fmas_f64 v[45:46], v[45:46], v[49:50], v[55:56]
	s_mov_b64 vcc, s[0:1]
	v_div_fmas_f64 v[49:50], v[47:48], v[51:52], v[59:60]
	v_div_fixup_f64 v[47:48], v[45:46], v[21:22], s[12:13]
	v_div_fixup_f64 v[45:46], v[49:50], v[23:24], s[14:15]
.LBB62_168:                             ;   in Loop: Header=BB62_89 Depth=1
	s_or_b64 exec, exec, s[28:29]
.LBB62_169:                             ;   in Loop: Header=BB62_89 Depth=1
	s_andn2_saveexec_b64 s[0:1], s[4:5]
	s_cbranch_execz .LBB62_171
; %bb.170:                              ;   in Loop: Header=BB62_89 Depth=1
	v_div_scale_f64 v[45:46], s[4:5], v[19:20], v[19:20], v[17:18]
	v_rcp_f64_e32 v[47:48], v[45:46]
	v_fma_f64 v[49:50], -v[45:46], v[47:48], 1.0
	v_fma_f64 v[47:48], v[47:48], v[49:50], v[47:48]
	v_div_scale_f64 v[49:50], vcc, v[17:18], v[19:20], v[17:18]
	v_fma_f64 v[51:52], -v[45:46], v[47:48], 1.0
	v_fma_f64 v[47:48], v[47:48], v[51:52], v[47:48]
	v_mul_f64 v[51:52], v[49:50], v[47:48]
	v_fma_f64 v[45:46], -v[45:46], v[51:52], v[49:50]
	v_div_fmas_f64 v[45:46], v[45:46], v[47:48], v[51:52]
	v_div_fixup_f64 v[45:46], v[45:46], v[19:20], v[17:18]
	v_fma_f64 v[47:48], v[17:18], v[45:46], v[19:20]
	v_div_scale_f64 v[49:50], s[4:5], v[47:48], v[47:48], 1.0
	v_rcp_f64_e32 v[51:52], v[49:50]
	v_fma_f64 v[53:54], -v[49:50], v[51:52], 1.0
	v_fma_f64 v[51:52], v[51:52], v[53:54], v[51:52]
	v_div_scale_f64 v[53:54], vcc, 1.0, v[47:48], 1.0
	v_fma_f64 v[55:56], -v[49:50], v[51:52], 1.0
	v_fma_f64 v[51:52], v[51:52], v[55:56], v[51:52]
	v_mul_f64 v[55:56], v[53:54], v[51:52]
	v_fma_f64 v[49:50], -v[49:50], v[55:56], v[53:54]
	v_mov_b32_e32 v54, s13
	v_mov_b32_e32 v53, s12
	v_div_fmas_f64 v[49:50], v[49:50], v[51:52], v[55:56]
	v_mov_b32_e32 v52, s15
	v_mov_b32_e32 v51, s14
	v_fma_f64 v[51:52], s[12:13], v[45:46], v[51:52]
	v_fma_f64 v[45:46], s[14:15], v[45:46], -v[53:54]
	v_div_fixup_f64 v[49:50], v[49:50], v[47:48], 1.0
	v_mul_f64 v[47:48], v[51:52], v[49:50]
	v_mul_f64 v[45:46], v[45:46], v[49:50]
.LBB62_171:                             ;   in Loop: Header=BB62_89 Depth=1
	s_or_b64 exec, exec, s[0:1]
	v_mul_f64 v[49:50], s[10:11], v[45:46]
	v_mul_f64 v[51:52], s[8:9], v[45:46]
	v_fma_f64 v[45:46], s[8:9], v[47:48], -v[49:50]
	v_fma_f64 v[47:48], s[10:11], v[47:48], v[51:52]
	s_branch .LBB62_159
.LBB62_172:                             ;   in Loop: Header=BB62_89 Depth=1
                                        ; implicit-def: $vgpr47_vgpr48
                                        ; implicit-def: $vgpr45_vgpr46
	s_and_saveexec_b64 s[0:1], s[2:3]
	s_xor_b64 s[2:3], exec, s[0:1]
	s_cbranch_execz .LBB62_178
; %bb.173:                              ;   in Loop: Header=BB62_89 Depth=1
	v_cmp_neq_f64_e32 vcc, 0, v[17:18]
	v_cmp_neq_f64_e64 s[0:1], 0, v[19:20]
                                        ; implicit-def: $vgpr47_vgpr48
                                        ; implicit-def: $vgpr45_vgpr46
	s_or_b64 s[0:1], s[0:1], vcc
	s_and_saveexec_b64 s[4:5], s[0:1]
	s_xor_b64 s[0:1], exec, s[4:5]
	s_cbranch_execz .LBB62_175
; %bb.174:                              ;   in Loop: Header=BB62_89 Depth=1
	v_div_scale_f64 v[21:22], s[4:5], v[17:18], v[17:18], v[19:20]
	v_rcp_f64_e32 v[23:24], v[21:22]
	v_fma_f64 v[45:46], -v[21:22], v[23:24], 1.0
	v_fma_f64 v[23:24], v[23:24], v[45:46], v[23:24]
	v_div_scale_f64 v[45:46], vcc, v[19:20], v[17:18], v[19:20]
	v_fma_f64 v[47:48], -v[21:22], v[23:24], 1.0
	v_fma_f64 v[23:24], v[23:24], v[47:48], v[23:24]
	v_mul_f64 v[47:48], v[45:46], v[23:24]
	v_fma_f64 v[21:22], -v[21:22], v[47:48], v[45:46]
	v_div_fmas_f64 v[21:22], v[21:22], v[23:24], v[47:48]
	v_div_fixup_f64 v[21:22], v[21:22], v[17:18], v[19:20]
	v_fma_f64 v[17:18], v[19:20], v[21:22], v[17:18]
	v_div_scale_f64 v[19:20], s[4:5], v[17:18], v[17:18], 1.0
	v_rcp_f64_e32 v[23:24], v[19:20]
	v_fma_f64 v[45:46], -v[19:20], v[23:24], 1.0
	v_fma_f64 v[23:24], v[23:24], v[45:46], v[23:24]
	v_div_scale_f64 v[45:46], vcc, 1.0, v[17:18], 1.0
	v_fma_f64 v[47:48], -v[19:20], v[23:24], 1.0
	v_fma_f64 v[23:24], v[23:24], v[47:48], v[23:24]
	v_mul_f64 v[47:48], v[45:46], v[23:24]
	v_fma_f64 v[19:20], -v[19:20], v[47:48], v[45:46]
	v_mov_b32_e32 v46, s15
	v_mov_b32_e32 v45, s14
	v_div_fmas_f64 v[19:20], v[19:20], v[23:24], v[47:48]
	v_mov_b32_e32 v24, s13
	v_mov_b32_e32 v23, s12
	v_fma_f64 v[23:24], s[14:15], v[21:22], v[23:24]
	v_div_fixup_f64 v[17:18], v[19:20], v[17:18], 1.0
	v_fma_f64 v[19:20], -s[12:13], v[21:22], v[45:46]
                                        ; implicit-def: $vgpr21_vgpr22
	v_mul_f64 v[45:46], v[23:24], v[17:18]
	v_mul_f64 v[47:48], v[19:20], v[17:18]
                                        ; implicit-def: $vgpr23_vgpr24
.LBB62_175:                             ;   in Loop: Header=BB62_89 Depth=1
	s_andn2_saveexec_b64 s[4:5], s[0:1]
	s_cbranch_execz .LBB62_177
; %bb.176:                              ;   in Loop: Header=BB62_89 Depth=1
	v_div_scale_f64 v[17:18], s[0:1], v[21:22], v[21:22], s[12:13]
	v_div_scale_f64 v[19:20], s[0:1], v[23:24], v[23:24], s[14:15]
	;; [unrolled: 1-line block ×3, first 2 shown]
	v_rcp_f64_e32 v[45:46], v[17:18]
	v_rcp_f64_e32 v[47:48], v[19:20]
	v_fma_f64 v[49:50], -v[17:18], v[45:46], 1.0
	v_fma_f64 v[51:52], -v[19:20], v[47:48], 1.0
	v_fma_f64 v[45:46], v[45:46], v[49:50], v[45:46]
	v_div_scale_f64 v[49:50], vcc, s[12:13], v[21:22], s[12:13]
	v_fma_f64 v[47:48], v[47:48], v[51:52], v[47:48]
	v_fma_f64 v[51:52], -v[17:18], v[45:46], 1.0
	v_fma_f64 v[55:56], -v[19:20], v[47:48], 1.0
	v_fma_f64 v[45:46], v[45:46], v[51:52], v[45:46]
	v_fma_f64 v[47:48], v[47:48], v[55:56], v[47:48]
	v_mul_f64 v[51:52], v[49:50], v[45:46]
	v_mul_f64 v[55:56], v[53:54], v[47:48]
	v_fma_f64 v[17:18], -v[17:18], v[51:52], v[49:50]
	v_fma_f64 v[19:20], -v[19:20], v[55:56], v[53:54]
	v_div_fmas_f64 v[17:18], v[17:18], v[45:46], v[51:52]
	s_mov_b64 vcc, s[0:1]
	v_div_fmas_f64 v[19:20], v[19:20], v[47:48], v[55:56]
	v_div_fixup_f64 v[45:46], v[17:18], v[21:22], s[12:13]
	v_div_fixup_f64 v[47:48], v[19:20], v[23:24], s[14:15]
.LBB62_177:                             ;   in Loop: Header=BB62_89 Depth=1
	s_or_b64 exec, exec, s[4:5]
                                        ; implicit-def: $vgpr19_vgpr20
.LBB62_178:                             ;   in Loop: Header=BB62_89 Depth=1
	s_andn2_saveexec_b64 s[0:1], s[2:3]
	s_cbranch_execz .LBB62_180
; %bb.179:                              ;   in Loop: Header=BB62_89 Depth=1
	v_div_scale_f64 v[21:22], s[2:3], v[19:20], v[19:20], v[17:18]
	v_rcp_f64_e32 v[23:24], v[21:22]
	v_fma_f64 v[45:46], -v[21:22], v[23:24], 1.0
	v_fma_f64 v[23:24], v[23:24], v[45:46], v[23:24]
	v_div_scale_f64 v[45:46], vcc, v[17:18], v[19:20], v[17:18]
	v_fma_f64 v[47:48], -v[21:22], v[23:24], 1.0
	v_fma_f64 v[23:24], v[23:24], v[47:48], v[23:24]
	v_mul_f64 v[47:48], v[45:46], v[23:24]
	v_fma_f64 v[21:22], -v[21:22], v[47:48], v[45:46]
	v_div_fmas_f64 v[21:22], v[21:22], v[23:24], v[47:48]
	v_div_fixup_f64 v[21:22], v[21:22], v[19:20], v[17:18]
	v_fma_f64 v[17:18], v[17:18], v[21:22], v[19:20]
	v_div_scale_f64 v[19:20], s[2:3], v[17:18], v[17:18], 1.0
	v_rcp_f64_e32 v[23:24], v[19:20]
	v_fma_f64 v[45:46], -v[19:20], v[23:24], 1.0
	v_fma_f64 v[23:24], v[23:24], v[45:46], v[23:24]
	v_div_scale_f64 v[45:46], vcc, 1.0, v[17:18], 1.0
	v_fma_f64 v[47:48], -v[19:20], v[23:24], 1.0
	v_fma_f64 v[23:24], v[23:24], v[47:48], v[23:24]
	v_mul_f64 v[47:48], v[45:46], v[23:24]
	v_fma_f64 v[19:20], -v[19:20], v[47:48], v[45:46]
	v_mov_b32_e32 v46, s13
	v_mov_b32_e32 v45, s12
	v_div_fmas_f64 v[19:20], v[19:20], v[23:24], v[47:48]
	v_mov_b32_e32 v24, s15
	v_mov_b32_e32 v23, s14
	v_fma_f64 v[23:24], s[12:13], v[21:22], v[23:24]
	v_div_fixup_f64 v[17:18], v[19:20], v[17:18], 1.0
	v_fma_f64 v[19:20], s[14:15], v[21:22], -v[45:46]
	v_mul_f64 v[45:46], v[23:24], v[17:18]
	v_mul_f64 v[47:48], v[19:20], v[17:18]
.LBB62_180:                             ;   in Loop: Header=BB62_89 Depth=1
	s_or_b64 exec, exec, s[0:1]
	v_cmp_gt_u64_e32 vcc, s[26:27], v[33:34]
	s_and_saveexec_b64 s[0:1], vcc
	s_xor_b64 s[0:1], exec, s[0:1]
	s_cbranch_execz .LBB62_160
.LBB62_181:                             ;   in Loop: Header=BB62_89 Depth=1
	v_add_f64 v[3:4], v[3:4], v[43:44]
	v_add_f64 v[1:2], v[1:2], v[41:42]
	v_lshlrev_b64 v[17:18], 4, v[33:34]
	v_mov_b32_e32 v19, s21
	v_add_co_u32_e32 v17, vcc, s20, v17
	v_addc_co_u32_e32 v18, vcc, v19, v18, vcc
	global_store_dwordx4 v[17:18], v[1:4], off
	s_or_b64 exec, exec, s[0:1]
	v_cmp_gt_u64_e32 vcc, s[26:27], v[35:36]
	s_and_saveexec_b64 s[0:1], vcc
	s_cbranch_execz .LBB62_161
.LBB62_182:                             ;   in Loop: Header=BB62_89 Depth=1
	v_add_f64 v[3:4], v[7:8], v[31:32]
	v_add_f64 v[1:2], v[5:6], v[29:30]
	v_lshlrev_b64 v[5:6], 4, v[35:36]
	v_mov_b32_e32 v7, s21
	v_add_co_u32_e32 v5, vcc, s20, v5
	v_addc_co_u32_e32 v6, vcc, v7, v6, vcc
	global_store_dwordx4 v[5:6], v[1:4], off
	s_or_b64 exec, exec, s[0:1]
	v_cmp_gt_u64_e32 vcc, s[26:27], v[37:38]
	s_and_saveexec_b64 s[0:1], vcc
	s_cbranch_execz .LBB62_162
.LBB62_183:                             ;   in Loop: Header=BB62_89 Depth=1
	v_add_f64 v[3:4], v[11:12], v[27:28]
	v_add_f64 v[1:2], v[9:10], v[25:26]
	v_lshlrev_b64 v[5:6], 4, v[37:38]
	v_mov_b32_e32 v7, s21
	v_add_co_u32_e32 v5, vcc, s20, v5
	v_addc_co_u32_e32 v6, vcc, v7, v6, vcc
	global_store_dwordx4 v[5:6], v[1:4], off
	s_or_b64 exec, exec, s[0:1]
	v_cmp_gt_u64_e32 vcc, s[26:27], v[39:40]
	s_and_saveexec_b64 s[0:1], vcc
	s_cbranch_execz .LBB62_88
.LBB62_184:                             ;   in Loop: Header=BB62_89 Depth=1
	v_add_f64 v[3:4], v[15:16], v[47:48]
	v_add_f64 v[1:2], v[13:14], v[45:46]
	v_lshlrev_b64 v[5:6], 4, v[39:40]
	v_mov_b32_e32 v7, s21
	v_add_co_u32_e32 v5, vcc, s20, v5
	v_addc_co_u32_e32 v6, vcc, v7, v6, vcc
	global_store_dwordx4 v[5:6], v[1:4], off
	s_branch .LBB62_88
.LBB62_185:
	s_endpgm
	.section	.rodata,"a",@progbits
	.p2align	6, 0x0
	.amdhsa_kernel _ZN2at6native12_GLOBAL__N_125multi_tensor_apply_kernelINS1_18TensorListMetadataILi4EEENS1_32PointwiseOpScalar0dTensorFunctorIN3c107complexIdEELi4ELi2ELi3EEEJSt7dividesIS8_ES8_EEEvT_T0_DpT1_
		.amdhsa_group_segment_fixed_size 0
		.amdhsa_private_segment_fixed_size 0
		.amdhsa_kernarg_size 3328
		.amdhsa_user_sgpr_count 6
		.amdhsa_user_sgpr_private_segment_buffer 1
		.amdhsa_user_sgpr_dispatch_ptr 0
		.amdhsa_user_sgpr_queue_ptr 0
		.amdhsa_user_sgpr_kernarg_segment_ptr 1
		.amdhsa_user_sgpr_dispatch_id 0
		.amdhsa_user_sgpr_flat_scratch_init 0
		.amdhsa_user_sgpr_private_segment_size 0
		.amdhsa_uses_dynamic_stack 0
		.amdhsa_system_sgpr_private_segment_wavefront_offset 0
		.amdhsa_system_sgpr_workgroup_id_x 1
		.amdhsa_system_sgpr_workgroup_id_y 0
		.amdhsa_system_sgpr_workgroup_id_z 0
		.amdhsa_system_sgpr_workgroup_info 0
		.amdhsa_system_vgpr_workitem_id 0
		.amdhsa_next_free_vgpr 61
		.amdhsa_next_free_sgpr 45
		.amdhsa_reserve_vcc 1
		.amdhsa_reserve_flat_scratch 0
		.amdhsa_float_round_mode_32 0
		.amdhsa_float_round_mode_16_64 0
		.amdhsa_float_denorm_mode_32 3
		.amdhsa_float_denorm_mode_16_64 3
		.amdhsa_dx10_clamp 1
		.amdhsa_ieee_mode 1
		.amdhsa_fp16_overflow 0
		.amdhsa_exception_fp_ieee_invalid_op 0
		.amdhsa_exception_fp_denorm_src 0
		.amdhsa_exception_fp_ieee_div_zero 0
		.amdhsa_exception_fp_ieee_overflow 0
		.amdhsa_exception_fp_ieee_underflow 0
		.amdhsa_exception_fp_ieee_inexact 0
		.amdhsa_exception_int_div_zero 0
	.end_amdhsa_kernel
	.section	.text._ZN2at6native12_GLOBAL__N_125multi_tensor_apply_kernelINS1_18TensorListMetadataILi4EEENS1_32PointwiseOpScalar0dTensorFunctorIN3c107complexIdEELi4ELi2ELi3EEEJSt7dividesIS8_ES8_EEEvT_T0_DpT1_,"axG",@progbits,_ZN2at6native12_GLOBAL__N_125multi_tensor_apply_kernelINS1_18TensorListMetadataILi4EEENS1_32PointwiseOpScalar0dTensorFunctorIN3c107complexIdEELi4ELi2ELi3EEEJSt7dividesIS8_ES8_EEEvT_T0_DpT1_,comdat
.Lfunc_end62:
	.size	_ZN2at6native12_GLOBAL__N_125multi_tensor_apply_kernelINS1_18TensorListMetadataILi4EEENS1_32PointwiseOpScalar0dTensorFunctorIN3c107complexIdEELi4ELi2ELi3EEEJSt7dividesIS8_ES8_EEEvT_T0_DpT1_, .Lfunc_end62-_ZN2at6native12_GLOBAL__N_125multi_tensor_apply_kernelINS1_18TensorListMetadataILi4EEENS1_32PointwiseOpScalar0dTensorFunctorIN3c107complexIdEELi4ELi2ELi3EEEJSt7dividesIS8_ES8_EEEvT_T0_DpT1_
                                        ; -- End function
	.set _ZN2at6native12_GLOBAL__N_125multi_tensor_apply_kernelINS1_18TensorListMetadataILi4EEENS1_32PointwiseOpScalar0dTensorFunctorIN3c107complexIdEELi4ELi2ELi3EEEJSt7dividesIS8_ES8_EEEvT_T0_DpT1_.num_vgpr, 61
	.set _ZN2at6native12_GLOBAL__N_125multi_tensor_apply_kernelINS1_18TensorListMetadataILi4EEENS1_32PointwiseOpScalar0dTensorFunctorIN3c107complexIdEELi4ELi2ELi3EEEJSt7dividesIS8_ES8_EEEvT_T0_DpT1_.num_agpr, 0
	.set _ZN2at6native12_GLOBAL__N_125multi_tensor_apply_kernelINS1_18TensorListMetadataILi4EEENS1_32PointwiseOpScalar0dTensorFunctorIN3c107complexIdEELi4ELi2ELi3EEEJSt7dividesIS8_ES8_EEEvT_T0_DpT1_.numbered_sgpr, 45
	.set _ZN2at6native12_GLOBAL__N_125multi_tensor_apply_kernelINS1_18TensorListMetadataILi4EEENS1_32PointwiseOpScalar0dTensorFunctorIN3c107complexIdEELi4ELi2ELi3EEEJSt7dividesIS8_ES8_EEEvT_T0_DpT1_.num_named_barrier, 0
	.set _ZN2at6native12_GLOBAL__N_125multi_tensor_apply_kernelINS1_18TensorListMetadataILi4EEENS1_32PointwiseOpScalar0dTensorFunctorIN3c107complexIdEELi4ELi2ELi3EEEJSt7dividesIS8_ES8_EEEvT_T0_DpT1_.private_seg_size, 0
	.set _ZN2at6native12_GLOBAL__N_125multi_tensor_apply_kernelINS1_18TensorListMetadataILi4EEENS1_32PointwiseOpScalar0dTensorFunctorIN3c107complexIdEELi4ELi2ELi3EEEJSt7dividesIS8_ES8_EEEvT_T0_DpT1_.uses_vcc, 1
	.set _ZN2at6native12_GLOBAL__N_125multi_tensor_apply_kernelINS1_18TensorListMetadataILi4EEENS1_32PointwiseOpScalar0dTensorFunctorIN3c107complexIdEELi4ELi2ELi3EEEJSt7dividesIS8_ES8_EEEvT_T0_DpT1_.uses_flat_scratch, 0
	.set _ZN2at6native12_GLOBAL__N_125multi_tensor_apply_kernelINS1_18TensorListMetadataILi4EEENS1_32PointwiseOpScalar0dTensorFunctorIN3c107complexIdEELi4ELi2ELi3EEEJSt7dividesIS8_ES8_EEEvT_T0_DpT1_.has_dyn_sized_stack, 0
	.set _ZN2at6native12_GLOBAL__N_125multi_tensor_apply_kernelINS1_18TensorListMetadataILi4EEENS1_32PointwiseOpScalar0dTensorFunctorIN3c107complexIdEELi4ELi2ELi3EEEJSt7dividesIS8_ES8_EEEvT_T0_DpT1_.has_recursion, 0
	.set _ZN2at6native12_GLOBAL__N_125multi_tensor_apply_kernelINS1_18TensorListMetadataILi4EEENS1_32PointwiseOpScalar0dTensorFunctorIN3c107complexIdEELi4ELi2ELi3EEEJSt7dividesIS8_ES8_EEEvT_T0_DpT1_.has_indirect_call, 0
	.section	.AMDGPU.csdata,"",@progbits
; Kernel info:
; codeLenInByte = 13364
; TotalNumSgprs: 49
; NumVgprs: 61
; ScratchSize: 0
; MemoryBound: 1
; FloatMode: 240
; IeeeMode: 1
; LDSByteSize: 0 bytes/workgroup (compile time only)
; SGPRBlocks: 6
; VGPRBlocks: 15
; NumSGPRsForWavesPerEU: 49
; NumVGPRsForWavesPerEU: 61
; Occupancy: 4
; WaveLimiterHint : 0
; COMPUTE_PGM_RSRC2:SCRATCH_EN: 0
; COMPUTE_PGM_RSRC2:USER_SGPR: 6
; COMPUTE_PGM_RSRC2:TRAP_HANDLER: 0
; COMPUTE_PGM_RSRC2:TGID_X_EN: 1
; COMPUTE_PGM_RSRC2:TGID_Y_EN: 0
; COMPUTE_PGM_RSRC2:TGID_Z_EN: 0
; COMPUTE_PGM_RSRC2:TIDIG_COMP_CNT: 0
	.section	.text._ZN2at6native12_GLOBAL__N_125multi_tensor_apply_kernelINS1_18TensorListMetadataILi4EEENS1_32PointwiseOpScalar0dTensorFunctorIN3c107complexIfEELi4ELi2ELi3EEEJSt7dividesIS8_ES8_EEEvT_T0_DpT1_,"axG",@progbits,_ZN2at6native12_GLOBAL__N_125multi_tensor_apply_kernelINS1_18TensorListMetadataILi4EEENS1_32PointwiseOpScalar0dTensorFunctorIN3c107complexIfEELi4ELi2ELi3EEEJSt7dividesIS8_ES8_EEEvT_T0_DpT1_,comdat
	.globl	_ZN2at6native12_GLOBAL__N_125multi_tensor_apply_kernelINS1_18TensorListMetadataILi4EEENS1_32PointwiseOpScalar0dTensorFunctorIN3c107complexIfEELi4ELi2ELi3EEEJSt7dividesIS8_ES8_EEEvT_T0_DpT1_ ; -- Begin function _ZN2at6native12_GLOBAL__N_125multi_tensor_apply_kernelINS1_18TensorListMetadataILi4EEENS1_32PointwiseOpScalar0dTensorFunctorIN3c107complexIfEELi4ELi2ELi3EEEJSt7dividesIS8_ES8_EEEvT_T0_DpT1_
	.p2align	8
	.type	_ZN2at6native12_GLOBAL__N_125multi_tensor_apply_kernelINS1_18TensorListMetadataILi4EEENS1_32PointwiseOpScalar0dTensorFunctorIN3c107complexIfEELi4ELi2ELi3EEEJSt7dividesIS8_ES8_EEEvT_T0_DpT1_,@function
_ZN2at6native12_GLOBAL__N_125multi_tensor_apply_kernelINS1_18TensorListMetadataILi4EEENS1_32PointwiseOpScalar0dTensorFunctorIN3c107complexIfEELi4ELi2ELi3EEEJSt7dividesIS8_ES8_EEEvT_T0_DpT1_: ; @_ZN2at6native12_GLOBAL__N_125multi_tensor_apply_kernelINS1_18TensorListMetadataILi4EEENS1_32PointwiseOpScalar0dTensorFunctorIN3c107complexIfEELi4ELi2ELi3EEEJSt7dividesIS8_ES8_EEEvT_T0_DpT1_
; %bb.0:
	v_mov_b32_e32 v1, s6
	global_load_ubyte v1, v1, s[4:5] offset:1440
	s_add_u32 s0, s4, s6
	s_mul_hi_u32 s1, s6, 3
	s_mul_i32 s6, s6, 3
	s_addc_u32 s2, s5, 0
	s_add_u32 s0, s0, s6
	s_addc_u32 s1, s2, s1
	s_load_dword s0, s[0:1], 0x6e0
	s_mov_b32 s3, 0
	s_mov_b32 s7, s3
	s_waitcnt lgkmcnt(0)
	s_ashr_i32 s1, s0, 31
	s_lshl_b64 s[16:17], s[0:1], 19
	s_waitcnt vmcnt(0)
	v_lshlrev_b32_e32 v1, 3, v1
	v_readfirstlane_b32 s2, v1
	s_load_dwordx2 s[10:11], s[4:5], s2 offset:0x0
	s_load_dwordx2 s[14:15], s[4:5], s2 offset:0x120
	s_load_dwordx2 s[8:9], s[4:5], 0xbf0
	s_load_dwordx2 s[18:19], s[4:5], s2 offset:0x480
	s_load_dwordx2 s[20:21], s[4:5], s2 offset:0x240
	;; [unrolled: 1-line block ×3, first 2 shown]
	s_waitcnt lgkmcnt(0)
	s_add_u32 s10, s10, s16
	s_addc_u32 s11, s11, s17
	s_add_u32 s2, s14, s16
	s_and_b32 s2, s2, 31
	s_load_dwordx2 s[12:13], s[14:15], 0x0
	s_add_u32 s14, s20, s16
	s_addc_u32 s15, s21, s17
	s_add_u32 s16, s22, s16
	s_addc_u32 s17, s23, s17
	s_or_b32 s6, s16, s14
	s_and_b32 s6, s6, 31
	s_cmp_lg_u32 s6, 0
	s_cselect_b64 s[20:21], -1, 0
	s_lshl_b64 s[0:1], s[0:1], 16
	s_and_b32 s6, s10, 31
	s_cmp_lg_u64 s[2:3], 0
	s_cselect_b64 s[22:23], -1, 0
	s_or_b64 s[22:23], s[20:21], s[22:23]
	s_sub_u32 s20, s18, s0
	s_subb_u32 s21, s19, s1
	s_and_b32 s2, s18, 3
	s_or_b64 s[0:1], s[6:7], s[2:3]
	s_cmp_lg_u64 s[0:1], 0
	s_cselect_b64 s[0:1], -1, 0
	s_or_b64 s[0:1], s[22:23], s[0:1]
	s_andn2_b64 vcc, exec, s[0:1]
	s_mov_b64 s[0:1], -1
	s_cbranch_vccz .LBB63_85
; %bb.1:
	v_mov_b32_e32 v1, 0x10000
	v_mov_b32_e32 v2, 0
	v_cmp_lt_i64_e32 vcc, s[20:21], v[1:2]
	v_mov_b32_e32 v2, 0
	s_and_b64 s[0:1], vcc, exec
	s_cselect_b32 s19, s21, 0
	s_cselect_b32 s18, s20, 0x10000
	v_lshlrev_b32_e32 v1, 2, v0
	v_cmp_gt_i64_e32 vcc, s[18:19], v[1:2]
	s_and_saveexec_b64 s[22:23], vcc
	s_cbranch_execz .LBB63_84
; %bb.2:
	s_load_dword s6, s[4:5], 0xc04
	s_and_b32 s2, s9, 0x7fffffff
	v_mov_b32_e32 v1, v2
	s_cmp_lg_u32 s2, 0
	v_cmp_neq_f32_e64 s[0:1], s8, 1.0
	s_cselect_b64 s[2:3], -1, 0
	s_waitcnt lgkmcnt(0)
	s_and_b32 s33, s6, 0xffff
	v_mov_b32_e32 v18, v1
	s_or_b64 s[24:25], s[0:1], s[2:3]
	v_lshlrev_b32_e32 v19, 5, v0
	s_lshl_b32 s40, s33, 5
	s_mov_b64 s[26:27], 0
	s_mov_b64 s[28:29], s[14:15]
	;; [unrolled: 1-line block ×4, first 2 shown]
	v_mov_b32_e32 v17, v0
	s_branch .LBB63_5
.LBB63_3:                               ;   in Loop: Header=BB63_5 Depth=1
	s_or_b64 exec, exec, s[0:1]
.LBB63_4:                               ;   in Loop: Header=BB63_5 Depth=1
	v_mov_b32_e32 v10, s35
	v_add_co_u32_e32 v9, vcc, s34, v19
	v_addc_co_u32_e32 v10, vcc, 0, v10, vcc
	v_add_co_u32_e32 v17, vcc, s33, v17
	s_add_u32 s34, s34, s40
	s_waitcnt vmcnt(0)
	v_add_f32_e32 v7, v7, v23
	v_add_f32_e32 v8, v8, v22
	;; [unrolled: 1-line block ×4, first 2 shown]
	v_addc_co_u32_e32 v18, vcc, 0, v18, vcc
	s_addc_u32 s35, s35, 0
	global_store_dwordx4 v[9:10], v[5:8], off
	s_add_u32 s30, s30, s40
	v_lshlrev_b64 v[5:6], 2, v[17:18]
	s_addc_u32 s31, s31, 0
	s_add_u32 s28, s28, s40
	v_cmp_le_i64_e32 vcc, s[18:19], v[5:6]
	s_addc_u32 s29, s29, 0
	v_add_f32_e32 v1, v1, v14
	v_add_f32_e32 v2, v2, v13
	;; [unrolled: 1-line block ×4, first 2 shown]
	s_or_b64 s[26:27], vcc, s[26:27]
	global_store_dwordx4 v[9:10], v[1:4], off offset:16
	s_andn2_b64 exec, exec, s[26:27]
	s_cbranch_execz .LBB63_84
.LBB63_5:                               ; =>This Inner Loop Header: Depth=1
	v_mov_b32_e32 v2, s29
	v_add_co_u32_e32 v1, vcc, s28, v19
	v_addc_co_u32_e32 v2, vcc, 0, v2, vcc
	global_load_dwordx4 v[9:12], v[1:2], off offset:16
	global_load_dwordx4 v[13:16], v[1:2], off
	v_mov_b32_e32 v1, s31
	v_add_co_u32_e32 v20, vcc, s30, v19
	v_addc_co_u32_e32 v21, vcc, 0, v1, vcc
	global_load_dwordx4 v[1:4], v[20:21], off offset:16
	global_load_dwordx4 v[5:8], v[20:21], off
	s_mov_b64 s[2:3], -1
	s_and_b64 vcc, exec, s[24:25]
                                        ; implicit-def: $vgpr21
                                        ; implicit-def: $vgpr20
	s_waitcnt vmcnt(2)
	v_cmp_gt_f32_e64 s[0:1], 0, v13
	v_cndmask_b32_e64 v23, v13, -v13, s[0:1]
	v_cmp_gt_f32_e64 s[0:1], 0, v14
	v_cndmask_b32_e64 v22, v14, -v14, s[0:1]
	v_cmp_ge_f32_e64 s[0:1], v23, v22
	s_cbranch_vccz .LBB63_15
; %bb.6:                                ;   in Loop: Header=BB63_5 Depth=1
                                        ; implicit-def: $vgpr21
                                        ; implicit-def: $vgpr24
	s_and_saveexec_b64 s[2:3], s[0:1]
	s_xor_b64 s[6:7], exec, s[2:3]
	s_cbranch_execz .LBB63_12
; %bb.7:                                ;   in Loop: Header=BB63_5 Depth=1
	v_cmp_neq_f32_e32 vcc, 0, v13
	v_cmp_neq_f32_e64 s[2:3], 0, v14
	s_or_b64 s[2:3], vcc, s[2:3]
                                        ; implicit-def: $vgpr21
                                        ; implicit-def: $vgpr24
	s_and_saveexec_b64 s[36:37], s[2:3]
	s_xor_b64 s[2:3], exec, s[36:37]
	s_cbranch_execz .LBB63_9
; %bb.8:                                ;   in Loop: Header=BB63_5 Depth=1
	v_div_scale_f32 v20, s[36:37], v13, v13, v14
	v_div_scale_f32 v21, vcc, v14, v13, v14
	v_rcp_f32_e32 v24, v20
	v_fma_f32 v25, -v20, v24, 1.0
	v_fmac_f32_e32 v24, v25, v24
	v_mul_f32_e32 v25, v21, v24
	v_fma_f32 v26, -v20, v25, v21
	v_fmac_f32_e32 v25, v26, v24
	v_fma_f32 v20, -v20, v25, v21
	v_div_fmas_f32 v20, v20, v24, v25
	v_div_fixup_f32 v20, v20, v13, v14
	v_fma_f32 v21, v14, v20, v13
	v_div_scale_f32 v24, s[36:37], v21, v21, 1.0
	v_div_scale_f32 v25, vcc, 1.0, v21, 1.0
	v_rcp_f32_e32 v26, v24
	v_fma_f32 v27, -v24, v26, 1.0
	v_fmac_f32_e32 v26, v27, v26
	v_mul_f32_e32 v27, v25, v26
	v_fma_f32 v28, -v24, v27, v25
	v_fmac_f32_e32 v27, v28, v26
	v_fma_f32 v24, -v24, v27, v25
	v_div_fmas_f32 v24, v24, v26, v27
	v_mov_b32_e32 v25, s12
	v_mov_b32_e32 v26, s13
	v_fma_f32 v25, s13, v20, v25
	v_fma_f32 v20, -v20, s12, v26
	v_div_fixup_f32 v21, v24, v21, 1.0
	v_mul_f32_e32 v24, v25, v21
	v_mul_f32_e32 v21, v20, v21
.LBB63_9:                               ;   in Loop: Header=BB63_5 Depth=1
	s_andn2_saveexec_b64 s[2:3], s[2:3]
	s_cbranch_execz .LBB63_11
; %bb.10:                               ;   in Loop: Header=BB63_5 Depth=1
	v_div_scale_f32 v20, s[36:37], v23, v23, s12
	v_rcp_f32_e32 v21, v20
	v_fma_f32 v24, -v20, v21, 1.0
	v_fmac_f32_e32 v21, v24, v21
	v_div_scale_f32 v24, vcc, s12, v23, s12
	v_mul_f32_e32 v25, v24, v21
	v_fma_f32 v26, -v20, v25, v24
	v_fmac_f32_e32 v25, v26, v21
	v_fma_f32 v20, -v20, v25, v24
	v_div_fmas_f32 v20, v20, v21, v25
	v_div_fixup_f32 v24, v20, v23, s12
	v_div_scale_f32 v20, s[36:37], v22, v22, s13
	v_rcp_f32_e32 v21, v20
	v_fma_f32 v25, -v20, v21, 1.0
	v_fmac_f32_e32 v21, v25, v21
	v_div_scale_f32 v25, vcc, s13, v22, s13
	v_mul_f32_e32 v26, v25, v21
	v_fma_f32 v27, -v20, v26, v25
	v_fmac_f32_e32 v26, v27, v21
	v_fma_f32 v20, -v20, v26, v25
	v_div_fmas_f32 v20, v20, v21, v26
	v_div_fixup_f32 v21, v20, v22, s13
.LBB63_11:                              ;   in Loop: Header=BB63_5 Depth=1
	s_or_b64 exec, exec, s[2:3]
.LBB63_12:                              ;   in Loop: Header=BB63_5 Depth=1
	s_andn2_saveexec_b64 s[2:3], s[6:7]
	s_cbranch_execz .LBB63_14
; %bb.13:                               ;   in Loop: Header=BB63_5 Depth=1
	v_div_scale_f32 v20, s[6:7], v14, v14, v13
	v_div_scale_f32 v21, vcc, v13, v14, v13
	v_rcp_f32_e32 v24, v20
	v_fma_f32 v25, -v20, v24, 1.0
	v_fmac_f32_e32 v24, v25, v24
	v_mul_f32_e32 v25, v21, v24
	v_fma_f32 v26, -v20, v25, v21
	v_fmac_f32_e32 v25, v26, v24
	v_fma_f32 v20, -v20, v25, v21
	v_div_fmas_f32 v20, v20, v24, v25
	v_div_fixup_f32 v20, v20, v14, v13
	v_fma_f32 v21, v13, v20, v14
	v_div_scale_f32 v24, s[6:7], v21, v21, 1.0
	v_div_scale_f32 v25, vcc, 1.0, v21, 1.0
	v_rcp_f32_e32 v26, v24
	v_fma_f32 v27, -v24, v26, 1.0
	v_fmac_f32_e32 v26, v27, v26
	v_mul_f32_e32 v27, v25, v26
	v_fma_f32 v28, -v24, v27, v25
	v_fmac_f32_e32 v27, v28, v26
	v_fma_f32 v24, -v24, v27, v25
	v_div_fmas_f32 v24, v24, v26, v27
	v_mov_b32_e32 v25, s13
	v_mov_b32_e32 v26, s12
	v_fma_f32 v25, s12, v20, v25
	v_fma_f32 v20, v20, s13, -v26
	v_div_fixup_f32 v21, v24, v21, 1.0
	v_mul_f32_e32 v24, v25, v21
	v_mul_f32_e32 v21, v20, v21
.LBB63_14:                              ;   in Loop: Header=BB63_5 Depth=1
	s_or_b64 exec, exec, s[2:3]
	v_mul_f32_e32 v20, s9, v21
	v_mul_f32_e32 v21, s8, v21
	v_fma_f32 v20, v24, s8, -v20
	v_fmac_f32_e32 v21, s9, v24
	s_mov_b64 s[2:3], 0
.LBB63_15:                              ;   in Loop: Header=BB63_5 Depth=1
	s_and_b64 vcc, exec, s[2:3]
	s_cbranch_vccz .LBB63_25
; %bb.16:                               ;   in Loop: Header=BB63_5 Depth=1
                                        ; implicit-def: $vgpr21
                                        ; implicit-def: $vgpr20
	s_and_saveexec_b64 s[2:3], s[0:1]
	s_xor_b64 s[2:3], exec, s[2:3]
	s_cbranch_execz .LBB63_22
; %bb.17:                               ;   in Loop: Header=BB63_5 Depth=1
	v_cmp_neq_f32_e32 vcc, 0, v13
	v_cmp_neq_f32_e64 s[0:1], 0, v14
	s_or_b64 s[0:1], vcc, s[0:1]
                                        ; implicit-def: $vgpr21
                                        ; implicit-def: $vgpr20
	s_and_saveexec_b64 s[6:7], s[0:1]
	s_xor_b64 s[0:1], exec, s[6:7]
	s_cbranch_execz .LBB63_19
; %bb.18:                               ;   in Loop: Header=BB63_5 Depth=1
	v_div_scale_f32 v20, s[6:7], v13, v13, v14
	v_div_scale_f32 v21, vcc, v14, v13, v14
	v_rcp_f32_e32 v22, v20
	v_fma_f32 v23, -v20, v22, 1.0
	v_fmac_f32_e32 v22, v23, v22
	v_mul_f32_e32 v23, v21, v22
	v_fma_f32 v24, -v20, v23, v21
	v_fmac_f32_e32 v23, v24, v22
	v_fma_f32 v20, -v20, v23, v21
	v_div_fmas_f32 v20, v20, v22, v23
	v_div_fixup_f32 v20, v20, v13, v14
	v_fma_f32 v21, v14, v20, v13
	v_div_scale_f32 v22, s[6:7], v21, v21, 1.0
	v_div_scale_f32 v23, vcc, 1.0, v21, 1.0
	v_rcp_f32_e32 v24, v22
	v_fma_f32 v25, -v22, v24, 1.0
	v_fmac_f32_e32 v24, v25, v24
	v_mul_f32_e32 v25, v23, v24
	v_fma_f32 v26, -v22, v25, v23
	v_fmac_f32_e32 v25, v26, v24
	v_fma_f32 v22, -v22, v25, v23
	v_div_fmas_f32 v22, v22, v24, v25
	v_mov_b32_e32 v23, s12
	v_mov_b32_e32 v24, s13
	v_fma_f32 v23, s13, v20, v23
	v_fma_f32 v24, -v20, s12, v24
	v_div_fixup_f32 v21, v22, v21, 1.0
	v_mul_f32_e32 v20, v23, v21
	v_mul_f32_e32 v21, v24, v21
                                        ; implicit-def: $vgpr23
                                        ; implicit-def: $vgpr22
.LBB63_19:                              ;   in Loop: Header=BB63_5 Depth=1
	s_andn2_saveexec_b64 s[0:1], s[0:1]
	s_cbranch_execz .LBB63_21
; %bb.20:                               ;   in Loop: Header=BB63_5 Depth=1
	v_div_scale_f32 v20, s[6:7], v23, v23, s12
	v_rcp_f32_e32 v21, v20
	v_fma_f32 v24, -v20, v21, 1.0
	v_fmac_f32_e32 v21, v24, v21
	v_div_scale_f32 v24, vcc, s12, v23, s12
	v_mul_f32_e32 v25, v24, v21
	v_fma_f32 v26, -v20, v25, v24
	v_fmac_f32_e32 v25, v26, v21
	v_fma_f32 v20, -v20, v25, v24
	v_div_fmas_f32 v20, v20, v21, v25
	v_div_scale_f32 v21, s[6:7], v22, v22, s13
	v_div_fixup_f32 v20, v20, v23, s12
	v_rcp_f32_e32 v23, v21
	v_fma_f32 v24, -v21, v23, 1.0
	v_fmac_f32_e32 v23, v24, v23
	v_div_scale_f32 v24, vcc, s13, v22, s13
	v_mul_f32_e32 v25, v24, v23
	v_fma_f32 v26, -v21, v25, v24
	v_fmac_f32_e32 v25, v26, v23
	v_fma_f32 v21, -v21, v25, v24
	v_div_fmas_f32 v21, v21, v23, v25
	v_div_fixup_f32 v21, v21, v22, s13
.LBB63_21:                              ;   in Loop: Header=BB63_5 Depth=1
	s_or_b64 exec, exec, s[0:1]
.LBB63_22:                              ;   in Loop: Header=BB63_5 Depth=1
	s_andn2_saveexec_b64 s[0:1], s[2:3]
	s_cbranch_execz .LBB63_24
; %bb.23:                               ;   in Loop: Header=BB63_5 Depth=1
	v_div_scale_f32 v20, s[2:3], v14, v14, v13
	v_div_scale_f32 v21, vcc, v13, v14, v13
	v_rcp_f32_e32 v22, v20
	v_fma_f32 v23, -v20, v22, 1.0
	v_fmac_f32_e32 v22, v23, v22
	v_mul_f32_e32 v23, v21, v22
	v_fma_f32 v24, -v20, v23, v21
	v_fmac_f32_e32 v23, v24, v22
	v_fma_f32 v20, -v20, v23, v21
	v_div_fmas_f32 v20, v20, v22, v23
	v_div_fixup_f32 v20, v20, v14, v13
	v_fma_f32 v13, v13, v20, v14
	v_div_scale_f32 v14, s[2:3], v13, v13, 1.0
	v_div_scale_f32 v21, vcc, 1.0, v13, 1.0
	v_rcp_f32_e32 v22, v14
	v_fma_f32 v23, -v14, v22, 1.0
	v_fmac_f32_e32 v22, v23, v22
	v_mul_f32_e32 v23, v21, v22
	v_fma_f32 v24, -v14, v23, v21
	v_fmac_f32_e32 v23, v24, v22
	v_fma_f32 v14, -v14, v23, v21
	v_div_fmas_f32 v14, v14, v22, v23
	v_mov_b32_e32 v21, s13
	v_mov_b32_e32 v22, s12
	v_fma_f32 v21, s12, v20, v21
	v_fma_f32 v22, v20, s13, -v22
	v_div_fixup_f32 v13, v14, v13, 1.0
	v_mul_f32_e32 v20, v21, v13
	v_mul_f32_e32 v21, v22, v13
.LBB63_24:                              ;   in Loop: Header=BB63_5 Depth=1
	s_or_b64 exec, exec, s[0:1]
.LBB63_25:                              ;   in Loop: Header=BB63_5 Depth=1
	v_cmp_gt_f32_e32 vcc, 0, v15
	v_cndmask_b32_e64 v13, v15, -v15, vcc
	v_cmp_gt_f32_e32 vcc, 0, v16
	v_cndmask_b32_e64 v14, v16, -v16, vcc
	v_cndmask_b32_e64 v22, 0, 1, s[24:25]
	v_cmp_ge_f32_e64 s[2:3], v13, v14
	v_cmp_ne_u32_e64 s[0:1], 1, v22
	s_andn2_b64 vcc, exec, s[24:25]
	s_mov_b64 s[6:7], -1
                                        ; implicit-def: $vgpr22
                                        ; implicit-def: $vgpr23
	s_cbranch_vccnz .LBB63_35
; %bb.26:                               ;   in Loop: Header=BB63_5 Depth=1
                                        ; implicit-def: $vgpr22
                                        ; implicit-def: $vgpr24
	s_and_saveexec_b64 s[6:7], s[2:3]
	s_xor_b64 s[36:37], exec, s[6:7]
	s_cbranch_execz .LBB63_32
; %bb.27:                               ;   in Loop: Header=BB63_5 Depth=1
	v_cmp_neq_f32_e32 vcc, 0, v15
	v_cmp_neq_f32_e64 s[6:7], 0, v16
	s_or_b64 s[6:7], vcc, s[6:7]
                                        ; implicit-def: $vgpr22
                                        ; implicit-def: $vgpr24
	s_and_saveexec_b64 s[38:39], s[6:7]
	s_xor_b64 s[6:7], exec, s[38:39]
	s_cbranch_execz .LBB63_29
; %bb.28:                               ;   in Loop: Header=BB63_5 Depth=1
	v_div_scale_f32 v22, s[38:39], v15, v15, v16
	v_div_scale_f32 v23, vcc, v16, v15, v16
	v_rcp_f32_e32 v24, v22
	v_fma_f32 v25, -v22, v24, 1.0
	v_fmac_f32_e32 v24, v25, v24
	v_mul_f32_e32 v25, v23, v24
	v_fma_f32 v26, -v22, v25, v23
	v_fmac_f32_e32 v25, v26, v24
	v_fma_f32 v22, -v22, v25, v23
	v_div_fmas_f32 v22, v22, v24, v25
	v_div_fixup_f32 v22, v22, v15, v16
	v_fma_f32 v23, v16, v22, v15
	v_div_scale_f32 v24, s[38:39], v23, v23, 1.0
	v_div_scale_f32 v25, vcc, 1.0, v23, 1.0
	v_rcp_f32_e32 v26, v24
	v_fma_f32 v27, -v24, v26, 1.0
	v_fmac_f32_e32 v26, v27, v26
	v_mul_f32_e32 v27, v25, v26
	v_fma_f32 v28, -v24, v27, v25
	v_fmac_f32_e32 v27, v28, v26
	v_fma_f32 v24, -v24, v27, v25
	v_div_fmas_f32 v24, v24, v26, v27
	v_mov_b32_e32 v25, s12
	v_mov_b32_e32 v26, s13
	v_fma_f32 v25, s13, v22, v25
	v_fma_f32 v22, -v22, s12, v26
	v_div_fixup_f32 v23, v24, v23, 1.0
	v_mul_f32_e32 v24, v25, v23
	v_mul_f32_e32 v22, v22, v23
.LBB63_29:                              ;   in Loop: Header=BB63_5 Depth=1
	s_andn2_saveexec_b64 s[38:39], s[6:7]
	s_cbranch_execz .LBB63_31
; %bb.30:                               ;   in Loop: Header=BB63_5 Depth=1
	v_div_scale_f32 v22, s[6:7], v13, v13, s12
	v_div_scale_f32 v23, s[6:7], v14, v14, s13
	v_div_scale_f32 v24, vcc, s12, v13, s12
	v_div_scale_f32 v25, s[6:7], s13, v14, s13
	v_rcp_f32_e32 v26, v22
	v_rcp_f32_e32 v27, v23
	v_fma_f32 v28, -v22, v26, 1.0
	v_fmac_f32_e32 v26, v28, v26
	v_fma_f32 v29, -v23, v27, 1.0
	v_fmac_f32_e32 v27, v29, v27
	v_mul_f32_e32 v28, v24, v26
	v_mul_f32_e32 v29, v25, v27
	v_fma_f32 v30, -v22, v28, v24
	v_fma_f32 v31, -v23, v29, v25
	v_fmac_f32_e32 v28, v30, v26
	v_fmac_f32_e32 v29, v31, v27
	v_fma_f32 v22, -v22, v28, v24
	v_fma_f32 v23, -v23, v29, v25
	v_div_fmas_f32 v22, v22, v26, v28
	s_mov_b64 vcc, s[6:7]
	v_div_fmas_f32 v23, v23, v27, v29
	v_div_fixup_f32 v24, v22, v13, s12
	v_div_fixup_f32 v22, v23, v14, s13
.LBB63_31:                              ;   in Loop: Header=BB63_5 Depth=1
	s_or_b64 exec, exec, s[38:39]
.LBB63_32:                              ;   in Loop: Header=BB63_5 Depth=1
	s_andn2_saveexec_b64 s[6:7], s[36:37]
	s_cbranch_execz .LBB63_34
; %bb.33:                               ;   in Loop: Header=BB63_5 Depth=1
	v_div_scale_f32 v22, s[36:37], v16, v16, v15
	v_div_scale_f32 v23, vcc, v15, v16, v15
	v_rcp_f32_e32 v24, v22
	v_fma_f32 v25, -v22, v24, 1.0
	v_fmac_f32_e32 v24, v25, v24
	v_mul_f32_e32 v25, v23, v24
	v_fma_f32 v26, -v22, v25, v23
	v_fmac_f32_e32 v25, v26, v24
	v_fma_f32 v22, -v22, v25, v23
	v_div_fmas_f32 v22, v22, v24, v25
	v_div_fixup_f32 v22, v22, v16, v15
	v_fma_f32 v23, v15, v22, v16
	v_div_scale_f32 v24, s[36:37], v23, v23, 1.0
	v_div_scale_f32 v25, vcc, 1.0, v23, 1.0
	v_rcp_f32_e32 v26, v24
	v_fma_f32 v27, -v24, v26, 1.0
	v_fmac_f32_e32 v26, v27, v26
	v_mul_f32_e32 v27, v25, v26
	v_fma_f32 v28, -v24, v27, v25
	v_fmac_f32_e32 v27, v28, v26
	v_fma_f32 v24, -v24, v27, v25
	v_div_fmas_f32 v24, v24, v26, v27
	v_mov_b32_e32 v25, s13
	v_mov_b32_e32 v26, s12
	v_fma_f32 v25, s12, v22, v25
	v_fma_f32 v22, v22, s13, -v26
	v_div_fixup_f32 v23, v24, v23, 1.0
	v_mul_f32_e32 v24, v25, v23
	v_mul_f32_e32 v22, v22, v23
.LBB63_34:                              ;   in Loop: Header=BB63_5 Depth=1
	s_or_b64 exec, exec, s[6:7]
	v_mul_f32_e32 v23, s9, v22
	v_mul_f32_e32 v22, s8, v22
	v_fma_f32 v23, v24, s8, -v23
	v_fmac_f32_e32 v22, s9, v24
	s_mov_b64 s[6:7], 0
.LBB63_35:                              ;   in Loop: Header=BB63_5 Depth=1
	s_and_b64 vcc, exec, s[6:7]
	s_cbranch_vccz .LBB63_45
; %bb.36:                               ;   in Loop: Header=BB63_5 Depth=1
                                        ; implicit-def: $vgpr22
                                        ; implicit-def: $vgpr23
	s_and_saveexec_b64 s[6:7], s[2:3]
	s_xor_b64 s[6:7], exec, s[6:7]
	s_cbranch_execz .LBB63_42
; %bb.37:                               ;   in Loop: Header=BB63_5 Depth=1
	v_cmp_neq_f32_e32 vcc, 0, v15
	v_cmp_neq_f32_e64 s[2:3], 0, v16
	s_or_b64 s[2:3], vcc, s[2:3]
                                        ; implicit-def: $vgpr22
                                        ; implicit-def: $vgpr23
	s_and_saveexec_b64 s[36:37], s[2:3]
	s_xor_b64 s[2:3], exec, s[36:37]
	s_cbranch_execz .LBB63_39
; %bb.38:                               ;   in Loop: Header=BB63_5 Depth=1
	v_div_scale_f32 v13, s[36:37], v15, v15, v16
	v_div_scale_f32 v14, vcc, v16, v15, v16
	v_rcp_f32_e32 v22, v13
	v_fma_f32 v23, -v13, v22, 1.0
	v_fmac_f32_e32 v22, v23, v22
	v_mul_f32_e32 v23, v14, v22
	v_fma_f32 v24, -v13, v23, v14
	v_fmac_f32_e32 v23, v24, v22
	v_fma_f32 v13, -v13, v23, v14
	v_div_fmas_f32 v13, v13, v22, v23
	v_div_fixup_f32 v13, v13, v15, v16
	v_fmac_f32_e32 v15, v16, v13
	v_div_scale_f32 v14, s[36:37], v15, v15, 1.0
	v_div_scale_f32 v16, vcc, 1.0, v15, 1.0
	v_rcp_f32_e32 v22, v14
	v_fma_f32 v23, -v14, v22, 1.0
	v_fmac_f32_e32 v22, v23, v22
	v_mul_f32_e32 v23, v16, v22
	v_fma_f32 v24, -v14, v23, v16
	v_fmac_f32_e32 v23, v24, v22
	v_fma_f32 v14, -v14, v23, v16
	v_div_fmas_f32 v14, v14, v22, v23
	v_mov_b32_e32 v16, s12
	v_mov_b32_e32 v22, s13
	v_fma_f32 v16, s13, v13, v16
	v_fma_f32 v13, -v13, s12, v22
	v_div_fixup_f32 v14, v14, v15, 1.0
	v_mul_f32_e32 v23, v16, v14
	v_mul_f32_e32 v22, v13, v14
                                        ; implicit-def: $vgpr13
                                        ; implicit-def: $vgpr14
.LBB63_39:                              ;   in Loop: Header=BB63_5 Depth=1
	s_andn2_saveexec_b64 s[36:37], s[2:3]
	s_cbranch_execz .LBB63_41
; %bb.40:                               ;   in Loop: Header=BB63_5 Depth=1
	v_div_scale_f32 v15, s[2:3], v13, v13, s12
	v_div_scale_f32 v16, s[2:3], v14, v14, s13
	v_div_scale_f32 v22, vcc, s12, v13, s12
	v_div_scale_f32 v23, s[2:3], s13, v14, s13
	v_rcp_f32_e32 v24, v15
	v_rcp_f32_e32 v25, v16
	v_fma_f32 v26, -v15, v24, 1.0
	v_fmac_f32_e32 v24, v26, v24
	v_fma_f32 v27, -v16, v25, 1.0
	v_fmac_f32_e32 v25, v27, v25
	v_mul_f32_e32 v26, v22, v24
	v_mul_f32_e32 v27, v23, v25
	v_fma_f32 v28, -v15, v26, v22
	v_fma_f32 v29, -v16, v27, v23
	v_fmac_f32_e32 v26, v28, v24
	v_fmac_f32_e32 v27, v29, v25
	v_fma_f32 v15, -v15, v26, v22
	v_fma_f32 v16, -v16, v27, v23
	v_div_fmas_f32 v15, v15, v24, v26
	s_mov_b64 vcc, s[2:3]
	v_div_fmas_f32 v16, v16, v25, v27
	v_div_fixup_f32 v23, v15, v13, s12
	v_div_fixup_f32 v22, v16, v14, s13
.LBB63_41:                              ;   in Loop: Header=BB63_5 Depth=1
	s_or_b64 exec, exec, s[36:37]
                                        ; implicit-def: $vgpr13_vgpr14_vgpr15_vgpr16
.LBB63_42:                              ;   in Loop: Header=BB63_5 Depth=1
	s_andn2_saveexec_b64 s[2:3], s[6:7]
	s_cbranch_execz .LBB63_44
; %bb.43:                               ;   in Loop: Header=BB63_5 Depth=1
	v_div_scale_f32 v13, s[6:7], v16, v16, v15
	v_div_scale_f32 v14, vcc, v15, v16, v15
	v_rcp_f32_e32 v22, v13
	v_fma_f32 v23, -v13, v22, 1.0
	v_fmac_f32_e32 v22, v23, v22
	v_mul_f32_e32 v23, v14, v22
	v_fma_f32 v24, -v13, v23, v14
	v_fmac_f32_e32 v23, v24, v22
	v_fma_f32 v13, -v13, v23, v14
	v_div_fmas_f32 v13, v13, v22, v23
	v_div_fixup_f32 v13, v13, v16, v15
	v_fmac_f32_e32 v16, v15, v13
	v_div_scale_f32 v14, s[6:7], v16, v16, 1.0
	v_div_scale_f32 v15, vcc, 1.0, v16, 1.0
	v_rcp_f32_e32 v22, v14
	v_fma_f32 v23, -v14, v22, 1.0
	v_fmac_f32_e32 v22, v23, v22
	v_mul_f32_e32 v23, v15, v22
	v_fma_f32 v24, -v14, v23, v15
	v_fmac_f32_e32 v23, v24, v22
	v_fma_f32 v14, -v14, v23, v15
	v_div_fmas_f32 v14, v14, v22, v23
	v_mov_b32_e32 v15, s13
	v_mov_b32_e32 v22, s12
	v_fma_f32 v15, s12, v13, v15
	v_fma_f32 v13, v13, s13, -v22
	v_div_fixup_f32 v14, v14, v16, 1.0
	v_mul_f32_e32 v23, v15, v14
	v_mul_f32_e32 v22, v13, v14
.LBB63_44:                              ;   in Loop: Header=BB63_5 Depth=1
	s_or_b64 exec, exec, s[2:3]
.LBB63_45:                              ;   in Loop: Header=BB63_5 Depth=1
	v_cmp_gt_f32_e32 vcc, 0, v9
	v_cndmask_b32_e64 v15, v9, -v9, vcc
	v_cmp_gt_f32_e32 vcc, 0, v10
	v_cndmask_b32_e64 v16, v10, -v10, vcc
	v_cmp_ge_f32_e64 s[2:3], v15, v16
	s_and_b64 vcc, exec, s[0:1]
	s_mov_b64 s[6:7], -1
                                        ; implicit-def: $vgpr13
                                        ; implicit-def: $vgpr14
	s_cbranch_vccnz .LBB63_55
; %bb.46:                               ;   in Loop: Header=BB63_5 Depth=1
                                        ; implicit-def: $vgpr13
                                        ; implicit-def: $vgpr24
	s_and_saveexec_b64 s[6:7], s[2:3]
	s_xor_b64 s[36:37], exec, s[6:7]
	s_cbranch_execz .LBB63_52
; %bb.47:                               ;   in Loop: Header=BB63_5 Depth=1
	v_cmp_neq_f32_e32 vcc, 0, v9
	v_cmp_neq_f32_e64 s[6:7], 0, v10
	s_or_b64 s[6:7], vcc, s[6:7]
                                        ; implicit-def: $vgpr13
                                        ; implicit-def: $vgpr24
	s_and_saveexec_b64 s[38:39], s[6:7]
	s_xor_b64 s[6:7], exec, s[38:39]
	s_cbranch_execz .LBB63_49
; %bb.48:                               ;   in Loop: Header=BB63_5 Depth=1
	v_div_scale_f32 v13, s[38:39], v9, v9, v10
	v_div_scale_f32 v14, vcc, v10, v9, v10
	v_rcp_f32_e32 v24, v13
	v_fma_f32 v25, -v13, v24, 1.0
	v_fmac_f32_e32 v24, v25, v24
	v_mul_f32_e32 v25, v14, v24
	v_fma_f32 v26, -v13, v25, v14
	v_fmac_f32_e32 v25, v26, v24
	v_fma_f32 v13, -v13, v25, v14
	v_div_fmas_f32 v13, v13, v24, v25
	v_div_fixup_f32 v13, v13, v9, v10
	v_fma_f32 v14, v10, v13, v9
	v_div_scale_f32 v24, s[38:39], v14, v14, 1.0
	v_div_scale_f32 v25, vcc, 1.0, v14, 1.0
	v_rcp_f32_e32 v26, v24
	v_fma_f32 v27, -v24, v26, 1.0
	v_fmac_f32_e32 v26, v27, v26
	v_mul_f32_e32 v27, v25, v26
	v_fma_f32 v28, -v24, v27, v25
	v_fmac_f32_e32 v27, v28, v26
	v_fma_f32 v24, -v24, v27, v25
	v_div_fmas_f32 v24, v24, v26, v27
	v_mov_b32_e32 v25, s12
	v_mov_b32_e32 v26, s13
	v_fma_f32 v25, s13, v13, v25
	v_fma_f32 v13, -v13, s12, v26
	v_div_fixup_f32 v14, v24, v14, 1.0
	v_mul_f32_e32 v24, v25, v14
	v_mul_f32_e32 v13, v13, v14
.LBB63_49:                              ;   in Loop: Header=BB63_5 Depth=1
	s_andn2_saveexec_b64 s[38:39], s[6:7]
	s_cbranch_execz .LBB63_51
; %bb.50:                               ;   in Loop: Header=BB63_5 Depth=1
	v_div_scale_f32 v13, s[6:7], v15, v15, s12
	v_div_scale_f32 v14, s[6:7], v16, v16, s13
	v_div_scale_f32 v24, vcc, s12, v15, s12
	v_div_scale_f32 v25, s[6:7], s13, v16, s13
	v_rcp_f32_e32 v26, v13
	v_rcp_f32_e32 v27, v14
	v_fma_f32 v28, -v13, v26, 1.0
	v_fmac_f32_e32 v26, v28, v26
	v_fma_f32 v29, -v14, v27, 1.0
	v_fmac_f32_e32 v27, v29, v27
	v_mul_f32_e32 v28, v24, v26
	v_mul_f32_e32 v29, v25, v27
	v_fma_f32 v30, -v13, v28, v24
	v_fma_f32 v31, -v14, v29, v25
	v_fmac_f32_e32 v28, v30, v26
	v_fmac_f32_e32 v29, v31, v27
	v_fma_f32 v13, -v13, v28, v24
	v_fma_f32 v14, -v14, v29, v25
	v_div_fmas_f32 v13, v13, v26, v28
	s_mov_b64 vcc, s[6:7]
	v_div_fmas_f32 v14, v14, v27, v29
	v_div_fixup_f32 v24, v13, v15, s12
	v_div_fixup_f32 v13, v14, v16, s13
.LBB63_51:                              ;   in Loop: Header=BB63_5 Depth=1
	s_or_b64 exec, exec, s[38:39]
.LBB63_52:                              ;   in Loop: Header=BB63_5 Depth=1
	s_andn2_saveexec_b64 s[6:7], s[36:37]
	s_cbranch_execz .LBB63_54
; %bb.53:                               ;   in Loop: Header=BB63_5 Depth=1
	v_div_scale_f32 v13, s[36:37], v10, v10, v9
	v_div_scale_f32 v14, vcc, v9, v10, v9
	v_rcp_f32_e32 v24, v13
	v_fma_f32 v25, -v13, v24, 1.0
	v_fmac_f32_e32 v24, v25, v24
	v_mul_f32_e32 v25, v14, v24
	v_fma_f32 v26, -v13, v25, v14
	v_fmac_f32_e32 v25, v26, v24
	v_fma_f32 v13, -v13, v25, v14
	v_div_fmas_f32 v13, v13, v24, v25
	v_div_fixup_f32 v13, v13, v10, v9
	v_fma_f32 v14, v9, v13, v10
	v_div_scale_f32 v24, s[36:37], v14, v14, 1.0
	v_div_scale_f32 v25, vcc, 1.0, v14, 1.0
	v_rcp_f32_e32 v26, v24
	v_fma_f32 v27, -v24, v26, 1.0
	v_fmac_f32_e32 v26, v27, v26
	v_mul_f32_e32 v27, v25, v26
	v_fma_f32 v28, -v24, v27, v25
	v_fmac_f32_e32 v27, v28, v26
	v_fma_f32 v24, -v24, v27, v25
	v_div_fmas_f32 v24, v24, v26, v27
	v_mov_b32_e32 v25, s13
	v_mov_b32_e32 v26, s12
	v_fma_f32 v25, s12, v13, v25
	v_fma_f32 v13, v13, s13, -v26
	v_div_fixup_f32 v14, v24, v14, 1.0
	v_mul_f32_e32 v24, v25, v14
	v_mul_f32_e32 v13, v13, v14
.LBB63_54:                              ;   in Loop: Header=BB63_5 Depth=1
	s_or_b64 exec, exec, s[6:7]
	v_mul_f32_e32 v14, s9, v13
	v_mul_f32_e32 v13, s8, v13
	v_fma_f32 v14, v24, s8, -v14
	v_fmac_f32_e32 v13, s9, v24
	s_mov_b64 s[6:7], 0
.LBB63_55:                              ;   in Loop: Header=BB63_5 Depth=1
	s_and_b64 vcc, exec, s[6:7]
	s_cbranch_vccz .LBB63_65
; %bb.56:                               ;   in Loop: Header=BB63_5 Depth=1
                                        ; implicit-def: $vgpr13
                                        ; implicit-def: $vgpr14
	s_and_saveexec_b64 s[6:7], s[2:3]
	s_xor_b64 s[6:7], exec, s[6:7]
	s_cbranch_execz .LBB63_62
; %bb.57:                               ;   in Loop: Header=BB63_5 Depth=1
	v_cmp_neq_f32_e32 vcc, 0, v9
	v_cmp_neq_f32_e64 s[2:3], 0, v10
	s_or_b64 s[2:3], vcc, s[2:3]
                                        ; implicit-def: $vgpr13
                                        ; implicit-def: $vgpr14
	s_and_saveexec_b64 s[36:37], s[2:3]
	s_xor_b64 s[2:3], exec, s[36:37]
	s_cbranch_execz .LBB63_59
; %bb.58:                               ;   in Loop: Header=BB63_5 Depth=1
	v_div_scale_f32 v13, s[36:37], v9, v9, v10
	v_div_scale_f32 v14, vcc, v10, v9, v10
	v_rcp_f32_e32 v15, v13
	v_fma_f32 v16, -v13, v15, 1.0
	v_fmac_f32_e32 v15, v16, v15
	v_mul_f32_e32 v16, v14, v15
	v_fma_f32 v24, -v13, v16, v14
	v_fmac_f32_e32 v16, v24, v15
	v_fma_f32 v13, -v13, v16, v14
	v_div_fmas_f32 v13, v13, v15, v16
	v_div_fixup_f32 v13, v13, v9, v10
	v_fma_f32 v14, v10, v13, v9
	v_div_scale_f32 v15, s[36:37], v14, v14, 1.0
	v_div_scale_f32 v16, vcc, 1.0, v14, 1.0
	v_rcp_f32_e32 v24, v15
	v_fma_f32 v25, -v15, v24, 1.0
	v_fmac_f32_e32 v24, v25, v24
	v_mul_f32_e32 v25, v16, v24
	v_fma_f32 v26, -v15, v25, v16
	v_fmac_f32_e32 v25, v26, v24
	v_fma_f32 v15, -v15, v25, v16
	v_div_fmas_f32 v15, v15, v24, v25
	v_mov_b32_e32 v16, s12
	v_mov_b32_e32 v24, s13
	v_fma_f32 v16, s13, v13, v16
	v_fma_f32 v13, -v13, s12, v24
	v_div_fixup_f32 v15, v15, v14, 1.0
	v_mul_f32_e32 v14, v16, v15
	v_mul_f32_e32 v13, v13, v15
                                        ; implicit-def: $vgpr15
                                        ; implicit-def: $vgpr16
.LBB63_59:                              ;   in Loop: Header=BB63_5 Depth=1
	s_andn2_saveexec_b64 s[36:37], s[2:3]
	s_cbranch_execz .LBB63_61
; %bb.60:                               ;   in Loop: Header=BB63_5 Depth=1
	v_div_scale_f32 v13, s[2:3], v15, v15, s12
	v_div_scale_f32 v14, s[2:3], v16, v16, s13
	v_div_scale_f32 v24, vcc, s12, v15, s12
	v_div_scale_f32 v25, s[2:3], s13, v16, s13
	v_rcp_f32_e32 v26, v13
	v_rcp_f32_e32 v27, v14
	v_fma_f32 v28, -v13, v26, 1.0
	v_fmac_f32_e32 v26, v28, v26
	v_fma_f32 v29, -v14, v27, 1.0
	v_fmac_f32_e32 v27, v29, v27
	v_mul_f32_e32 v28, v24, v26
	v_mul_f32_e32 v29, v25, v27
	v_fma_f32 v30, -v13, v28, v24
	v_fma_f32 v31, -v14, v29, v25
	v_fmac_f32_e32 v28, v30, v26
	v_fmac_f32_e32 v29, v31, v27
	v_fma_f32 v13, -v13, v28, v24
	v_fma_f32 v14, -v14, v29, v25
	v_div_fmas_f32 v13, v13, v26, v28
	s_mov_b64 vcc, s[2:3]
	v_div_fmas_f32 v24, v14, v27, v29
	v_div_fixup_f32 v14, v13, v15, s12
	v_div_fixup_f32 v13, v24, v16, s13
.LBB63_61:                              ;   in Loop: Header=BB63_5 Depth=1
	s_or_b64 exec, exec, s[36:37]
.LBB63_62:                              ;   in Loop: Header=BB63_5 Depth=1
	s_andn2_saveexec_b64 s[2:3], s[6:7]
	s_cbranch_execz .LBB63_64
; %bb.63:                               ;   in Loop: Header=BB63_5 Depth=1
	v_div_scale_f32 v13, s[6:7], v10, v10, v9
	v_div_scale_f32 v14, vcc, v9, v10, v9
	v_rcp_f32_e32 v15, v13
	v_fma_f32 v16, -v13, v15, 1.0
	v_fmac_f32_e32 v15, v16, v15
	v_mul_f32_e32 v16, v14, v15
	v_fma_f32 v24, -v13, v16, v14
	v_fmac_f32_e32 v16, v24, v15
	v_fma_f32 v13, -v13, v16, v14
	v_div_fmas_f32 v13, v13, v15, v16
	v_div_fixup_f32 v13, v13, v10, v9
	v_fma_f32 v9, v9, v13, v10
	v_div_scale_f32 v10, s[6:7], v9, v9, 1.0
	v_div_scale_f32 v14, vcc, 1.0, v9, 1.0
	v_rcp_f32_e32 v15, v10
	v_fma_f32 v16, -v10, v15, 1.0
	v_fmac_f32_e32 v15, v16, v15
	v_mul_f32_e32 v16, v14, v15
	v_fma_f32 v24, -v10, v16, v14
	v_fmac_f32_e32 v16, v24, v15
	v_fma_f32 v10, -v10, v16, v14
	v_div_fmas_f32 v10, v10, v15, v16
	v_mov_b32_e32 v14, s13
	v_mov_b32_e32 v15, s12
	v_fma_f32 v14, s12, v13, v14
	v_fma_f32 v13, v13, s13, -v15
	v_div_fixup_f32 v9, v10, v9, 1.0
	v_mul_f32_e32 v14, v14, v9
	v_mul_f32_e32 v13, v13, v9
.LBB63_64:                              ;   in Loop: Header=BB63_5 Depth=1
	s_or_b64 exec, exec, s[2:3]
.LBB63_65:                              ;   in Loop: Header=BB63_5 Depth=1
	v_cmp_gt_f32_e32 vcc, 0, v11
	v_cndmask_b32_e64 v9, v11, -v11, vcc
	v_cmp_gt_f32_e32 vcc, 0, v12
	v_cndmask_b32_e64 v10, v12, -v12, vcc
	v_cmp_ge_f32_e64 s[2:3], v9, v10
	s_and_b64 vcc, exec, s[0:1]
	s_mov_b64 s[0:1], -1
                                        ; implicit-def: $vgpr15
                                        ; implicit-def: $vgpr16
	s_cbranch_vccnz .LBB63_75
; %bb.66:                               ;   in Loop: Header=BB63_5 Depth=1
                                        ; implicit-def: $vgpr15
                                        ; implicit-def: $vgpr24
	s_and_saveexec_b64 s[0:1], s[2:3]
	s_xor_b64 s[6:7], exec, s[0:1]
	s_cbranch_execz .LBB63_72
; %bb.67:                               ;   in Loop: Header=BB63_5 Depth=1
	v_cmp_neq_f32_e32 vcc, 0, v11
	v_cmp_neq_f32_e64 s[0:1], 0, v12
	s_or_b64 s[0:1], vcc, s[0:1]
                                        ; implicit-def: $vgpr15
                                        ; implicit-def: $vgpr24
	s_and_saveexec_b64 s[36:37], s[0:1]
	s_xor_b64 s[0:1], exec, s[36:37]
	s_cbranch_execz .LBB63_69
; %bb.68:                               ;   in Loop: Header=BB63_5 Depth=1
	v_div_scale_f32 v15, s[36:37], v11, v11, v12
	v_div_scale_f32 v16, vcc, v12, v11, v12
	v_rcp_f32_e32 v24, v15
	v_fma_f32 v25, -v15, v24, 1.0
	v_fmac_f32_e32 v24, v25, v24
	v_mul_f32_e32 v25, v16, v24
	v_fma_f32 v26, -v15, v25, v16
	v_fmac_f32_e32 v25, v26, v24
	v_fma_f32 v15, -v15, v25, v16
	v_div_fmas_f32 v15, v15, v24, v25
	v_div_fixup_f32 v15, v15, v11, v12
	v_fma_f32 v16, v12, v15, v11
	v_div_scale_f32 v24, s[36:37], v16, v16, 1.0
	v_div_scale_f32 v25, vcc, 1.0, v16, 1.0
	v_rcp_f32_e32 v26, v24
	v_fma_f32 v27, -v24, v26, 1.0
	v_fmac_f32_e32 v26, v27, v26
	v_mul_f32_e32 v27, v25, v26
	v_fma_f32 v28, -v24, v27, v25
	v_fmac_f32_e32 v27, v28, v26
	v_fma_f32 v24, -v24, v27, v25
	v_div_fmas_f32 v24, v24, v26, v27
	v_mov_b32_e32 v25, s12
	v_mov_b32_e32 v26, s13
	v_fma_f32 v25, s13, v15, v25
	v_fma_f32 v15, -v15, s12, v26
	v_div_fixup_f32 v16, v24, v16, 1.0
	v_mul_f32_e32 v24, v25, v16
	v_mul_f32_e32 v15, v15, v16
.LBB63_69:                              ;   in Loop: Header=BB63_5 Depth=1
	s_andn2_saveexec_b64 s[36:37], s[0:1]
	s_cbranch_execz .LBB63_71
; %bb.70:                               ;   in Loop: Header=BB63_5 Depth=1
	v_div_scale_f32 v15, s[0:1], v9, v9, s12
	v_div_scale_f32 v16, s[0:1], v10, v10, s13
	v_div_scale_f32 v24, vcc, s12, v9, s12
	v_div_scale_f32 v25, s[0:1], s13, v10, s13
	v_rcp_f32_e32 v26, v15
	v_rcp_f32_e32 v27, v16
	v_fma_f32 v28, -v15, v26, 1.0
	v_fmac_f32_e32 v26, v28, v26
	v_fma_f32 v29, -v16, v27, 1.0
	v_fmac_f32_e32 v27, v29, v27
	v_mul_f32_e32 v28, v24, v26
	v_mul_f32_e32 v29, v25, v27
	v_fma_f32 v30, -v15, v28, v24
	v_fma_f32 v31, -v16, v29, v25
	v_fmac_f32_e32 v28, v30, v26
	v_fmac_f32_e32 v29, v31, v27
	v_fma_f32 v15, -v15, v28, v24
	v_fma_f32 v16, -v16, v29, v25
	v_div_fmas_f32 v15, v15, v26, v28
	s_mov_b64 vcc, s[0:1]
	v_div_fmas_f32 v16, v16, v27, v29
	v_div_fixup_f32 v24, v15, v9, s12
	v_div_fixup_f32 v15, v16, v10, s13
.LBB63_71:                              ;   in Loop: Header=BB63_5 Depth=1
	s_or_b64 exec, exec, s[36:37]
.LBB63_72:                              ;   in Loop: Header=BB63_5 Depth=1
	s_andn2_saveexec_b64 s[0:1], s[6:7]
	s_cbranch_execz .LBB63_74
; %bb.73:                               ;   in Loop: Header=BB63_5 Depth=1
	v_div_scale_f32 v15, s[6:7], v12, v12, v11
	v_div_scale_f32 v16, vcc, v11, v12, v11
	v_rcp_f32_e32 v24, v15
	v_fma_f32 v25, -v15, v24, 1.0
	v_fmac_f32_e32 v24, v25, v24
	v_mul_f32_e32 v25, v16, v24
	v_fma_f32 v26, -v15, v25, v16
	v_fmac_f32_e32 v25, v26, v24
	v_fma_f32 v15, -v15, v25, v16
	v_div_fmas_f32 v15, v15, v24, v25
	v_div_fixup_f32 v15, v15, v12, v11
	v_fma_f32 v16, v11, v15, v12
	v_div_scale_f32 v24, s[6:7], v16, v16, 1.0
	v_div_scale_f32 v25, vcc, 1.0, v16, 1.0
	v_rcp_f32_e32 v26, v24
	v_fma_f32 v27, -v24, v26, 1.0
	v_fmac_f32_e32 v26, v27, v26
	v_mul_f32_e32 v27, v25, v26
	v_fma_f32 v28, -v24, v27, v25
	v_fmac_f32_e32 v27, v28, v26
	v_fma_f32 v24, -v24, v27, v25
	v_div_fmas_f32 v24, v24, v26, v27
	v_mov_b32_e32 v25, s13
	v_mov_b32_e32 v26, s12
	v_fma_f32 v25, s12, v15, v25
	v_fma_f32 v15, v15, s13, -v26
	v_div_fixup_f32 v16, v24, v16, 1.0
	v_mul_f32_e32 v24, v25, v16
	v_mul_f32_e32 v15, v15, v16
.LBB63_74:                              ;   in Loop: Header=BB63_5 Depth=1
	s_or_b64 exec, exec, s[0:1]
	v_mul_f32_e32 v16, s9, v15
	v_mul_f32_e32 v15, s8, v15
	v_fma_f32 v16, v24, s8, -v16
	v_fmac_f32_e32 v15, s9, v24
	s_mov_b64 s[0:1], 0
.LBB63_75:                              ;   in Loop: Header=BB63_5 Depth=1
	s_and_b64 vcc, exec, s[0:1]
	s_cbranch_vccz .LBB63_4
; %bb.76:                               ;   in Loop: Header=BB63_5 Depth=1
                                        ; implicit-def: $vgpr15
                                        ; implicit-def: $vgpr16
	s_and_saveexec_b64 s[0:1], s[2:3]
	s_xor_b64 s[2:3], exec, s[0:1]
	s_cbranch_execz .LBB63_82
; %bb.77:                               ;   in Loop: Header=BB63_5 Depth=1
	v_cmp_neq_f32_e32 vcc, 0, v11
	v_cmp_neq_f32_e64 s[0:1], 0, v12
	s_or_b64 s[0:1], vcc, s[0:1]
                                        ; implicit-def: $vgpr15
                                        ; implicit-def: $vgpr16
	s_and_saveexec_b64 s[6:7], s[0:1]
	s_xor_b64 s[0:1], exec, s[6:7]
	s_cbranch_execz .LBB63_79
; %bb.78:                               ;   in Loop: Header=BB63_5 Depth=1
	v_div_scale_f32 v9, s[6:7], v11, v11, v12
	v_div_scale_f32 v10, vcc, v12, v11, v12
	v_rcp_f32_e32 v15, v9
	v_fma_f32 v16, -v9, v15, 1.0
	v_fmac_f32_e32 v15, v16, v15
	v_mul_f32_e32 v16, v10, v15
	v_fma_f32 v24, -v9, v16, v10
	v_fmac_f32_e32 v16, v24, v15
	v_fma_f32 v9, -v9, v16, v10
	v_div_fmas_f32 v9, v9, v15, v16
	v_div_fixup_f32 v9, v9, v11, v12
	v_fmac_f32_e32 v11, v12, v9
	v_div_scale_f32 v10, s[6:7], v11, v11, 1.0
	v_div_scale_f32 v12, vcc, 1.0, v11, 1.0
	v_rcp_f32_e32 v15, v10
	v_fma_f32 v16, -v10, v15, 1.0
	v_fmac_f32_e32 v15, v16, v15
	v_mul_f32_e32 v16, v12, v15
	v_fma_f32 v24, -v10, v16, v12
	v_fmac_f32_e32 v16, v24, v15
	v_fma_f32 v10, -v10, v16, v12
	v_div_fmas_f32 v10, v10, v15, v16
	v_mov_b32_e32 v12, s12
	v_mov_b32_e32 v15, s13
	v_fma_f32 v12, s13, v9, v12
	v_fma_f32 v9, -v9, s12, v15
	v_div_fixup_f32 v10, v10, v11, 1.0
	v_mul_f32_e32 v16, v12, v10
	v_mul_f32_e32 v15, v9, v10
                                        ; implicit-def: $vgpr9
                                        ; implicit-def: $vgpr10
.LBB63_79:                              ;   in Loop: Header=BB63_5 Depth=1
	s_andn2_saveexec_b64 s[6:7], s[0:1]
	s_cbranch_execz .LBB63_81
; %bb.80:                               ;   in Loop: Header=BB63_5 Depth=1
	v_div_scale_f32 v11, s[0:1], v9, v9, s12
	v_div_scale_f32 v12, s[0:1], v10, v10, s13
	v_div_scale_f32 v15, vcc, s12, v9, s12
	v_div_scale_f32 v16, s[0:1], s13, v10, s13
	v_rcp_f32_e32 v24, v11
	v_rcp_f32_e32 v25, v12
	v_fma_f32 v26, -v11, v24, 1.0
	v_fmac_f32_e32 v24, v26, v24
	v_fma_f32 v27, -v12, v25, 1.0
	v_fmac_f32_e32 v25, v27, v25
	v_mul_f32_e32 v26, v15, v24
	v_mul_f32_e32 v27, v16, v25
	v_fma_f32 v28, -v11, v26, v15
	v_fma_f32 v29, -v12, v27, v16
	v_fmac_f32_e32 v26, v28, v24
	v_fmac_f32_e32 v27, v29, v25
	v_fma_f32 v11, -v11, v26, v15
	v_fma_f32 v12, -v12, v27, v16
	v_div_fmas_f32 v11, v11, v24, v26
	s_mov_b64 vcc, s[0:1]
	v_div_fmas_f32 v12, v12, v25, v27
	v_div_fixup_f32 v16, v11, v9, s12
	v_div_fixup_f32 v15, v12, v10, s13
.LBB63_81:                              ;   in Loop: Header=BB63_5 Depth=1
	s_or_b64 exec, exec, s[6:7]
                                        ; implicit-def: $vgpr9_vgpr10_vgpr11_vgpr12
.LBB63_82:                              ;   in Loop: Header=BB63_5 Depth=1
	s_andn2_saveexec_b64 s[0:1], s[2:3]
	s_cbranch_execz .LBB63_3
; %bb.83:                               ;   in Loop: Header=BB63_5 Depth=1
	v_div_scale_f32 v9, s[2:3], v12, v12, v11
	v_div_scale_f32 v10, vcc, v11, v12, v11
	v_rcp_f32_e32 v15, v9
	v_fma_f32 v16, -v9, v15, 1.0
	v_fmac_f32_e32 v15, v16, v15
	v_mul_f32_e32 v16, v10, v15
	v_fma_f32 v24, -v9, v16, v10
	v_fmac_f32_e32 v16, v24, v15
	v_fma_f32 v9, -v9, v16, v10
	v_div_fmas_f32 v9, v9, v15, v16
	v_div_fixup_f32 v9, v9, v12, v11
	v_fmac_f32_e32 v12, v11, v9
	v_div_scale_f32 v10, s[2:3], v12, v12, 1.0
	v_div_scale_f32 v11, vcc, 1.0, v12, 1.0
	v_rcp_f32_e32 v15, v10
	v_fma_f32 v16, -v10, v15, 1.0
	v_fmac_f32_e32 v15, v16, v15
	v_mul_f32_e32 v16, v11, v15
	v_fma_f32 v24, -v10, v16, v11
	v_fmac_f32_e32 v16, v24, v15
	v_fma_f32 v10, -v10, v16, v11
	v_div_fmas_f32 v10, v10, v15, v16
	v_mov_b32_e32 v11, s13
	v_mov_b32_e32 v15, s12
	v_fma_f32 v11, s12, v9, v11
	v_fma_f32 v9, v9, s13, -v15
	v_div_fixup_f32 v10, v10, v12, 1.0
	v_mul_f32_e32 v16, v11, v10
	v_mul_f32_e32 v15, v9, v10
	s_branch .LBB63_3
.LBB63_84:
	s_or_b64 exec, exec, s[22:23]
	s_mov_b64 s[0:1], 0
.LBB63_85:
	s_andn2_b64 vcc, exec, s[0:1]
	s_cbranch_vccnz .LBB63_185
; %bb.86:
	v_cmp_lt_i64_e64 s[0:1], s[20:21], 1
	s_and_b64 vcc, exec, s[0:1]
	s_cbranch_vccnz .LBB63_185
; %bb.87:
	v_mov_b32_e32 v1, 0x10000
	s_load_dword s2, s[4:5], 0xc04
	v_mov_b32_e32 v2, 0
	v_cmp_lt_i64_e32 vcc, s[20:21], v[1:2]
	s_mov_b64 s[22:23], 0
	s_and_b64 s[0:1], vcc, exec
	s_cselect_b32 s7, s21, 0
	s_cselect_b32 s6, s20, 0x10000
	s_waitcnt lgkmcnt(0)
	s_and_b32 s26, s2, 0xffff
	s_and_b32 s2, s9, 0x7fffffff
	s_cmp_lg_u32 s2, 0
	v_cmp_neq_f32_e64 s[0:1], s8, 1.0
	s_cselect_b64 s[2:3], -1, 0
	v_cmp_lt_u64_e32 vcc, s[20:21], v[1:2]
	s_or_b64 s[18:19], s[0:1], s[2:3]
	s_and_b64 s[0:1], vcc, exec
	s_cselect_b32 s21, s21, 0
	s_cselect_b32 s20, s20, 0x10000
	s_lshl_b32 s27, s26, 1
	s_mul_i32 s28, s26, 3
	s_lshl_b32 s29, s26, 2
	s_branch .LBB63_89
.LBB63_88:                              ;   in Loop: Header=BB63_89 Depth=1
	s_or_b64 exec, exec, s[0:1]
	s_add_u32 s22, s22, s29
	v_mov_b32_e32 v1, s6
	s_addc_u32 s23, s23, 0
	v_mov_b32_e32 v2, s7
	v_cmp_ge_i64_e32 vcc, s[22:23], v[1:2]
	s_cbranch_vccnz .LBB63_185
.LBB63_89:                              ; =>This Inner Loop Header: Depth=1
	v_mov_b32_e32 v2, s23
	v_add_co_u32_e32 v1, vcc, s22, v0
	v_addc_co_u32_e32 v2, vcc, 0, v2, vcc
	v_cmp_gt_i64_e32 vcc, s[6:7], v[1:2]
	v_mov_b32_e32 v24, 0
	v_mov_b32_e32 v23, 0
	;; [unrolled: 1-line block ×4, first 2 shown]
	s_and_saveexec_b64 s[0:1], vcc
	s_cbranch_execz .LBB63_91
; %bb.90:                               ;   in Loop: Header=BB63_89 Depth=1
	v_lshlrev_b64 v[3:4], 3, v[1:2]
	v_mov_b32_e32 v6, s15
	v_add_co_u32_e32 v5, vcc, s14, v3
	v_addc_co_u32_e32 v6, vcc, v6, v4, vcc
	v_mov_b32_e32 v8, s11
	v_add_co_u32_e32 v7, vcc, s10, v3
	v_addc_co_u32_e32 v8, vcc, v8, v4, vcc
	global_load_dwordx2 v[3:4], v[7:8], off
	global_load_dwordx2 v[23:24], v[5:6], off
.LBB63_91:                              ;   in Loop: Header=BB63_89 Depth=1
	s_or_b64 exec, exec, s[0:1]
	v_add_co_u32_e32 v5, vcc, s26, v1
	v_addc_co_u32_e32 v6, vcc, 0, v2, vcc
	v_cmp_gt_i64_e32 vcc, s[6:7], v[5:6]
	v_mov_b32_e32 v20, 0
	v_mov_b32_e32 v22, 0
	;; [unrolled: 1-line block ×5, first 2 shown]
	s_and_saveexec_b64 s[0:1], vcc
	s_cbranch_execz .LBB63_93
; %bb.92:                               ;   in Loop: Header=BB63_89 Depth=1
	v_lshlrev_b64 v[7:8], 3, v[5:6]
	v_mov_b32_e32 v10, s15
	v_add_co_u32_e32 v9, vcc, s14, v7
	v_addc_co_u32_e32 v10, vcc, v10, v8, vcc
	v_mov_b32_e32 v12, s11
	v_add_co_u32_e32 v11, vcc, s10, v7
	v_addc_co_u32_e32 v12, vcc, v12, v8, vcc
	global_load_dwordx2 v[7:8], v[11:12], off
	global_load_dwordx2 v[21:22], v[9:10], off
.LBB63_93:                              ;   in Loop: Header=BB63_89 Depth=1
	s_or_b64 exec, exec, s[0:1]
	v_add_co_u32_e32 v9, vcc, s27, v1
	v_addc_co_u32_e32 v10, vcc, 0, v2, vcc
	v_cmp_gt_i64_e32 vcc, s[6:7], v[9:10]
	v_mov_b32_e32 v19, 0
	v_mov_b32_e32 v12, 0
	v_mov_b32_e32 v11, 0
	s_and_saveexec_b64 s[0:1], vcc
	s_cbranch_execz .LBB63_95
; %bb.94:                               ;   in Loop: Header=BB63_89 Depth=1
	v_lshlrev_b64 v[11:12], 3, v[9:10]
	v_mov_b32_e32 v14, s15
	v_add_co_u32_e32 v13, vcc, s14, v11
	v_addc_co_u32_e32 v14, vcc, v14, v12, vcc
	v_mov_b32_e32 v16, s11
	v_add_co_u32_e32 v15, vcc, s10, v11
	v_addc_co_u32_e32 v16, vcc, v16, v12, vcc
	global_load_dwordx2 v[11:12], v[15:16], off
	global_load_dwordx2 v[19:20], v[13:14], off
.LBB63_95:                              ;   in Loop: Header=BB63_89 Depth=1
	s_or_b64 exec, exec, s[0:1]
	v_add_co_u32_e32 v13, vcc, s28, v1
	v_addc_co_u32_e32 v14, vcc, 0, v2, vcc
	v_cmp_gt_i64_e32 vcc, s[6:7], v[13:14]
	v_mov_b32_e32 v18, 0
	v_mov_b32_e32 v17, 0
	;; [unrolled: 1-line block ×4, first 2 shown]
	s_and_saveexec_b64 s[0:1], vcc
	s_cbranch_execz .LBB63_97
; %bb.96:                               ;   in Loop: Header=BB63_89 Depth=1
	v_lshlrev_b64 v[15:16], 3, v[13:14]
	v_mov_b32_e32 v17, s15
	v_add_co_u32_e32 v25, vcc, s14, v15
	v_addc_co_u32_e32 v26, vcc, v17, v16, vcc
	v_mov_b32_e32 v17, s11
	v_add_co_u32_e32 v27, vcc, s10, v15
	v_addc_co_u32_e32 v28, vcc, v17, v16, vcc
	global_load_dwordx2 v[15:16], v[27:28], off
	global_load_dwordx2 v[17:18], v[25:26], off
.LBB63_97:                              ;   in Loop: Header=BB63_89 Depth=1
	s_or_b64 exec, exec, s[0:1]
	s_waitcnt vmcnt(0)
	v_cmp_gt_f32_e32 vcc, 0, v23
	v_cndmask_b32_e64 v28, v23, -v23, vcc
	v_cmp_gt_f32_e32 vcc, 0, v24
	v_cndmask_b32_e64 v27, v24, -v24, vcc
	v_cmp_ge_f32_e64 s[0:1], v28, v27
	s_mov_b64 s[2:3], -1
	s_and_b64 vcc, exec, s[18:19]
                                        ; implicit-def: $vgpr26
                                        ; implicit-def: $vgpr25
	s_cbranch_vccz .LBB63_107
; %bb.98:                               ;   in Loop: Header=BB63_89 Depth=1
                                        ; implicit-def: $vgpr26
                                        ; implicit-def: $vgpr29
	s_and_saveexec_b64 s[2:3], s[0:1]
	s_xor_b64 s[4:5], exec, s[2:3]
	s_cbranch_execz .LBB63_104
; %bb.99:                               ;   in Loop: Header=BB63_89 Depth=1
	v_cmp_neq_f32_e32 vcc, 0, v23
	v_cmp_neq_f32_e64 s[2:3], 0, v24
	s_or_b64 s[2:3], s[2:3], vcc
                                        ; implicit-def: $vgpr26
                                        ; implicit-def: $vgpr29
	s_and_saveexec_b64 s[24:25], s[2:3]
	s_xor_b64 s[2:3], exec, s[24:25]
	s_cbranch_execz .LBB63_101
; %bb.100:                              ;   in Loop: Header=BB63_89 Depth=1
	v_div_scale_f32 v25, s[24:25], v23, v23, v24
	v_div_scale_f32 v26, vcc, v24, v23, v24
	v_rcp_f32_e32 v29, v25
	v_fma_f32 v30, -v25, v29, 1.0
	v_fmac_f32_e32 v29, v30, v29
	v_mul_f32_e32 v30, v26, v29
	v_fma_f32 v31, -v25, v30, v26
	v_fmac_f32_e32 v30, v31, v29
	v_fma_f32 v25, -v25, v30, v26
	v_div_fmas_f32 v25, v25, v29, v30
	v_div_fixup_f32 v25, v25, v23, v24
	v_fma_f32 v26, v24, v25, v23
	v_div_scale_f32 v29, s[24:25], v26, v26, 1.0
	v_div_scale_f32 v30, vcc, 1.0, v26, 1.0
	v_rcp_f32_e32 v31, v29
	v_fma_f32 v32, -v29, v31, 1.0
	v_fmac_f32_e32 v31, v32, v31
	v_mul_f32_e32 v32, v30, v31
	v_fma_f32 v33, -v29, v32, v30
	v_fmac_f32_e32 v32, v33, v31
	v_fma_f32 v29, -v29, v32, v30
	v_div_fmas_f32 v29, v29, v31, v32
	v_mov_b32_e32 v30, s12
	v_mov_b32_e32 v31, s13
	v_fma_f32 v30, s13, v25, v30
	v_fma_f32 v25, -v25, s12, v31
	v_div_fixup_f32 v26, v29, v26, 1.0
	v_mul_f32_e32 v29, v30, v26
	v_mul_f32_e32 v26, v25, v26
.LBB63_101:                             ;   in Loop: Header=BB63_89 Depth=1
	s_andn2_saveexec_b64 s[2:3], s[2:3]
	s_cbranch_execz .LBB63_103
; %bb.102:                              ;   in Loop: Header=BB63_89 Depth=1
	v_div_scale_f32 v25, s[24:25], v28, v28, s12
	v_rcp_f32_e32 v26, v25
	v_fma_f32 v29, -v25, v26, 1.0
	v_fmac_f32_e32 v26, v29, v26
	v_div_scale_f32 v29, vcc, s12, v28, s12
	v_mul_f32_e32 v30, v29, v26
	v_fma_f32 v31, -v25, v30, v29
	v_fmac_f32_e32 v30, v31, v26
	v_fma_f32 v25, -v25, v30, v29
	v_div_fmas_f32 v25, v25, v26, v30
	v_div_fixup_f32 v29, v25, v28, s12
	v_div_scale_f32 v25, s[24:25], v27, v27, s13
	v_rcp_f32_e32 v26, v25
	v_fma_f32 v30, -v25, v26, 1.0
	v_fmac_f32_e32 v26, v30, v26
	v_div_scale_f32 v30, vcc, s13, v27, s13
	v_mul_f32_e32 v31, v30, v26
	v_fma_f32 v32, -v25, v31, v30
	v_fmac_f32_e32 v31, v32, v26
	v_fma_f32 v25, -v25, v31, v30
	v_div_fmas_f32 v25, v25, v26, v31
	v_div_fixup_f32 v26, v25, v27, s13
.LBB63_103:                             ;   in Loop: Header=BB63_89 Depth=1
	s_or_b64 exec, exec, s[2:3]
.LBB63_104:                             ;   in Loop: Header=BB63_89 Depth=1
	s_andn2_saveexec_b64 s[2:3], s[4:5]
	s_cbranch_execz .LBB63_106
; %bb.105:                              ;   in Loop: Header=BB63_89 Depth=1
	v_div_scale_f32 v25, s[4:5], v24, v24, v23
	v_div_scale_f32 v26, vcc, v23, v24, v23
	v_rcp_f32_e32 v29, v25
	v_fma_f32 v30, -v25, v29, 1.0
	v_fmac_f32_e32 v29, v30, v29
	v_mul_f32_e32 v30, v26, v29
	v_fma_f32 v31, -v25, v30, v26
	v_fmac_f32_e32 v30, v31, v29
	v_fma_f32 v25, -v25, v30, v26
	v_div_fmas_f32 v25, v25, v29, v30
	v_div_fixup_f32 v25, v25, v24, v23
	v_fma_f32 v26, v23, v25, v24
	v_div_scale_f32 v29, s[4:5], v26, v26, 1.0
	v_div_scale_f32 v30, vcc, 1.0, v26, 1.0
	v_rcp_f32_e32 v31, v29
	v_fma_f32 v32, -v29, v31, 1.0
	v_fmac_f32_e32 v31, v32, v31
	v_mul_f32_e32 v32, v30, v31
	v_fma_f32 v33, -v29, v32, v30
	v_fmac_f32_e32 v32, v33, v31
	v_fma_f32 v29, -v29, v32, v30
	v_div_fmas_f32 v29, v29, v31, v32
	v_mov_b32_e32 v30, s13
	v_mov_b32_e32 v31, s12
	v_fma_f32 v30, s12, v25, v30
	v_fma_f32 v25, v25, s13, -v31
	v_div_fixup_f32 v26, v29, v26, 1.0
	v_mul_f32_e32 v29, v30, v26
	v_mul_f32_e32 v26, v25, v26
.LBB63_106:                             ;   in Loop: Header=BB63_89 Depth=1
	s_or_b64 exec, exec, s[2:3]
	v_mul_f32_e32 v25, s9, v26
	v_mul_f32_e32 v26, s8, v26
	v_fma_f32 v25, v29, s8, -v25
	v_fmac_f32_e32 v26, s9, v29
	s_mov_b64 s[2:3], 0
.LBB63_107:                             ;   in Loop: Header=BB63_89 Depth=1
	s_and_b64 vcc, exec, s[2:3]
	s_cbranch_vccz .LBB63_117
; %bb.108:                              ;   in Loop: Header=BB63_89 Depth=1
                                        ; implicit-def: $vgpr26
                                        ; implicit-def: $vgpr25
	s_and_saveexec_b64 s[2:3], s[0:1]
	s_xor_b64 s[2:3], exec, s[2:3]
	s_cbranch_execz .LBB63_114
; %bb.109:                              ;   in Loop: Header=BB63_89 Depth=1
	v_cmp_neq_f32_e32 vcc, 0, v23
	v_cmp_neq_f32_e64 s[0:1], 0, v24
	s_or_b64 s[0:1], s[0:1], vcc
                                        ; implicit-def: $vgpr26
                                        ; implicit-def: $vgpr25
	s_and_saveexec_b64 s[4:5], s[0:1]
	s_xor_b64 s[0:1], exec, s[4:5]
	s_cbranch_execz .LBB63_111
; %bb.110:                              ;   in Loop: Header=BB63_89 Depth=1
	v_div_scale_f32 v25, s[4:5], v23, v23, v24
	v_div_scale_f32 v26, vcc, v24, v23, v24
	v_rcp_f32_e32 v27, v25
	v_fma_f32 v28, -v25, v27, 1.0
	v_fmac_f32_e32 v27, v28, v27
	v_mul_f32_e32 v28, v26, v27
	v_fma_f32 v29, -v25, v28, v26
	v_fmac_f32_e32 v28, v29, v27
	v_fma_f32 v25, -v25, v28, v26
	v_div_fmas_f32 v25, v25, v27, v28
	v_div_fixup_f32 v25, v25, v23, v24
	v_fmac_f32_e32 v23, v24, v25
	v_div_scale_f32 v24, s[4:5], v23, v23, 1.0
	v_div_scale_f32 v26, vcc, 1.0, v23, 1.0
	v_rcp_f32_e32 v27, v24
	v_fma_f32 v28, -v24, v27, 1.0
	v_fmac_f32_e32 v27, v28, v27
	v_mul_f32_e32 v28, v26, v27
	v_fma_f32 v29, -v24, v28, v26
	v_fmac_f32_e32 v28, v29, v27
	v_fma_f32 v24, -v24, v28, v26
	v_div_fmas_f32 v24, v24, v27, v28
	v_mov_b32_e32 v26, s12
	v_mov_b32_e32 v27, s13
	v_fma_f32 v26, s13, v25, v26
	v_fma_f32 v27, -v25, s12, v27
                                        ; implicit-def: $vgpr28
	v_div_fixup_f32 v23, v24, v23, 1.0
	v_mul_f32_e32 v25, v26, v23
	v_mul_f32_e32 v26, v27, v23
                                        ; implicit-def: $vgpr27
.LBB63_111:                             ;   in Loop: Header=BB63_89 Depth=1
	s_andn2_saveexec_b64 s[0:1], s[0:1]
	s_cbranch_execz .LBB63_113
; %bb.112:                              ;   in Loop: Header=BB63_89 Depth=1
	v_div_scale_f32 v23, s[4:5], v28, v28, s12
	v_rcp_f32_e32 v24, v23
	v_fma_f32 v25, -v23, v24, 1.0
	v_fmac_f32_e32 v24, v25, v24
	v_div_scale_f32 v25, vcc, s12, v28, s12
	v_mul_f32_e32 v26, v25, v24
	v_fma_f32 v29, -v23, v26, v25
	v_fmac_f32_e32 v26, v29, v24
	v_fma_f32 v23, -v23, v26, v25
	v_div_fmas_f32 v23, v23, v24, v26
	v_div_fixup_f32 v25, v23, v28, s12
	v_div_scale_f32 v23, s[4:5], v27, v27, s13
	v_rcp_f32_e32 v24, v23
	v_fma_f32 v26, -v23, v24, 1.0
	v_fmac_f32_e32 v24, v26, v24
	v_div_scale_f32 v26, vcc, s13, v27, s13
	v_mul_f32_e32 v28, v26, v24
	v_fma_f32 v29, -v23, v28, v26
	v_fmac_f32_e32 v28, v29, v24
	v_fma_f32 v23, -v23, v28, v26
	v_div_fmas_f32 v23, v23, v24, v28
	v_div_fixup_f32 v26, v23, v27, s13
.LBB63_113:                             ;   in Loop: Header=BB63_89 Depth=1
	s_or_b64 exec, exec, s[0:1]
                                        ; implicit-def: $vgpr24
.LBB63_114:                             ;   in Loop: Header=BB63_89 Depth=1
	s_andn2_saveexec_b64 s[0:1], s[2:3]
	s_cbranch_execz .LBB63_116
; %bb.115:                              ;   in Loop: Header=BB63_89 Depth=1
	v_div_scale_f32 v25, s[2:3], v24, v24, v23
	v_div_scale_f32 v26, vcc, v23, v24, v23
	v_rcp_f32_e32 v27, v25
	v_fma_f32 v28, -v25, v27, 1.0
	v_fmac_f32_e32 v27, v28, v27
	v_mul_f32_e32 v28, v26, v27
	v_fma_f32 v29, -v25, v28, v26
	v_fmac_f32_e32 v28, v29, v27
	v_fma_f32 v25, -v25, v28, v26
	v_div_fmas_f32 v25, v25, v27, v28
	v_div_fixup_f32 v25, v25, v24, v23
	v_fmac_f32_e32 v24, v23, v25
	v_div_scale_f32 v23, s[2:3], v24, v24, 1.0
	v_div_scale_f32 v26, vcc, 1.0, v24, 1.0
	v_rcp_f32_e32 v27, v23
	v_fma_f32 v28, -v23, v27, 1.0
	v_fmac_f32_e32 v27, v28, v27
	v_mul_f32_e32 v28, v26, v27
	v_fma_f32 v29, -v23, v28, v26
	v_fmac_f32_e32 v28, v29, v27
	v_fma_f32 v23, -v23, v28, v26
	v_div_fmas_f32 v23, v23, v27, v28
	v_mov_b32_e32 v26, s13
	v_mov_b32_e32 v27, s12
	v_fma_f32 v26, s12, v25, v26
	v_fma_f32 v27, v25, s13, -v27
	v_div_fixup_f32 v23, v23, v24, 1.0
	v_mul_f32_e32 v25, v26, v23
	v_mul_f32_e32 v26, v27, v23
.LBB63_116:                             ;   in Loop: Header=BB63_89 Depth=1
	s_or_b64 exec, exec, s[0:1]
.LBB63_117:                             ;   in Loop: Header=BB63_89 Depth=1
	v_cmp_gt_f32_e32 vcc, 0, v21
	v_cndmask_b32_e64 v27, v21, -v21, vcc
	v_cmp_gt_f32_e32 vcc, 0, v22
	v_cndmask_b32_e64 v28, v22, -v22, vcc
	v_cndmask_b32_e64 v23, 0, 1, s[18:19]
	v_cmp_ge_f32_e64 s[2:3], v27, v28
	v_cmp_ne_u32_e64 s[0:1], 1, v23
	s_andn2_b64 vcc, exec, s[18:19]
	s_mov_b64 s[4:5], -1
                                        ; implicit-def: $vgpr23
                                        ; implicit-def: $vgpr24
	s_cbranch_vccnz .LBB63_127
; %bb.118:                              ;   in Loop: Header=BB63_89 Depth=1
                                        ; implicit-def: $vgpr23
                                        ; implicit-def: $vgpr29
	s_and_saveexec_b64 s[4:5], s[2:3]
	s_xor_b64 s[24:25], exec, s[4:5]
	s_cbranch_execz .LBB63_124
; %bb.119:                              ;   in Loop: Header=BB63_89 Depth=1
	v_cmp_neq_f32_e32 vcc, 0, v21
	v_cmp_neq_f32_e64 s[4:5], 0, v22
	s_or_b64 s[4:5], s[4:5], vcc
                                        ; implicit-def: $vgpr23
                                        ; implicit-def: $vgpr29
	s_and_saveexec_b64 s[30:31], s[4:5]
	s_xor_b64 s[4:5], exec, s[30:31]
	s_cbranch_execz .LBB63_121
; %bb.120:                              ;   in Loop: Header=BB63_89 Depth=1
	v_div_scale_f32 v23, s[30:31], v21, v21, v22
	v_div_scale_f32 v24, vcc, v22, v21, v22
	v_rcp_f32_e32 v29, v23
	v_fma_f32 v30, -v23, v29, 1.0
	v_fmac_f32_e32 v29, v30, v29
	v_mul_f32_e32 v30, v24, v29
	v_fma_f32 v31, -v23, v30, v24
	v_fmac_f32_e32 v30, v31, v29
	v_fma_f32 v23, -v23, v30, v24
	v_div_fmas_f32 v23, v23, v29, v30
	v_div_fixup_f32 v23, v23, v21, v22
	v_fma_f32 v24, v22, v23, v21
	v_div_scale_f32 v29, s[30:31], v24, v24, 1.0
	v_div_scale_f32 v30, vcc, 1.0, v24, 1.0
	v_rcp_f32_e32 v31, v29
	v_fma_f32 v32, -v29, v31, 1.0
	v_fmac_f32_e32 v31, v32, v31
	v_mul_f32_e32 v32, v30, v31
	v_fma_f32 v33, -v29, v32, v30
	v_fmac_f32_e32 v32, v33, v31
	v_fma_f32 v29, -v29, v32, v30
	v_div_fmas_f32 v29, v29, v31, v32
	v_mov_b32_e32 v30, s12
	v_mov_b32_e32 v31, s13
	v_fma_f32 v30, s13, v23, v30
	v_fma_f32 v23, -v23, s12, v31
	v_div_fixup_f32 v24, v29, v24, 1.0
	v_mul_f32_e32 v29, v30, v24
	v_mul_f32_e32 v23, v23, v24
.LBB63_121:                             ;   in Loop: Header=BB63_89 Depth=1
	s_andn2_saveexec_b64 s[4:5], s[4:5]
	s_cbranch_execz .LBB63_123
; %bb.122:                              ;   in Loop: Header=BB63_89 Depth=1
	v_div_scale_f32 v23, s[30:31], v27, v27, s12
	v_rcp_f32_e32 v24, v23
	v_fma_f32 v29, -v23, v24, 1.0
	v_fmac_f32_e32 v24, v29, v24
	v_div_scale_f32 v29, vcc, s12, v27, s12
	v_mul_f32_e32 v30, v29, v24
	v_fma_f32 v31, -v23, v30, v29
	v_fmac_f32_e32 v30, v31, v24
	v_fma_f32 v23, -v23, v30, v29
	v_div_fmas_f32 v23, v23, v24, v30
	v_div_fixup_f32 v29, v23, v27, s12
	v_div_scale_f32 v23, s[30:31], v28, v28, s13
	v_rcp_f32_e32 v24, v23
	v_fma_f32 v30, -v23, v24, 1.0
	v_fmac_f32_e32 v24, v30, v24
	v_div_scale_f32 v30, vcc, s13, v28, s13
	v_mul_f32_e32 v31, v30, v24
	v_fma_f32 v32, -v23, v31, v30
	v_fmac_f32_e32 v31, v32, v24
	v_fma_f32 v23, -v23, v31, v30
	v_div_fmas_f32 v23, v23, v24, v31
	v_div_fixup_f32 v23, v23, v28, s13
.LBB63_123:                             ;   in Loop: Header=BB63_89 Depth=1
	s_or_b64 exec, exec, s[4:5]
.LBB63_124:                             ;   in Loop: Header=BB63_89 Depth=1
	s_andn2_saveexec_b64 s[4:5], s[24:25]
	s_cbranch_execz .LBB63_126
; %bb.125:                              ;   in Loop: Header=BB63_89 Depth=1
	v_div_scale_f32 v23, s[24:25], v22, v22, v21
	v_div_scale_f32 v24, vcc, v21, v22, v21
	v_rcp_f32_e32 v29, v23
	v_fma_f32 v30, -v23, v29, 1.0
	v_fmac_f32_e32 v29, v30, v29
	v_mul_f32_e32 v30, v24, v29
	v_fma_f32 v31, -v23, v30, v24
	v_fmac_f32_e32 v30, v31, v29
	v_fma_f32 v23, -v23, v30, v24
	v_div_fmas_f32 v23, v23, v29, v30
	v_div_fixup_f32 v23, v23, v22, v21
	v_fma_f32 v24, v21, v23, v22
	v_div_scale_f32 v29, s[24:25], v24, v24, 1.0
	v_div_scale_f32 v30, vcc, 1.0, v24, 1.0
	v_rcp_f32_e32 v31, v29
	v_fma_f32 v32, -v29, v31, 1.0
	v_fmac_f32_e32 v31, v32, v31
	v_mul_f32_e32 v32, v30, v31
	v_fma_f32 v33, -v29, v32, v30
	v_fmac_f32_e32 v32, v33, v31
	v_fma_f32 v29, -v29, v32, v30
	v_div_fmas_f32 v29, v29, v31, v32
	v_mov_b32_e32 v30, s13
	v_mov_b32_e32 v31, s12
	v_fma_f32 v30, s12, v23, v30
	v_fma_f32 v23, v23, s13, -v31
	v_div_fixup_f32 v24, v29, v24, 1.0
	v_mul_f32_e32 v29, v30, v24
	v_mul_f32_e32 v23, v23, v24
.LBB63_126:                             ;   in Loop: Header=BB63_89 Depth=1
	s_or_b64 exec, exec, s[4:5]
	v_mul_f32_e32 v24, s9, v23
	v_mul_f32_e32 v23, s8, v23
	v_fma_f32 v24, v29, s8, -v24
	v_fmac_f32_e32 v23, s9, v29
	s_mov_b64 s[4:5], 0
.LBB63_127:                             ;   in Loop: Header=BB63_89 Depth=1
	s_and_b64 vcc, exec, s[4:5]
	s_cbranch_vccz .LBB63_137
; %bb.128:                              ;   in Loop: Header=BB63_89 Depth=1
                                        ; implicit-def: $vgpr23
                                        ; implicit-def: $vgpr24
	s_and_saveexec_b64 s[4:5], s[2:3]
	s_xor_b64 s[4:5], exec, s[4:5]
	s_cbranch_execz .LBB63_134
; %bb.129:                              ;   in Loop: Header=BB63_89 Depth=1
	v_cmp_neq_f32_e32 vcc, 0, v21
	v_cmp_neq_f32_e64 s[2:3], 0, v22
	s_or_b64 s[2:3], s[2:3], vcc
                                        ; implicit-def: $vgpr23
                                        ; implicit-def: $vgpr24
	s_and_saveexec_b64 s[24:25], s[2:3]
	s_xor_b64 s[2:3], exec, s[24:25]
	s_cbranch_execz .LBB63_131
; %bb.130:                              ;   in Loop: Header=BB63_89 Depth=1
	v_div_scale_f32 v23, s[24:25], v21, v21, v22
	v_div_scale_f32 v24, vcc, v22, v21, v22
	v_rcp_f32_e32 v27, v23
	v_fma_f32 v28, -v23, v27, 1.0
	v_fmac_f32_e32 v27, v28, v27
	v_mul_f32_e32 v28, v24, v27
	v_fma_f32 v29, -v23, v28, v24
	v_fmac_f32_e32 v28, v29, v27
	v_fma_f32 v23, -v23, v28, v24
	v_div_fmas_f32 v23, v23, v27, v28
	v_div_fixup_f32 v23, v23, v21, v22
	v_fmac_f32_e32 v21, v22, v23
	v_div_scale_f32 v22, s[24:25], v21, v21, 1.0
	v_div_scale_f32 v24, vcc, 1.0, v21, 1.0
	v_rcp_f32_e32 v27, v22
	v_fma_f32 v28, -v22, v27, 1.0
	v_fmac_f32_e32 v27, v28, v27
	v_mul_f32_e32 v28, v24, v27
	v_fma_f32 v29, -v22, v28, v24
	v_fmac_f32_e32 v28, v29, v27
	v_fma_f32 v22, -v22, v28, v24
	v_div_fmas_f32 v22, v22, v27, v28
	v_mov_b32_e32 v24, s12
	v_mov_b32_e32 v27, s13
	v_fma_f32 v24, s13, v23, v24
	v_fma_f32 v23, -v23, s12, v27
                                        ; implicit-def: $vgpr27
                                        ; implicit-def: $vgpr28
	v_div_fixup_f32 v21, v22, v21, 1.0
	v_mul_f32_e32 v24, v24, v21
	v_mul_f32_e32 v23, v23, v21
.LBB63_131:                             ;   in Loop: Header=BB63_89 Depth=1
	s_andn2_saveexec_b64 s[24:25], s[2:3]
	s_cbranch_execz .LBB63_133
; %bb.132:                              ;   in Loop: Header=BB63_89 Depth=1
	v_div_scale_f32 v21, s[2:3], v27, v27, s12
	v_div_scale_f32 v22, s[2:3], v28, v28, s13
	v_div_scale_f32 v23, vcc, s12, v27, s12
	v_div_scale_f32 v24, s[2:3], s13, v28, s13
	v_rcp_f32_e32 v29, v21
	v_rcp_f32_e32 v30, v22
	v_fma_f32 v31, -v21, v29, 1.0
	v_fmac_f32_e32 v29, v31, v29
	v_fma_f32 v32, -v22, v30, 1.0
	v_fmac_f32_e32 v30, v32, v30
	v_mul_f32_e32 v31, v23, v29
	v_mul_f32_e32 v32, v24, v30
	v_fma_f32 v33, -v21, v31, v23
	v_fma_f32 v34, -v22, v32, v24
	v_fmac_f32_e32 v31, v33, v29
	v_fmac_f32_e32 v32, v34, v30
	v_fma_f32 v21, -v21, v31, v23
	v_fma_f32 v22, -v22, v32, v24
	v_div_fmas_f32 v21, v21, v29, v31
	s_mov_b64 vcc, s[2:3]
	v_div_fmas_f32 v22, v22, v30, v32
	v_div_fixup_f32 v24, v21, v27, s12
	v_div_fixup_f32 v23, v22, v28, s13
.LBB63_133:                             ;   in Loop: Header=BB63_89 Depth=1
	s_or_b64 exec, exec, s[24:25]
                                        ; implicit-def: $vgpr22
.LBB63_134:                             ;   in Loop: Header=BB63_89 Depth=1
	s_andn2_saveexec_b64 s[2:3], s[4:5]
	s_cbranch_execz .LBB63_136
; %bb.135:                              ;   in Loop: Header=BB63_89 Depth=1
	v_div_scale_f32 v23, s[4:5], v22, v22, v21
	v_div_scale_f32 v24, vcc, v21, v22, v21
	v_rcp_f32_e32 v27, v23
	v_fma_f32 v28, -v23, v27, 1.0
	v_fmac_f32_e32 v27, v28, v27
	v_mul_f32_e32 v28, v24, v27
	v_fma_f32 v29, -v23, v28, v24
	v_fmac_f32_e32 v28, v29, v27
	v_fma_f32 v23, -v23, v28, v24
	v_div_fmas_f32 v23, v23, v27, v28
	v_div_fixup_f32 v23, v23, v22, v21
	v_fmac_f32_e32 v22, v21, v23
	v_div_scale_f32 v21, s[4:5], v22, v22, 1.0
	v_div_scale_f32 v24, vcc, 1.0, v22, 1.0
	v_rcp_f32_e32 v27, v21
	v_fma_f32 v28, -v21, v27, 1.0
	v_fmac_f32_e32 v27, v28, v27
	v_mul_f32_e32 v28, v24, v27
	v_fma_f32 v29, -v21, v28, v24
	v_fmac_f32_e32 v28, v29, v27
	v_fma_f32 v21, -v21, v28, v24
	v_div_fmas_f32 v21, v21, v27, v28
	v_mov_b32_e32 v24, s13
	v_mov_b32_e32 v27, s12
	v_fma_f32 v24, s12, v23, v24
	v_fma_f32 v23, v23, s13, -v27
	v_div_fixup_f32 v21, v21, v22, 1.0
	v_mul_f32_e32 v24, v24, v21
	v_mul_f32_e32 v23, v23, v21
.LBB63_136:                             ;   in Loop: Header=BB63_89 Depth=1
	s_or_b64 exec, exec, s[2:3]
.LBB63_137:                             ;   in Loop: Header=BB63_89 Depth=1
	v_cmp_gt_f32_e32 vcc, 0, v19
	v_cndmask_b32_e64 v27, v19, -v19, vcc
	v_cmp_gt_f32_e32 vcc, 0, v20
	v_cndmask_b32_e64 v28, v20, -v20, vcc
	v_cmp_ge_f32_e64 s[2:3], v27, v28
	s_and_b64 vcc, exec, s[0:1]
	s_mov_b64 s[4:5], -1
                                        ; implicit-def: $vgpr21
                                        ; implicit-def: $vgpr22
	s_cbranch_vccnz .LBB63_147
; %bb.138:                              ;   in Loop: Header=BB63_89 Depth=1
                                        ; implicit-def: $vgpr21
                                        ; implicit-def: $vgpr29
	s_and_saveexec_b64 s[4:5], s[2:3]
	s_xor_b64 s[24:25], exec, s[4:5]
	s_cbranch_execz .LBB63_144
; %bb.139:                              ;   in Loop: Header=BB63_89 Depth=1
	v_cmp_neq_f32_e32 vcc, 0, v19
	v_cmp_neq_f32_e64 s[4:5], 0, v20
	s_or_b64 s[4:5], s[4:5], vcc
                                        ; implicit-def: $vgpr21
                                        ; implicit-def: $vgpr29
	s_and_saveexec_b64 s[30:31], s[4:5]
	s_xor_b64 s[4:5], exec, s[30:31]
	s_cbranch_execz .LBB63_141
; %bb.140:                              ;   in Loop: Header=BB63_89 Depth=1
	v_div_scale_f32 v21, s[30:31], v19, v19, v20
	v_div_scale_f32 v22, vcc, v20, v19, v20
	v_rcp_f32_e32 v29, v21
	v_fma_f32 v30, -v21, v29, 1.0
	v_fmac_f32_e32 v29, v30, v29
	v_mul_f32_e32 v30, v22, v29
	v_fma_f32 v31, -v21, v30, v22
	v_fmac_f32_e32 v30, v31, v29
	v_fma_f32 v21, -v21, v30, v22
	v_div_fmas_f32 v21, v21, v29, v30
	v_div_fixup_f32 v21, v21, v19, v20
	v_fma_f32 v22, v20, v21, v19
	v_div_scale_f32 v29, s[30:31], v22, v22, 1.0
	v_div_scale_f32 v30, vcc, 1.0, v22, 1.0
	v_rcp_f32_e32 v31, v29
	v_fma_f32 v32, -v29, v31, 1.0
	v_fmac_f32_e32 v31, v32, v31
	v_mul_f32_e32 v32, v30, v31
	v_fma_f32 v33, -v29, v32, v30
	v_fmac_f32_e32 v32, v33, v31
	v_fma_f32 v29, -v29, v32, v30
	v_div_fmas_f32 v29, v29, v31, v32
	v_mov_b32_e32 v30, s12
	v_mov_b32_e32 v31, s13
	v_fma_f32 v30, s13, v21, v30
	v_fma_f32 v21, -v21, s12, v31
	v_div_fixup_f32 v22, v29, v22, 1.0
	v_mul_f32_e32 v29, v30, v22
	v_mul_f32_e32 v21, v21, v22
.LBB63_141:                             ;   in Loop: Header=BB63_89 Depth=1
	s_andn2_saveexec_b64 s[4:5], s[4:5]
	s_cbranch_execz .LBB63_143
; %bb.142:                              ;   in Loop: Header=BB63_89 Depth=1
	v_div_scale_f32 v21, s[30:31], v27, v27, s12
	v_rcp_f32_e32 v22, v21
	v_fma_f32 v29, -v21, v22, 1.0
	v_fmac_f32_e32 v22, v29, v22
	v_div_scale_f32 v29, vcc, s12, v27, s12
	v_mul_f32_e32 v30, v29, v22
	v_fma_f32 v31, -v21, v30, v29
	v_fmac_f32_e32 v30, v31, v22
	v_fma_f32 v21, -v21, v30, v29
	v_div_fmas_f32 v21, v21, v22, v30
	v_div_fixup_f32 v29, v21, v27, s12
	v_div_scale_f32 v21, s[30:31], v28, v28, s13
	v_rcp_f32_e32 v22, v21
	v_fma_f32 v30, -v21, v22, 1.0
	v_fmac_f32_e32 v22, v30, v22
	v_div_scale_f32 v30, vcc, s13, v28, s13
	v_mul_f32_e32 v31, v30, v22
	v_fma_f32 v32, -v21, v31, v30
	v_fmac_f32_e32 v31, v32, v22
	v_fma_f32 v21, -v21, v31, v30
	v_div_fmas_f32 v21, v21, v22, v31
	v_div_fixup_f32 v21, v21, v28, s13
.LBB63_143:                             ;   in Loop: Header=BB63_89 Depth=1
	s_or_b64 exec, exec, s[4:5]
.LBB63_144:                             ;   in Loop: Header=BB63_89 Depth=1
	s_andn2_saveexec_b64 s[4:5], s[24:25]
	s_cbranch_execz .LBB63_146
; %bb.145:                              ;   in Loop: Header=BB63_89 Depth=1
	v_div_scale_f32 v21, s[24:25], v20, v20, v19
	v_div_scale_f32 v22, vcc, v19, v20, v19
	v_rcp_f32_e32 v29, v21
	v_fma_f32 v30, -v21, v29, 1.0
	v_fmac_f32_e32 v29, v30, v29
	v_mul_f32_e32 v30, v22, v29
	v_fma_f32 v31, -v21, v30, v22
	v_fmac_f32_e32 v30, v31, v29
	v_fma_f32 v21, -v21, v30, v22
	v_div_fmas_f32 v21, v21, v29, v30
	v_div_fixup_f32 v21, v21, v20, v19
	v_fma_f32 v22, v19, v21, v20
	v_div_scale_f32 v29, s[24:25], v22, v22, 1.0
	v_div_scale_f32 v30, vcc, 1.0, v22, 1.0
	v_rcp_f32_e32 v31, v29
	v_fma_f32 v32, -v29, v31, 1.0
	v_fmac_f32_e32 v31, v32, v31
	v_mul_f32_e32 v32, v30, v31
	v_fma_f32 v33, -v29, v32, v30
	v_fmac_f32_e32 v32, v33, v31
	v_fma_f32 v29, -v29, v32, v30
	v_div_fmas_f32 v29, v29, v31, v32
	v_mov_b32_e32 v30, s13
	v_mov_b32_e32 v31, s12
	v_fma_f32 v30, s12, v21, v30
	v_fma_f32 v21, v21, s13, -v31
	v_div_fixup_f32 v22, v29, v22, 1.0
	v_mul_f32_e32 v29, v30, v22
	v_mul_f32_e32 v21, v21, v22
.LBB63_146:                             ;   in Loop: Header=BB63_89 Depth=1
	s_or_b64 exec, exec, s[4:5]
	v_mul_f32_e32 v22, s9, v21
	v_mul_f32_e32 v21, s8, v21
	v_fma_f32 v22, v29, s8, -v22
	v_fmac_f32_e32 v21, s9, v29
	s_mov_b64 s[4:5], 0
.LBB63_147:                             ;   in Loop: Header=BB63_89 Depth=1
	s_and_b64 vcc, exec, s[4:5]
	s_cbranch_vccz .LBB63_157
; %bb.148:                              ;   in Loop: Header=BB63_89 Depth=1
                                        ; implicit-def: $vgpr21
                                        ; implicit-def: $vgpr22
	s_and_saveexec_b64 s[4:5], s[2:3]
	s_xor_b64 s[4:5], exec, s[4:5]
	s_cbranch_execz .LBB63_154
; %bb.149:                              ;   in Loop: Header=BB63_89 Depth=1
	v_cmp_neq_f32_e32 vcc, 0, v19
	v_cmp_neq_f32_e64 s[2:3], 0, v20
	s_or_b64 s[2:3], s[2:3], vcc
                                        ; implicit-def: $vgpr21
                                        ; implicit-def: $vgpr22
	s_and_saveexec_b64 s[24:25], s[2:3]
	s_xor_b64 s[2:3], exec, s[24:25]
	s_cbranch_execz .LBB63_151
; %bb.150:                              ;   in Loop: Header=BB63_89 Depth=1
	v_div_scale_f32 v21, s[24:25], v19, v19, v20
	v_div_scale_f32 v22, vcc, v20, v19, v20
	v_rcp_f32_e32 v27, v21
	v_fma_f32 v28, -v21, v27, 1.0
	v_fmac_f32_e32 v27, v28, v27
	v_mul_f32_e32 v28, v22, v27
	v_fma_f32 v29, -v21, v28, v22
	v_fmac_f32_e32 v28, v29, v27
	v_fma_f32 v21, -v21, v28, v22
	v_div_fmas_f32 v21, v21, v27, v28
	v_div_fixup_f32 v21, v21, v19, v20
	v_fmac_f32_e32 v19, v20, v21
	v_div_scale_f32 v20, s[24:25], v19, v19, 1.0
	v_div_scale_f32 v22, vcc, 1.0, v19, 1.0
	v_rcp_f32_e32 v27, v20
	v_fma_f32 v28, -v20, v27, 1.0
	v_fmac_f32_e32 v27, v28, v27
	v_mul_f32_e32 v28, v22, v27
	v_fma_f32 v29, -v20, v28, v22
	v_fmac_f32_e32 v28, v29, v27
	v_fma_f32 v20, -v20, v28, v22
	v_div_fmas_f32 v20, v20, v27, v28
	v_mov_b32_e32 v22, s12
	v_mov_b32_e32 v27, s13
	v_fma_f32 v22, s13, v21, v22
	v_fma_f32 v21, -v21, s12, v27
                                        ; implicit-def: $vgpr27
                                        ; implicit-def: $vgpr28
	v_div_fixup_f32 v19, v20, v19, 1.0
	v_mul_f32_e32 v22, v22, v19
	v_mul_f32_e32 v21, v21, v19
.LBB63_151:                             ;   in Loop: Header=BB63_89 Depth=1
	s_andn2_saveexec_b64 s[24:25], s[2:3]
	s_cbranch_execz .LBB63_153
; %bb.152:                              ;   in Loop: Header=BB63_89 Depth=1
	v_div_scale_f32 v19, s[2:3], v27, v27, s12
	v_div_scale_f32 v20, s[2:3], v28, v28, s13
	v_div_scale_f32 v21, vcc, s12, v27, s12
	v_div_scale_f32 v22, s[2:3], s13, v28, s13
	v_rcp_f32_e32 v29, v19
	v_rcp_f32_e32 v30, v20
	v_fma_f32 v31, -v19, v29, 1.0
	v_fmac_f32_e32 v29, v31, v29
	v_fma_f32 v32, -v20, v30, 1.0
	v_fmac_f32_e32 v30, v32, v30
	v_mul_f32_e32 v31, v21, v29
	v_mul_f32_e32 v32, v22, v30
	v_fma_f32 v33, -v19, v31, v21
	v_fma_f32 v34, -v20, v32, v22
	v_fmac_f32_e32 v31, v33, v29
	v_fmac_f32_e32 v32, v34, v30
	v_fma_f32 v19, -v19, v31, v21
	v_fma_f32 v20, -v20, v32, v22
	v_div_fmas_f32 v19, v19, v29, v31
	s_mov_b64 vcc, s[2:3]
	v_div_fmas_f32 v20, v20, v30, v32
	v_div_fixup_f32 v22, v19, v27, s12
	v_div_fixup_f32 v21, v20, v28, s13
.LBB63_153:                             ;   in Loop: Header=BB63_89 Depth=1
	s_or_b64 exec, exec, s[24:25]
                                        ; implicit-def: $vgpr20
.LBB63_154:                             ;   in Loop: Header=BB63_89 Depth=1
	s_andn2_saveexec_b64 s[2:3], s[4:5]
	s_cbranch_execz .LBB63_156
; %bb.155:                              ;   in Loop: Header=BB63_89 Depth=1
	v_div_scale_f32 v21, s[4:5], v20, v20, v19
	v_div_scale_f32 v22, vcc, v19, v20, v19
	v_rcp_f32_e32 v27, v21
	v_fma_f32 v28, -v21, v27, 1.0
	v_fmac_f32_e32 v27, v28, v27
	v_mul_f32_e32 v28, v22, v27
	v_fma_f32 v29, -v21, v28, v22
	v_fmac_f32_e32 v28, v29, v27
	v_fma_f32 v21, -v21, v28, v22
	v_div_fmas_f32 v21, v21, v27, v28
	v_div_fixup_f32 v21, v21, v20, v19
	v_fmac_f32_e32 v20, v19, v21
	v_div_scale_f32 v19, s[4:5], v20, v20, 1.0
	v_div_scale_f32 v22, vcc, 1.0, v20, 1.0
	v_rcp_f32_e32 v27, v19
	v_fma_f32 v28, -v19, v27, 1.0
	v_fmac_f32_e32 v27, v28, v27
	v_mul_f32_e32 v28, v22, v27
	v_fma_f32 v29, -v19, v28, v22
	v_fmac_f32_e32 v28, v29, v27
	v_fma_f32 v19, -v19, v28, v22
	v_div_fmas_f32 v19, v19, v27, v28
	v_mov_b32_e32 v22, s13
	v_mov_b32_e32 v27, s12
	v_fma_f32 v22, s12, v21, v22
	v_fma_f32 v21, v21, s13, -v27
	v_div_fixup_f32 v19, v19, v20, 1.0
	v_mul_f32_e32 v22, v22, v19
	v_mul_f32_e32 v21, v21, v19
.LBB63_156:                             ;   in Loop: Header=BB63_89 Depth=1
	s_or_b64 exec, exec, s[2:3]
.LBB63_157:                             ;   in Loop: Header=BB63_89 Depth=1
	v_cmp_gt_f32_e32 vcc, 0, v17
	v_cndmask_b32_e64 v19, v17, -v17, vcc
	v_cmp_gt_f32_e32 vcc, 0, v18
	v_cndmask_b32_e64 v20, v18, -v18, vcc
	v_cmp_ge_f32_e64 s[2:3], v19, v20
	s_and_b64 vcc, exec, s[0:1]
	s_mov_b64 s[0:1], -1
                                        ; implicit-def: $vgpr27
                                        ; implicit-def: $vgpr28
	s_cbranch_vccz .LBB63_163
; %bb.158:                              ;   in Loop: Header=BB63_89 Depth=1
	s_and_b64 vcc, exec, s[0:1]
	s_cbranch_vccnz .LBB63_172
.LBB63_159:                             ;   in Loop: Header=BB63_89 Depth=1
	v_cmp_gt_u64_e32 vcc, s[20:21], v[1:2]
	s_and_saveexec_b64 s[0:1], vcc
	s_xor_b64 s[0:1], exec, s[0:1]
	s_cbranch_execnz .LBB63_181
.LBB63_160:                             ;   in Loop: Header=BB63_89 Depth=1
	s_or_b64 exec, exec, s[0:1]
	v_cmp_gt_u64_e32 vcc, s[20:21], v[5:6]
	s_and_saveexec_b64 s[0:1], vcc
	s_cbranch_execnz .LBB63_182
.LBB63_161:                             ;   in Loop: Header=BB63_89 Depth=1
	s_or_b64 exec, exec, s[0:1]
	v_cmp_gt_u64_e32 vcc, s[20:21], v[9:10]
	s_and_saveexec_b64 s[0:1], vcc
	s_cbranch_execnz .LBB63_183
.LBB63_162:                             ;   in Loop: Header=BB63_89 Depth=1
	s_or_b64 exec, exec, s[0:1]
	v_cmp_gt_u64_e32 vcc, s[20:21], v[13:14]
	s_and_saveexec_b64 s[0:1], vcc
	s_cbranch_execz .LBB63_88
	s_branch .LBB63_184
.LBB63_163:                             ;   in Loop: Header=BB63_89 Depth=1
                                        ; implicit-def: $vgpr27
                                        ; implicit-def: $vgpr29
	s_and_saveexec_b64 s[0:1], s[2:3]
	s_xor_b64 s[4:5], exec, s[0:1]
	s_cbranch_execz .LBB63_169
; %bb.164:                              ;   in Loop: Header=BB63_89 Depth=1
	v_cmp_neq_f32_e32 vcc, 0, v17
	v_cmp_neq_f32_e64 s[0:1], 0, v18
	s_or_b64 s[0:1], s[0:1], vcc
                                        ; implicit-def: $vgpr27
                                        ; implicit-def: $vgpr29
	s_and_saveexec_b64 s[24:25], s[0:1]
	s_xor_b64 s[0:1], exec, s[24:25]
	s_cbranch_execz .LBB63_166
; %bb.165:                              ;   in Loop: Header=BB63_89 Depth=1
	v_div_scale_f32 v27, s[24:25], v17, v17, v18
	v_div_scale_f32 v28, vcc, v18, v17, v18
	v_rcp_f32_e32 v29, v27
	v_fma_f32 v30, -v27, v29, 1.0
	v_fmac_f32_e32 v29, v30, v29
	v_mul_f32_e32 v30, v28, v29
	v_fma_f32 v31, -v27, v30, v28
	v_fmac_f32_e32 v30, v31, v29
	v_fma_f32 v27, -v27, v30, v28
	v_div_fmas_f32 v27, v27, v29, v30
	v_div_fixup_f32 v27, v27, v17, v18
	v_fma_f32 v28, v18, v27, v17
	v_div_scale_f32 v29, s[24:25], v28, v28, 1.0
	v_div_scale_f32 v30, vcc, 1.0, v28, 1.0
	v_rcp_f32_e32 v31, v29
	v_fma_f32 v32, -v29, v31, 1.0
	v_fmac_f32_e32 v31, v32, v31
	v_mul_f32_e32 v32, v30, v31
	v_fma_f32 v33, -v29, v32, v30
	v_fmac_f32_e32 v32, v33, v31
	v_fma_f32 v29, -v29, v32, v30
	v_div_fmas_f32 v29, v29, v31, v32
	v_mov_b32_e32 v30, s12
	v_mov_b32_e32 v31, s13
	v_fma_f32 v30, s13, v27, v30
	v_fma_f32 v27, -v27, s12, v31
	v_div_fixup_f32 v28, v29, v28, 1.0
	v_mul_f32_e32 v29, v30, v28
	v_mul_f32_e32 v27, v27, v28
.LBB63_166:                             ;   in Loop: Header=BB63_89 Depth=1
	s_andn2_saveexec_b64 s[0:1], s[0:1]
	s_cbranch_execz .LBB63_168
; %bb.167:                              ;   in Loop: Header=BB63_89 Depth=1
	v_div_scale_f32 v27, s[24:25], v19, v19, s12
	v_rcp_f32_e32 v28, v27
	v_fma_f32 v29, -v27, v28, 1.0
	v_fmac_f32_e32 v28, v29, v28
	v_div_scale_f32 v29, vcc, s12, v19, s12
	v_mul_f32_e32 v30, v29, v28
	v_fma_f32 v31, -v27, v30, v29
	v_fmac_f32_e32 v30, v31, v28
	v_fma_f32 v27, -v27, v30, v29
	v_div_fmas_f32 v27, v27, v28, v30
	v_div_fixup_f32 v29, v27, v19, s12
	v_div_scale_f32 v27, s[24:25], v20, v20, s13
	v_rcp_f32_e32 v28, v27
	v_fma_f32 v30, -v27, v28, 1.0
	v_fmac_f32_e32 v28, v30, v28
	v_div_scale_f32 v30, vcc, s13, v20, s13
	v_mul_f32_e32 v31, v30, v28
	v_fma_f32 v32, -v27, v31, v30
	v_fmac_f32_e32 v31, v32, v28
	v_fma_f32 v27, -v27, v31, v30
	v_div_fmas_f32 v27, v27, v28, v31
	v_div_fixup_f32 v27, v27, v20, s13
.LBB63_168:                             ;   in Loop: Header=BB63_89 Depth=1
	s_or_b64 exec, exec, s[0:1]
.LBB63_169:                             ;   in Loop: Header=BB63_89 Depth=1
	s_andn2_saveexec_b64 s[0:1], s[4:5]
	s_cbranch_execz .LBB63_171
; %bb.170:                              ;   in Loop: Header=BB63_89 Depth=1
	v_div_scale_f32 v27, s[4:5], v18, v18, v17
	v_div_scale_f32 v28, vcc, v17, v18, v17
	v_rcp_f32_e32 v29, v27
	v_fma_f32 v30, -v27, v29, 1.0
	v_fmac_f32_e32 v29, v30, v29
	v_mul_f32_e32 v30, v28, v29
	v_fma_f32 v31, -v27, v30, v28
	v_fmac_f32_e32 v30, v31, v29
	v_fma_f32 v27, -v27, v30, v28
	v_div_fmas_f32 v27, v27, v29, v30
	v_div_fixup_f32 v27, v27, v18, v17
	v_fma_f32 v28, v17, v27, v18
	v_div_scale_f32 v29, s[4:5], v28, v28, 1.0
	v_div_scale_f32 v30, vcc, 1.0, v28, 1.0
	v_rcp_f32_e32 v31, v29
	v_fma_f32 v32, -v29, v31, 1.0
	v_fmac_f32_e32 v31, v32, v31
	v_mul_f32_e32 v32, v30, v31
	v_fma_f32 v33, -v29, v32, v30
	v_fmac_f32_e32 v32, v33, v31
	v_fma_f32 v29, -v29, v32, v30
	v_div_fmas_f32 v29, v29, v31, v32
	v_mov_b32_e32 v30, s13
	v_mov_b32_e32 v31, s12
	v_fma_f32 v30, s12, v27, v30
	v_fma_f32 v27, v27, s13, -v31
	v_div_fixup_f32 v28, v29, v28, 1.0
	v_mul_f32_e32 v29, v30, v28
	v_mul_f32_e32 v27, v27, v28
.LBB63_171:                             ;   in Loop: Header=BB63_89 Depth=1
	s_or_b64 exec, exec, s[0:1]
	v_mul_f32_e32 v28, s9, v27
	v_mul_f32_e32 v27, s8, v27
	v_fma_f32 v28, v29, s8, -v28
	v_fmac_f32_e32 v27, s9, v29
	s_branch .LBB63_159
.LBB63_172:                             ;   in Loop: Header=BB63_89 Depth=1
                                        ; implicit-def: $vgpr27
                                        ; implicit-def: $vgpr28
	s_and_saveexec_b64 s[0:1], s[2:3]
	s_xor_b64 s[2:3], exec, s[0:1]
	s_cbranch_execz .LBB63_178
; %bb.173:                              ;   in Loop: Header=BB63_89 Depth=1
	v_cmp_neq_f32_e32 vcc, 0, v17
	v_cmp_neq_f32_e64 s[0:1], 0, v18
	s_or_b64 s[0:1], s[0:1], vcc
                                        ; implicit-def: $vgpr27
                                        ; implicit-def: $vgpr28
	s_and_saveexec_b64 s[4:5], s[0:1]
	s_xor_b64 s[0:1], exec, s[4:5]
	s_cbranch_execz .LBB63_175
; %bb.174:                              ;   in Loop: Header=BB63_89 Depth=1
	v_div_scale_f32 v19, s[4:5], v17, v17, v18
	v_div_scale_f32 v20, vcc, v18, v17, v18
	v_rcp_f32_e32 v27, v19
	v_fma_f32 v28, -v19, v27, 1.0
	v_fmac_f32_e32 v27, v28, v27
	v_mul_f32_e32 v28, v20, v27
	v_fma_f32 v29, -v19, v28, v20
	v_fmac_f32_e32 v28, v29, v27
	v_fma_f32 v19, -v19, v28, v20
	v_div_fmas_f32 v19, v19, v27, v28
	v_div_fixup_f32 v19, v19, v17, v18
	v_fmac_f32_e32 v17, v18, v19
	v_div_scale_f32 v18, s[4:5], v17, v17, 1.0
	v_div_scale_f32 v20, vcc, 1.0, v17, 1.0
	v_rcp_f32_e32 v27, v18
	v_fma_f32 v28, -v18, v27, 1.0
	v_fmac_f32_e32 v27, v28, v27
	v_mul_f32_e32 v28, v20, v27
	v_fma_f32 v29, -v18, v28, v20
	v_fmac_f32_e32 v28, v29, v27
	v_fma_f32 v18, -v18, v28, v20
	v_div_fmas_f32 v18, v18, v27, v28
	v_mov_b32_e32 v20, s12
	v_mov_b32_e32 v27, s13
	v_fma_f32 v20, s13, v19, v20
	v_fma_f32 v19, -v19, s12, v27
	v_div_fixup_f32 v17, v18, v17, 1.0
	v_mul_f32_e32 v28, v20, v17
	v_mul_f32_e32 v27, v19, v17
                                        ; implicit-def: $vgpr19
                                        ; implicit-def: $vgpr20
.LBB63_175:                             ;   in Loop: Header=BB63_89 Depth=1
	s_andn2_saveexec_b64 s[4:5], s[0:1]
	s_cbranch_execz .LBB63_177
; %bb.176:                              ;   in Loop: Header=BB63_89 Depth=1
	v_div_scale_f32 v17, s[0:1], v19, v19, s12
	v_div_scale_f32 v18, s[0:1], v20, v20, s13
	v_div_scale_f32 v27, vcc, s12, v19, s12
	v_div_scale_f32 v28, s[0:1], s13, v20, s13
	v_rcp_f32_e32 v29, v17
	v_rcp_f32_e32 v30, v18
	v_fma_f32 v31, -v17, v29, 1.0
	v_fmac_f32_e32 v29, v31, v29
	v_fma_f32 v32, -v18, v30, 1.0
	v_fmac_f32_e32 v30, v32, v30
	v_mul_f32_e32 v31, v27, v29
	v_mul_f32_e32 v32, v28, v30
	v_fma_f32 v33, -v17, v31, v27
	v_fma_f32 v34, -v18, v32, v28
	v_fmac_f32_e32 v31, v33, v29
	v_fmac_f32_e32 v32, v34, v30
	v_fma_f32 v17, -v17, v31, v27
	v_fma_f32 v18, -v18, v32, v28
	v_div_fmas_f32 v17, v17, v29, v31
	s_mov_b64 vcc, s[0:1]
	v_div_fmas_f32 v18, v18, v30, v32
	v_div_fixup_f32 v28, v17, v19, s12
	v_div_fixup_f32 v27, v18, v20, s13
.LBB63_177:                             ;   in Loop: Header=BB63_89 Depth=1
	s_or_b64 exec, exec, s[4:5]
                                        ; implicit-def: $vgpr18
.LBB63_178:                             ;   in Loop: Header=BB63_89 Depth=1
	s_andn2_saveexec_b64 s[0:1], s[2:3]
	s_cbranch_execz .LBB63_180
; %bb.179:                              ;   in Loop: Header=BB63_89 Depth=1
	v_div_scale_f32 v19, s[2:3], v18, v18, v17
	v_div_scale_f32 v20, vcc, v17, v18, v17
	v_rcp_f32_e32 v27, v19
	v_fma_f32 v28, -v19, v27, 1.0
	v_fmac_f32_e32 v27, v28, v27
	v_mul_f32_e32 v28, v20, v27
	v_fma_f32 v29, -v19, v28, v20
	v_fmac_f32_e32 v28, v29, v27
	v_fma_f32 v19, -v19, v28, v20
	v_div_fmas_f32 v19, v19, v27, v28
	v_div_fixup_f32 v19, v19, v18, v17
	v_fmac_f32_e32 v18, v17, v19
	v_div_scale_f32 v17, s[2:3], v18, v18, 1.0
	v_div_scale_f32 v20, vcc, 1.0, v18, 1.0
	v_rcp_f32_e32 v27, v17
	v_fma_f32 v28, -v17, v27, 1.0
	v_fmac_f32_e32 v27, v28, v27
	v_mul_f32_e32 v28, v20, v27
	v_fma_f32 v29, -v17, v28, v20
	v_fmac_f32_e32 v28, v29, v27
	v_fma_f32 v17, -v17, v28, v20
	v_div_fmas_f32 v17, v17, v27, v28
	v_mov_b32_e32 v20, s13
	v_mov_b32_e32 v27, s12
	v_fma_f32 v20, s12, v19, v20
	v_fma_f32 v19, v19, s13, -v27
	v_div_fixup_f32 v17, v17, v18, 1.0
	v_mul_f32_e32 v28, v20, v17
	v_mul_f32_e32 v27, v19, v17
.LBB63_180:                             ;   in Loop: Header=BB63_89 Depth=1
	s_or_b64 exec, exec, s[0:1]
	v_cmp_gt_u64_e32 vcc, s[20:21], v[1:2]
	s_and_saveexec_b64 s[0:1], vcc
	s_xor_b64 s[0:1], exec, s[0:1]
	s_cbranch_execz .LBB63_160
.LBB63_181:                             ;   in Loop: Header=BB63_89 Depth=1
	v_lshlrev_b64 v[1:2], 3, v[1:2]
	v_mov_b32_e32 v17, s17
	v_add_co_u32_e32 v1, vcc, s16, v1
	v_add_f32_e32 v3, v3, v25
	v_add_f32_e32 v4, v4, v26
	v_addc_co_u32_e32 v2, vcc, v17, v2, vcc
	global_store_dwordx2 v[1:2], v[3:4], off
	s_or_b64 exec, exec, s[0:1]
	v_cmp_gt_u64_e32 vcc, s[20:21], v[5:6]
	s_and_saveexec_b64 s[0:1], vcc
	s_cbranch_execz .LBB63_161
.LBB63_182:                             ;   in Loop: Header=BB63_89 Depth=1
	v_lshlrev_b64 v[3:4], 3, v[5:6]
	v_mov_b32_e32 v5, s17
	v_add_co_u32_e32 v3, vcc, s16, v3
	v_add_f32_e32 v1, v7, v24
	v_add_f32_e32 v2, v8, v23
	v_addc_co_u32_e32 v4, vcc, v5, v4, vcc
	global_store_dwordx2 v[3:4], v[1:2], off
	s_or_b64 exec, exec, s[0:1]
	v_cmp_gt_u64_e32 vcc, s[20:21], v[9:10]
	s_and_saveexec_b64 s[0:1], vcc
	s_cbranch_execz .LBB63_162
.LBB63_183:                             ;   in Loop: Header=BB63_89 Depth=1
	v_lshlrev_b64 v[3:4], 3, v[9:10]
	v_mov_b32_e32 v5, s17
	v_add_co_u32_e32 v3, vcc, s16, v3
	v_add_f32_e32 v1, v11, v22
	v_add_f32_e32 v2, v12, v21
	v_addc_co_u32_e32 v4, vcc, v5, v4, vcc
	global_store_dwordx2 v[3:4], v[1:2], off
	s_or_b64 exec, exec, s[0:1]
	v_cmp_gt_u64_e32 vcc, s[20:21], v[13:14]
	s_and_saveexec_b64 s[0:1], vcc
	s_cbranch_execz .LBB63_88
.LBB63_184:                             ;   in Loop: Header=BB63_89 Depth=1
	v_lshlrev_b64 v[3:4], 3, v[13:14]
	v_mov_b32_e32 v5, s17
	v_add_co_u32_e32 v3, vcc, s16, v3
	v_add_f32_e32 v1, v15, v28
	v_add_f32_e32 v2, v16, v27
	v_addc_co_u32_e32 v4, vcc, v5, v4, vcc
	global_store_dwordx2 v[3:4], v[1:2], off
	s_branch .LBB63_88
.LBB63_185:
	s_endpgm
	.section	.rodata,"a",@progbits
	.p2align	6, 0x0
	.amdhsa_kernel _ZN2at6native12_GLOBAL__N_125multi_tensor_apply_kernelINS1_18TensorListMetadataILi4EEENS1_32PointwiseOpScalar0dTensorFunctorIN3c107complexIfEELi4ELi2ELi3EEEJSt7dividesIS8_ES8_EEEvT_T0_DpT1_
		.amdhsa_group_segment_fixed_size 0
		.amdhsa_private_segment_fixed_size 0
		.amdhsa_kernarg_size 3320
		.amdhsa_user_sgpr_count 6
		.amdhsa_user_sgpr_private_segment_buffer 1
		.amdhsa_user_sgpr_dispatch_ptr 0
		.amdhsa_user_sgpr_queue_ptr 0
		.amdhsa_user_sgpr_kernarg_segment_ptr 1
		.amdhsa_user_sgpr_dispatch_id 0
		.amdhsa_user_sgpr_flat_scratch_init 0
		.amdhsa_user_sgpr_private_segment_size 0
		.amdhsa_uses_dynamic_stack 0
		.amdhsa_system_sgpr_private_segment_wavefront_offset 0
		.amdhsa_system_sgpr_workgroup_id_x 1
		.amdhsa_system_sgpr_workgroup_id_y 0
		.amdhsa_system_sgpr_workgroup_id_z 0
		.amdhsa_system_sgpr_workgroup_info 0
		.amdhsa_system_vgpr_workitem_id 0
		.amdhsa_next_free_vgpr 35
		.amdhsa_next_free_sgpr 41
		.amdhsa_reserve_vcc 1
		.amdhsa_reserve_flat_scratch 0
		.amdhsa_float_round_mode_32 0
		.amdhsa_float_round_mode_16_64 0
		.amdhsa_float_denorm_mode_32 3
		.amdhsa_float_denorm_mode_16_64 3
		.amdhsa_dx10_clamp 1
		.amdhsa_ieee_mode 1
		.amdhsa_fp16_overflow 0
		.amdhsa_exception_fp_ieee_invalid_op 0
		.amdhsa_exception_fp_denorm_src 0
		.amdhsa_exception_fp_ieee_div_zero 0
		.amdhsa_exception_fp_ieee_overflow 0
		.amdhsa_exception_fp_ieee_underflow 0
		.amdhsa_exception_fp_ieee_inexact 0
		.amdhsa_exception_int_div_zero 0
	.end_amdhsa_kernel
	.section	.text._ZN2at6native12_GLOBAL__N_125multi_tensor_apply_kernelINS1_18TensorListMetadataILi4EEENS1_32PointwiseOpScalar0dTensorFunctorIN3c107complexIfEELi4ELi2ELi3EEEJSt7dividesIS8_ES8_EEEvT_T0_DpT1_,"axG",@progbits,_ZN2at6native12_GLOBAL__N_125multi_tensor_apply_kernelINS1_18TensorListMetadataILi4EEENS1_32PointwiseOpScalar0dTensorFunctorIN3c107complexIfEELi4ELi2ELi3EEEJSt7dividesIS8_ES8_EEEvT_T0_DpT1_,comdat
.Lfunc_end63:
	.size	_ZN2at6native12_GLOBAL__N_125multi_tensor_apply_kernelINS1_18TensorListMetadataILi4EEENS1_32PointwiseOpScalar0dTensorFunctorIN3c107complexIfEELi4ELi2ELi3EEEJSt7dividesIS8_ES8_EEEvT_T0_DpT1_, .Lfunc_end63-_ZN2at6native12_GLOBAL__N_125multi_tensor_apply_kernelINS1_18TensorListMetadataILi4EEENS1_32PointwiseOpScalar0dTensorFunctorIN3c107complexIfEELi4ELi2ELi3EEEJSt7dividesIS8_ES8_EEEvT_T0_DpT1_
                                        ; -- End function
	.set _ZN2at6native12_GLOBAL__N_125multi_tensor_apply_kernelINS1_18TensorListMetadataILi4EEENS1_32PointwiseOpScalar0dTensorFunctorIN3c107complexIfEELi4ELi2ELi3EEEJSt7dividesIS8_ES8_EEEvT_T0_DpT1_.num_vgpr, 35
	.set _ZN2at6native12_GLOBAL__N_125multi_tensor_apply_kernelINS1_18TensorListMetadataILi4EEENS1_32PointwiseOpScalar0dTensorFunctorIN3c107complexIfEELi4ELi2ELi3EEEJSt7dividesIS8_ES8_EEEvT_T0_DpT1_.num_agpr, 0
	.set _ZN2at6native12_GLOBAL__N_125multi_tensor_apply_kernelINS1_18TensorListMetadataILi4EEENS1_32PointwiseOpScalar0dTensorFunctorIN3c107complexIfEELi4ELi2ELi3EEEJSt7dividesIS8_ES8_EEEvT_T0_DpT1_.numbered_sgpr, 41
	.set _ZN2at6native12_GLOBAL__N_125multi_tensor_apply_kernelINS1_18TensorListMetadataILi4EEENS1_32PointwiseOpScalar0dTensorFunctorIN3c107complexIfEELi4ELi2ELi3EEEJSt7dividesIS8_ES8_EEEvT_T0_DpT1_.num_named_barrier, 0
	.set _ZN2at6native12_GLOBAL__N_125multi_tensor_apply_kernelINS1_18TensorListMetadataILi4EEENS1_32PointwiseOpScalar0dTensorFunctorIN3c107complexIfEELi4ELi2ELi3EEEJSt7dividesIS8_ES8_EEEvT_T0_DpT1_.private_seg_size, 0
	.set _ZN2at6native12_GLOBAL__N_125multi_tensor_apply_kernelINS1_18TensorListMetadataILi4EEENS1_32PointwiseOpScalar0dTensorFunctorIN3c107complexIfEELi4ELi2ELi3EEEJSt7dividesIS8_ES8_EEEvT_T0_DpT1_.uses_vcc, 1
	.set _ZN2at6native12_GLOBAL__N_125multi_tensor_apply_kernelINS1_18TensorListMetadataILi4EEENS1_32PointwiseOpScalar0dTensorFunctorIN3c107complexIfEELi4ELi2ELi3EEEJSt7dividesIS8_ES8_EEEvT_T0_DpT1_.uses_flat_scratch, 0
	.set _ZN2at6native12_GLOBAL__N_125multi_tensor_apply_kernelINS1_18TensorListMetadataILi4EEENS1_32PointwiseOpScalar0dTensorFunctorIN3c107complexIfEELi4ELi2ELi3EEEJSt7dividesIS8_ES8_EEEvT_T0_DpT1_.has_dyn_sized_stack, 0
	.set _ZN2at6native12_GLOBAL__N_125multi_tensor_apply_kernelINS1_18TensorListMetadataILi4EEENS1_32PointwiseOpScalar0dTensorFunctorIN3c107complexIfEELi4ELi2ELi3EEEJSt7dividesIS8_ES8_EEEvT_T0_DpT1_.has_recursion, 0
	.set _ZN2at6native12_GLOBAL__N_125multi_tensor_apply_kernelINS1_18TensorListMetadataILi4EEENS1_32PointwiseOpScalar0dTensorFunctorIN3c107complexIfEELi4ELi2ELi3EEEJSt7dividesIS8_ES8_EEEvT_T0_DpT1_.has_indirect_call, 0
	.section	.AMDGPU.csdata,"",@progbits
; Kernel info:
; codeLenInByte = 11244
; TotalNumSgprs: 45
; NumVgprs: 35
; ScratchSize: 0
; MemoryBound: 0
; FloatMode: 240
; IeeeMode: 1
; LDSByteSize: 0 bytes/workgroup (compile time only)
; SGPRBlocks: 5
; VGPRBlocks: 8
; NumSGPRsForWavesPerEU: 45
; NumVGPRsForWavesPerEU: 35
; Occupancy: 7
; WaveLimiterHint : 0
; COMPUTE_PGM_RSRC2:SCRATCH_EN: 0
; COMPUTE_PGM_RSRC2:USER_SGPR: 6
; COMPUTE_PGM_RSRC2:TRAP_HANDLER: 0
; COMPUTE_PGM_RSRC2:TGID_X_EN: 1
; COMPUTE_PGM_RSRC2:TGID_Y_EN: 0
; COMPUTE_PGM_RSRC2:TGID_Z_EN: 0
; COMPUTE_PGM_RSRC2:TIDIG_COMP_CNT: 0
	.section	.text._ZN2at6native12_GLOBAL__N_125multi_tensor_apply_kernelINS1_18TensorListMetadataILi4EEENS1_32PointwiseOpScalar0dTensorFunctorIN3c104HalfELi4ELi2ELi3EEEJSt7dividesIfEfEEEvT_T0_DpT1_,"axG",@progbits,_ZN2at6native12_GLOBAL__N_125multi_tensor_apply_kernelINS1_18TensorListMetadataILi4EEENS1_32PointwiseOpScalar0dTensorFunctorIN3c104HalfELi4ELi2ELi3EEEJSt7dividesIfEfEEEvT_T0_DpT1_,comdat
	.globl	_ZN2at6native12_GLOBAL__N_125multi_tensor_apply_kernelINS1_18TensorListMetadataILi4EEENS1_32PointwiseOpScalar0dTensorFunctorIN3c104HalfELi4ELi2ELi3EEEJSt7dividesIfEfEEEvT_T0_DpT1_ ; -- Begin function _ZN2at6native12_GLOBAL__N_125multi_tensor_apply_kernelINS1_18TensorListMetadataILi4EEENS1_32PointwiseOpScalar0dTensorFunctorIN3c104HalfELi4ELi2ELi3EEEJSt7dividesIfEfEEEvT_T0_DpT1_
	.p2align	8
	.type	_ZN2at6native12_GLOBAL__N_125multi_tensor_apply_kernelINS1_18TensorListMetadataILi4EEENS1_32PointwiseOpScalar0dTensorFunctorIN3c104HalfELi4ELi2ELi3EEEJSt7dividesIfEfEEEvT_T0_DpT1_,@function
_ZN2at6native12_GLOBAL__N_125multi_tensor_apply_kernelINS1_18TensorListMetadataILi4EEENS1_32PointwiseOpScalar0dTensorFunctorIN3c104HalfELi4ELi2ELi3EEEJSt7dividesIfEfEEEvT_T0_DpT1_: ; @_ZN2at6native12_GLOBAL__N_125multi_tensor_apply_kernelINS1_18TensorListMetadataILi4EEENS1_32PointwiseOpScalar0dTensorFunctorIN3c104HalfELi4ELi2ELi3EEEJSt7dividesIfEfEEEvT_T0_DpT1_
; %bb.0:
	v_mov_b32_e32 v1, s6
	global_load_ubyte v1, v1, s[4:5] offset:1440
	s_add_u32 s0, s4, s6
	s_mul_hi_u32 s1, s6, 3
	s_mul_i32 s6, s6, 3
	s_addc_u32 s2, s5, 0
	s_add_u32 s0, s0, s6
	s_addc_u32 s1, s2, s1
	s_load_dword s0, s[0:1], 0x6e0
	v_mov_b32_e32 v2, 0
	s_mov_b32 s19, 0
	s_mov_b32 s21, s19
	s_waitcnt vmcnt(0)
	v_readfirstlane_b32 s1, v1
	s_lshl_b32 s12, s1, 3
	s_load_dwordx2 s[2:3], s[4:5], s12 offset:0x120
	s_load_dwordx2 s[6:7], s[4:5], s12 offset:0x240
	;; [unrolled: 1-line block ×4, first 2 shown]
	s_waitcnt lgkmcnt(0)
	s_ashr_i32 s1, s0, 31
	s_lshl_b64 s[14:15], s[0:1], 17
	global_load_ushort v1, v2, s[2:3]
	s_mov_b32 s3, s19
	s_add_u32 s10, s10, s14
	s_addc_u32 s11, s11, s15
	s_add_u32 s2, s2, s14
	s_and_b32 s18, s10, 7
	s_and_b32 s2, s2, 7
	s_cmp_lg_u64 s[2:3], 0
	s_load_dword s30, s[4:5], 0xbec
	s_load_dwordx2 s[22:23], s[4:5], s12 offset:0x480
	s_cselect_b64 s[2:3], -1, 0
	s_add_u32 s12, s6, s14
	s_addc_u32 s13, s7, s15
	s_add_u32 s14, s8, s14
	s_addc_u32 s15, s9, s15
	s_or_b32 s6, s14, s12
	s_and_b32 s6, s6, 7
	s_cmp_lg_u32 s6, 0
	s_cselect_b64 s[6:7], -1, 0
	s_lshl_b64 s[0:1], s[0:1], 16
	s_or_b64 s[2:3], s[6:7], s[2:3]
	s_waitcnt lgkmcnt(0)
	s_sub_u32 s16, s22, s0
	s_subb_u32 s17, s23, s1
	s_and_b32 s20, s22, 3
	s_or_b64 s[0:1], s[18:19], s[20:21]
	s_cmp_lg_u64 s[0:1], 0
	s_cselect_b64 s[0:1], -1, 0
	s_or_b64 s[0:1], s[2:3], s[0:1]
	s_andn2_b64 vcc, exec, s[0:1]
	s_mov_b64 s[0:1], -1
	s_waitcnt vmcnt(0)
	v_cvt_f32_f16_e32 v9, v1
	s_cbranch_vccz .LBB64_5
; %bb.1:
	v_mov_b32_e32 v3, 0x10000
	v_mov_b32_e32 v4, 0
	v_cmp_lt_i64_e32 vcc, s[16:17], v[3:4]
	v_lshlrev_b32_e32 v1, 2, v0
	s_and_b64 s[0:1], vcc, exec
	s_cselect_b32 s19, s17, 0
	s_cselect_b32 s18, s16, 0x10000
	v_cmp_gt_i64_e32 vcc, s[18:19], v[1:2]
	s_and_saveexec_b64 s[20:21], vcc
	s_cbranch_execz .LBB64_4
; %bb.2:
	s_load_dword s2, s[4:5], 0xbfc
	v_mov_b32_e32 v1, v2
	v_mov_b32_e32 v2, v1
	v_cmp_eq_f32_e64 s[0:1], s30, 1.0
	v_lshlrev_b32_e32 v3, 3, v0
	s_waitcnt lgkmcnt(0)
	s_and_b32 s31, s2, 0xffff
	s_mov_b64 s[22:23], 0
	s_lshl_b32 s33, s31, 3
	s_mov_b64 s[24:25], s[12:13]
	s_mov_b64 s[26:27], s[10:11]
	s_mov_b64 s[28:29], s[14:15]
	v_mov_b32_e32 v1, v0
.LBB64_3:                               ; =>This Inner Loop Header: Depth=1
	v_add_co_u32_e64 v1, s[6:7], s31, v1
	v_addc_co_u32_e64 v2, s[6:7], 0, v2, s[6:7]
	v_mov_b32_e32 v5, s27
	v_mov_b32_e32 v7, s25
	v_add_co_u32_e32 v4, vcc, s24, v3
	v_add_co_u32_e64 v10, s[6:7], s26, v3
	v_addc_co_u32_e64 v11, s[6:7], 0, v5, s[6:7]
	v_addc_co_u32_e32 v5, vcc, 0, v7, vcc
	global_load_dwordx2 v[4:5], v[4:5], off
	v_mov_b32_e32 v8, s29
	v_add_co_u32_e64 v6, s[2:3], s28, v3
	v_addc_co_u32_e64 v7, vcc, 0, v8, s[2:3]
	v_lshlrev_b64 v[12:13], 2, v[1:2]
	s_add_u32 s28, s28, s33
	v_cmp_le_i64_e64 s[2:3], s[18:19], v[12:13]
	s_addc_u32 s29, s29, 0
	s_add_u32 s26, s26, s33
	s_addc_u32 s27, s27, 0
	s_add_u32 s24, s24, s33
	s_addc_u32 s25, s25, 0
	s_or_b64 s[22:23], s[2:3], s[22:23]
	s_waitcnt vmcnt(0)
	v_cvt_f32_f16_e32 v8, v4
	v_cvt_f32_f16_sdwa v12, v4 dst_sel:DWORD dst_unused:UNUSED_PAD src0_sel:WORD_1
	v_cvt_f32_f16_e32 v13, v5
	v_cvt_f32_f16_sdwa v14, v5 dst_sel:DWORD dst_unused:UNUSED_PAD src0_sel:WORD_1
	v_div_scale_f32 v4, s[6:7], v8, v8, v9
	v_div_scale_f32 v5, s[6:7], v12, v12, v9
	v_div_scale_f32 v15, vcc, v9, v8, v9
	v_div_scale_f32 v16, s[6:7], v9, v12, v9
	v_rcp_f32_e32 v17, v4
	v_rcp_f32_e32 v18, v5
	v_fma_f32 v19, -v4, v17, 1.0
	v_fmac_f32_e32 v17, v19, v17
	v_fma_f32 v20, -v5, v18, 1.0
	v_mul_f32_e32 v19, v15, v17
	v_fmac_f32_e32 v18, v20, v18
	v_fma_f32 v20, -v4, v19, v15
	v_fmac_f32_e32 v19, v20, v17
	v_div_scale_f32 v20, s[8:9], v13, v13, v9
	v_fma_f32 v4, -v4, v19, v15
	v_div_scale_f32 v15, s[8:9], v14, v14, v9
	v_div_fmas_f32 v17, v4, v17, v19
	v_mul_f32_e32 v4, v16, v18
	v_fma_f32 v19, -v5, v4, v16
	v_fmac_f32_e32 v4, v19, v18
	v_div_scale_f32 v19, s[8:9], v9, v13, v9
	v_fma_f32 v5, -v5, v4, v16
	s_mov_b64 vcc, s[6:7]
	v_div_fmas_f32 v18, v5, v18, v4
	s_mov_b64 vcc, s[8:9]
	v_rcp_f32_e32 v16, v20
	v_rcp_f32_e32 v21, v15
	v_fma_f32 v4, -v20, v16, 1.0
	v_fmac_f32_e32 v16, v4, v16
	v_div_fixup_f32 v8, v17, v8, v9
	v_fma_f32 v4, -v15, v21, 1.0
	v_fmac_f32_e32 v21, v4, v21
	v_mul_f32_e32 v22, v19, v16
	v_fma_f32 v4, -v20, v22, v19
	v_fmac_f32_e32 v22, v4, v16
	global_load_dwordx2 v[4:5], v[10:11], off
	v_div_scale_f32 v11, s[6:7], v9, v14, v9
	v_fma_f32 v10, -v20, v22, v19
	v_div_fmas_f32 v10, v10, v16, v22
	s_mov_b64 vcc, s[6:7]
	v_div_fixup_f32 v12, v18, v12, v9
	v_mul_f32_e32 v16, v11, v21
	v_fma_f32 v19, -v15, v16, v11
	v_fmac_f32_e32 v16, v19, v21
	v_fma_f32 v11, -v15, v16, v11
	v_div_fmas_f32 v11, v11, v21, v16
	v_div_fixup_f32 v10, v10, v13, v9
	v_div_fixup_f32 v11, v11, v14, v9
	s_waitcnt vmcnt(0)
	v_cvt_f32_f16_e32 v19, v4
	v_cvt_f32_f16_sdwa v15, v4 dst_sel:DWORD dst_unused:UNUSED_PAD src0_sel:WORD_1
	v_cvt_f32_f16_e32 v16, v5
	v_cvt_f32_f16_sdwa v20, v5 dst_sel:DWORD dst_unused:UNUSED_PAD src0_sel:WORD_1
	v_add_f32_e32 v17, v8, v19
	v_fma_mix_f32 v8, s30, v8, v4 op_sel_hi:[0,0,1]
	v_add_f32_e32 v15, v12, v15
	v_fma_mix_f32 v4, s30, v12, v4 op_sel:[0,0,1] op_sel_hi:[0,0,1]
	v_add_f32_e32 v12, v10, v16
	v_fma_mix_f32 v10, s30, v10, v5 op_sel_hi:[0,0,1]
	v_cndmask_b32_e64 v10, v10, v12, s[0:1]
	v_add_f32_e32 v12, v11, v20
	v_fma_mix_f32 v5, s30, v11, v5 op_sel:[0,0,1] op_sel_hi:[0,0,1]
	v_cndmask_b32_e64 v8, v8, v17, s[0:1]
	v_cndmask_b32_e64 v4, v4, v15, s[0:1]
	;; [unrolled: 1-line block ×3, first 2 shown]
	v_cvt_f16_f32_e32 v8, v8
	v_cvt_f16_f32_e32 v4, v4
	;; [unrolled: 1-line block ×4, first 2 shown]
	v_pack_b32_f16 v4, v8, v4
	v_pack_b32_f16 v5, v10, v5
	global_store_dwordx2 v[6:7], v[4:5], off
	s_andn2_b64 exec, exec, s[22:23]
	s_cbranch_execnz .LBB64_3
.LBB64_4:
	s_or_b64 exec, exec, s[20:21]
	s_mov_b64 s[0:1], 0
.LBB64_5:
	s_andn2_b64 vcc, exec, s[0:1]
	s_cbranch_vccnz .LBB64_25
; %bb.6:
	v_cmp_lt_i64_e64 s[0:1], s[16:17], 1
	s_and_b64 vcc, exec, s[0:1]
	s_cbranch_vccnz .LBB64_25
; %bb.7:
	v_mov_b32_e32 v1, 0x10000
	s_load_dword s4, s[4:5], 0xbfc
	v_mov_b32_e32 v2, 0
	v_cmp_lt_i64_e32 vcc, s[16:17], v[1:2]
	s_mov_b64 s[6:7], 0
	s_and_b64 s[0:1], vcc, exec
	v_cmp_lt_u64_e32 vcc, s[16:17], v[1:2]
	s_cselect_b32 s3, s17, 0
	s_cselect_b32 s2, s16, 0x10000
	s_waitcnt lgkmcnt(0)
	s_and_b32 s18, s4, 0xffff
	s_and_b64 s[4:5], vcc, exec
	v_cmp_eq_f32_e64 s[0:1], s30, 1.0
	s_cselect_b32 s5, s17, 0
	s_cselect_b32 s4, s16, 0x10000
	s_lshl_b32 s16, s18, 1
	s_mul_i32 s17, s18, 3
	s_lshl_b32 s19, s18, 2
	s_branch .LBB64_9
.LBB64_8:                               ;   in Loop: Header=BB64_9 Depth=1
	s_or_b64 exec, exec, s[8:9]
	s_add_u32 s6, s6, s19
	v_mov_b32_e32 v1, s2
	s_addc_u32 s7, s7, 0
	v_mov_b32_e32 v2, s3
	v_cmp_ge_i64_e32 vcc, s[6:7], v[1:2]
	s_cbranch_vccnz .LBB64_25
.LBB64_9:                               ; =>This Inner Loop Header: Depth=1
	v_mov_b32_e32 v1, s7
	v_add_co_u32_e32 v7, vcc, s6, v0
	v_addc_co_u32_e32 v8, vcc, 0, v1, vcc
	v_cmp_gt_i64_e32 vcc, s[2:3], v[7:8]
	v_mov_b32_e32 v17, 0
	v_mov_b32_e32 v16, 0
	s_and_saveexec_b64 s[8:9], vcc
	s_cbranch_execz .LBB64_11
; %bb.10:                               ;   in Loop: Header=BB64_9 Depth=1
	v_lshlrev_b64 v[1:2], 1, v[7:8]
	v_mov_b32_e32 v4, s11
	v_add_co_u32_e32 v3, vcc, s10, v1
	v_addc_co_u32_e32 v4, vcc, v4, v2, vcc
	v_mov_b32_e32 v5, s13
	v_add_co_u32_e32 v1, vcc, s12, v1
	v_addc_co_u32_e32 v2, vcc, v5, v2, vcc
	global_load_ushort v5, v[3:4], off
	global_load_ushort v6, v[1:2], off
	s_waitcnt vmcnt(1)
	v_cvt_f32_f16_e32 v16, v5
	s_waitcnt vmcnt(0)
	v_cvt_f32_f16_e32 v17, v6
.LBB64_11:                              ;   in Loop: Header=BB64_9 Depth=1
	s_or_b64 exec, exec, s[8:9]
	v_add_co_u32_e32 v5, vcc, s18, v7
	v_addc_co_u32_e32 v6, vcc, 0, v8, vcc
	v_cmp_gt_i64_e32 vcc, s[2:3], v[5:6]
	v_mov_b32_e32 v10, 0
	v_mov_b32_e32 v15, 0
	;; [unrolled: 1-line block ×3, first 2 shown]
	s_and_saveexec_b64 s[8:9], vcc
	s_cbranch_execz .LBB64_13
; %bb.12:                               ;   in Loop: Header=BB64_9 Depth=1
	v_lshlrev_b64 v[1:2], 1, v[5:6]
	v_mov_b32_e32 v4, s11
	v_add_co_u32_e32 v3, vcc, s10, v1
	v_addc_co_u32_e32 v4, vcc, v4, v2, vcc
	v_mov_b32_e32 v11, s13
	v_add_co_u32_e32 v1, vcc, s12, v1
	v_addc_co_u32_e32 v2, vcc, v11, v2, vcc
	global_load_ushort v11, v[3:4], off
	global_load_ushort v12, v[1:2], off
	s_waitcnt vmcnt(1)
	v_cvt_f32_f16_e32 v14, v11
	s_waitcnt vmcnt(0)
	v_cvt_f32_f16_e32 v15, v12
.LBB64_13:                              ;   in Loop: Header=BB64_9 Depth=1
	s_or_b64 exec, exec, s[8:9]
	v_add_co_u32_e32 v3, vcc, s16, v7
	v_addc_co_u32_e32 v4, vcc, 0, v8, vcc
	v_cmp_gt_i64_e32 vcc, s[2:3], v[3:4]
	v_mov_b32_e32 v13, 0
	s_and_saveexec_b64 s[8:9], vcc
	s_cbranch_execz .LBB64_15
; %bb.14:                               ;   in Loop: Header=BB64_9 Depth=1
	v_lshlrev_b64 v[1:2], 1, v[3:4]
	v_mov_b32_e32 v11, s11
	v_add_co_u32_e32 v10, vcc, s10, v1
	v_addc_co_u32_e32 v11, vcc, v11, v2, vcc
	v_mov_b32_e32 v12, s13
	v_add_co_u32_e32 v1, vcc, s12, v1
	v_addc_co_u32_e32 v2, vcc, v12, v2, vcc
	global_load_ushort v12, v[10:11], off
	global_load_ushort v18, v[1:2], off
	s_waitcnt vmcnt(1)
	v_cvt_f32_f16_e32 v13, v12
	s_waitcnt vmcnt(0)
	v_cvt_f32_f16_e32 v10, v18
.LBB64_15:                              ;   in Loop: Header=BB64_9 Depth=1
	s_or_b64 exec, exec, s[8:9]
	v_add_co_u32_e32 v1, vcc, s17, v7
	v_addc_co_u32_e32 v2, vcc, 0, v8, vcc
	v_cmp_gt_i64_e32 vcc, s[2:3], v[1:2]
	v_mov_b32_e32 v12, 0
	v_mov_b32_e32 v11, 0
	s_and_saveexec_b64 s[8:9], vcc
	s_cbranch_execnz .LBB64_20
; %bb.16:                               ;   in Loop: Header=BB64_9 Depth=1
	s_or_b64 exec, exec, s[8:9]
	v_cmp_gt_u64_e32 vcc, s[4:5], v[7:8]
	s_and_saveexec_b64 s[8:9], vcc
	s_cbranch_execnz .LBB64_21
.LBB64_17:                              ;   in Loop: Header=BB64_9 Depth=1
	s_or_b64 exec, exec, s[8:9]
	v_cmp_gt_u64_e32 vcc, s[4:5], v[5:6]
	s_and_saveexec_b64 s[8:9], vcc
	s_cbranch_execnz .LBB64_22
.LBB64_18:                              ;   in Loop: Header=BB64_9 Depth=1
	s_or_b64 exec, exec, s[8:9]
	v_cmp_gt_u64_e32 vcc, s[4:5], v[3:4]
	s_and_saveexec_b64 s[8:9], vcc
	s_cbranch_execnz .LBB64_23
.LBB64_19:                              ;   in Loop: Header=BB64_9 Depth=1
	s_or_b64 exec, exec, s[8:9]
	v_cmp_gt_u64_e32 vcc, s[4:5], v[1:2]
	s_and_saveexec_b64 s[8:9], vcc
	s_cbranch_execz .LBB64_8
	s_branch .LBB64_24
.LBB64_20:                              ;   in Loop: Header=BB64_9 Depth=1
	v_lshlrev_b64 v[11:12], 1, v[1:2]
	v_mov_b32_e32 v19, s11
	v_add_co_u32_e32 v18, vcc, s10, v11
	v_addc_co_u32_e32 v19, vcc, v19, v12, vcc
	v_mov_b32_e32 v20, s13
	v_add_co_u32_e32 v11, vcc, s12, v11
	v_addc_co_u32_e32 v12, vcc, v20, v12, vcc
	global_load_ushort v20, v[18:19], off
	global_load_ushort v21, v[11:12], off
	s_waitcnt vmcnt(1)
	v_cvt_f32_f16_e32 v11, v20
	s_waitcnt vmcnt(0)
	v_cvt_f32_f16_e32 v12, v21
	s_or_b64 exec, exec, s[8:9]
	v_cmp_gt_u64_e32 vcc, s[4:5], v[7:8]
	s_and_saveexec_b64 s[8:9], vcc
	s_cbranch_execz .LBB64_17
.LBB64_21:                              ;   in Loop: Header=BB64_9 Depth=1
	v_div_scale_f32 v18, s[20:21], v17, v17, v9
	v_div_scale_f32 v19, vcc, v9, v17, v9
	v_lshlrev_b64 v[7:8], 1, v[7:8]
	v_rcp_f32_e32 v20, v18
	v_fma_f32 v21, -v18, v20, 1.0
	v_fmac_f32_e32 v20, v21, v20
	v_mul_f32_e32 v21, v19, v20
	v_fma_f32 v22, -v18, v21, v19
	v_fmac_f32_e32 v21, v22, v20
	v_fma_f32 v18, -v18, v21, v19
	v_div_fmas_f32 v18, v18, v20, v21
	v_mov_b32_e32 v19, s15
	v_add_co_u32_e32 v7, vcc, s14, v7
	v_addc_co_u32_e32 v8, vcc, v19, v8, vcc
	v_div_fixup_f32 v17, v18, v17, v9
	v_add_f32_e32 v18, v17, v16
	v_fmac_f32_e32 v16, s30, v17
	v_cndmask_b32_e64 v16, v16, v18, s[0:1]
	v_cvt_f16_f32_e32 v16, v16
	global_store_short v[7:8], v16, off
	s_or_b64 exec, exec, s[8:9]
	v_cmp_gt_u64_e32 vcc, s[4:5], v[5:6]
	s_and_saveexec_b64 s[8:9], vcc
	s_cbranch_execz .LBB64_18
.LBB64_22:                              ;   in Loop: Header=BB64_9 Depth=1
	v_div_scale_f32 v7, s[20:21], v15, v15, v9
	v_div_scale_f32 v8, vcc, v9, v15, v9
	v_lshlrev_b64 v[5:6], 1, v[5:6]
	v_rcp_f32_e32 v16, v7
	v_fma_f32 v17, -v7, v16, 1.0
	v_fmac_f32_e32 v16, v17, v16
	v_mul_f32_e32 v17, v8, v16
	v_fma_f32 v18, -v7, v17, v8
	v_fmac_f32_e32 v17, v18, v16
	v_fma_f32 v7, -v7, v17, v8
	v_div_fmas_f32 v7, v7, v16, v17
	v_mov_b32_e32 v8, s15
	v_add_co_u32_e32 v5, vcc, s14, v5
	v_addc_co_u32_e32 v6, vcc, v8, v6, vcc
	v_div_fixup_f32 v7, v7, v15, v9
	v_add_f32_e32 v15, v7, v14
	v_fmac_f32_e32 v14, s30, v7
	v_cndmask_b32_e64 v7, v14, v15, s[0:1]
	v_cvt_f16_f32_e32 v7, v7
	global_store_short v[5:6], v7, off
	s_or_b64 exec, exec, s[8:9]
	v_cmp_gt_u64_e32 vcc, s[4:5], v[3:4]
	s_and_saveexec_b64 s[8:9], vcc
	s_cbranch_execz .LBB64_19
.LBB64_23:                              ;   in Loop: Header=BB64_9 Depth=1
	v_div_scale_f32 v5, s[20:21], v10, v10, v9
	v_div_scale_f32 v6, vcc, v9, v10, v9
	v_lshlrev_b64 v[3:4], 1, v[3:4]
	v_rcp_f32_e32 v7, v5
	v_fma_f32 v8, -v5, v7, 1.0
	v_fmac_f32_e32 v7, v8, v7
	v_mul_f32_e32 v8, v6, v7
	v_fma_f32 v14, -v5, v8, v6
	v_fmac_f32_e32 v8, v14, v7
	v_fma_f32 v5, -v5, v8, v6
	v_div_fmas_f32 v5, v5, v7, v8
	v_mov_b32_e32 v6, s15
	v_add_co_u32_e32 v3, vcc, s14, v3
	v_addc_co_u32_e32 v4, vcc, v6, v4, vcc
	v_div_fixup_f32 v5, v5, v10, v9
	v_add_f32_e32 v7, v5, v13
	v_fmac_f32_e32 v13, s30, v5
	v_cndmask_b32_e64 v5, v13, v7, s[0:1]
	v_cvt_f16_f32_e32 v5, v5
	global_store_short v[3:4], v5, off
	s_or_b64 exec, exec, s[8:9]
	v_cmp_gt_u64_e32 vcc, s[4:5], v[1:2]
	s_and_saveexec_b64 s[8:9], vcc
	s_cbranch_execz .LBB64_8
.LBB64_24:                              ;   in Loop: Header=BB64_9 Depth=1
	v_div_scale_f32 v3, s[20:21], v12, v12, v9
	v_div_scale_f32 v4, vcc, v9, v12, v9
	v_lshlrev_b64 v[1:2], 1, v[1:2]
	v_rcp_f32_e32 v5, v3
	v_fma_f32 v6, -v3, v5, 1.0
	v_fmac_f32_e32 v5, v6, v5
	v_mul_f32_e32 v6, v4, v5
	v_fma_f32 v7, -v3, v6, v4
	v_fmac_f32_e32 v6, v7, v5
	v_fma_f32 v3, -v3, v6, v4
	v_div_fmas_f32 v3, v3, v5, v6
	v_mov_b32_e32 v4, s15
	v_add_co_u32_e32 v1, vcc, s14, v1
	v_addc_co_u32_e32 v2, vcc, v4, v2, vcc
	v_div_fixup_f32 v3, v3, v12, v9
	v_add_f32_e32 v5, v3, v11
	v_fmac_f32_e32 v11, s30, v3
	v_cndmask_b32_e64 v3, v11, v5, s[0:1]
	v_cvt_f16_f32_e32 v3, v3
	global_store_short v[1:2], v3, off
	s_branch .LBB64_8
.LBB64_25:
	s_endpgm
	.section	.rodata,"a",@progbits
	.p2align	6, 0x0
	.amdhsa_kernel _ZN2at6native12_GLOBAL__N_125multi_tensor_apply_kernelINS1_18TensorListMetadataILi4EEENS1_32PointwiseOpScalar0dTensorFunctorIN3c104HalfELi4ELi2ELi3EEEJSt7dividesIfEfEEEvT_T0_DpT1_
		.amdhsa_group_segment_fixed_size 0
		.amdhsa_private_segment_fixed_size 0
		.amdhsa_kernarg_size 3312
		.amdhsa_user_sgpr_count 6
		.amdhsa_user_sgpr_private_segment_buffer 1
		.amdhsa_user_sgpr_dispatch_ptr 0
		.amdhsa_user_sgpr_queue_ptr 0
		.amdhsa_user_sgpr_kernarg_segment_ptr 1
		.amdhsa_user_sgpr_dispatch_id 0
		.amdhsa_user_sgpr_flat_scratch_init 0
		.amdhsa_user_sgpr_private_segment_size 0
		.amdhsa_uses_dynamic_stack 0
		.amdhsa_system_sgpr_private_segment_wavefront_offset 0
		.amdhsa_system_sgpr_workgroup_id_x 1
		.amdhsa_system_sgpr_workgroup_id_y 0
		.amdhsa_system_sgpr_workgroup_id_z 0
		.amdhsa_system_sgpr_workgroup_info 0
		.amdhsa_system_vgpr_workitem_id 0
		.amdhsa_next_free_vgpr 23
		.amdhsa_next_free_sgpr 34
		.amdhsa_reserve_vcc 1
		.amdhsa_reserve_flat_scratch 0
		.amdhsa_float_round_mode_32 0
		.amdhsa_float_round_mode_16_64 0
		.amdhsa_float_denorm_mode_32 3
		.amdhsa_float_denorm_mode_16_64 3
		.amdhsa_dx10_clamp 1
		.amdhsa_ieee_mode 1
		.amdhsa_fp16_overflow 0
		.amdhsa_exception_fp_ieee_invalid_op 0
		.amdhsa_exception_fp_denorm_src 0
		.amdhsa_exception_fp_ieee_div_zero 0
		.amdhsa_exception_fp_ieee_overflow 0
		.amdhsa_exception_fp_ieee_underflow 0
		.amdhsa_exception_fp_ieee_inexact 0
		.amdhsa_exception_int_div_zero 0
	.end_amdhsa_kernel
	.section	.text._ZN2at6native12_GLOBAL__N_125multi_tensor_apply_kernelINS1_18TensorListMetadataILi4EEENS1_32PointwiseOpScalar0dTensorFunctorIN3c104HalfELi4ELi2ELi3EEEJSt7dividesIfEfEEEvT_T0_DpT1_,"axG",@progbits,_ZN2at6native12_GLOBAL__N_125multi_tensor_apply_kernelINS1_18TensorListMetadataILi4EEENS1_32PointwiseOpScalar0dTensorFunctorIN3c104HalfELi4ELi2ELi3EEEJSt7dividesIfEfEEEvT_T0_DpT1_,comdat
.Lfunc_end64:
	.size	_ZN2at6native12_GLOBAL__N_125multi_tensor_apply_kernelINS1_18TensorListMetadataILi4EEENS1_32PointwiseOpScalar0dTensorFunctorIN3c104HalfELi4ELi2ELi3EEEJSt7dividesIfEfEEEvT_T0_DpT1_, .Lfunc_end64-_ZN2at6native12_GLOBAL__N_125multi_tensor_apply_kernelINS1_18TensorListMetadataILi4EEENS1_32PointwiseOpScalar0dTensorFunctorIN3c104HalfELi4ELi2ELi3EEEJSt7dividesIfEfEEEvT_T0_DpT1_
                                        ; -- End function
	.set _ZN2at6native12_GLOBAL__N_125multi_tensor_apply_kernelINS1_18TensorListMetadataILi4EEENS1_32PointwiseOpScalar0dTensorFunctorIN3c104HalfELi4ELi2ELi3EEEJSt7dividesIfEfEEEvT_T0_DpT1_.num_vgpr, 23
	.set _ZN2at6native12_GLOBAL__N_125multi_tensor_apply_kernelINS1_18TensorListMetadataILi4EEENS1_32PointwiseOpScalar0dTensorFunctorIN3c104HalfELi4ELi2ELi3EEEJSt7dividesIfEfEEEvT_T0_DpT1_.num_agpr, 0
	.set _ZN2at6native12_GLOBAL__N_125multi_tensor_apply_kernelINS1_18TensorListMetadataILi4EEENS1_32PointwiseOpScalar0dTensorFunctorIN3c104HalfELi4ELi2ELi3EEEJSt7dividesIfEfEEEvT_T0_DpT1_.numbered_sgpr, 34
	.set _ZN2at6native12_GLOBAL__N_125multi_tensor_apply_kernelINS1_18TensorListMetadataILi4EEENS1_32PointwiseOpScalar0dTensorFunctorIN3c104HalfELi4ELi2ELi3EEEJSt7dividesIfEfEEEvT_T0_DpT1_.num_named_barrier, 0
	.set _ZN2at6native12_GLOBAL__N_125multi_tensor_apply_kernelINS1_18TensorListMetadataILi4EEENS1_32PointwiseOpScalar0dTensorFunctorIN3c104HalfELi4ELi2ELi3EEEJSt7dividesIfEfEEEvT_T0_DpT1_.private_seg_size, 0
	.set _ZN2at6native12_GLOBAL__N_125multi_tensor_apply_kernelINS1_18TensorListMetadataILi4EEENS1_32PointwiseOpScalar0dTensorFunctorIN3c104HalfELi4ELi2ELi3EEEJSt7dividesIfEfEEEvT_T0_DpT1_.uses_vcc, 1
	.set _ZN2at6native12_GLOBAL__N_125multi_tensor_apply_kernelINS1_18TensorListMetadataILi4EEENS1_32PointwiseOpScalar0dTensorFunctorIN3c104HalfELi4ELi2ELi3EEEJSt7dividesIfEfEEEvT_T0_DpT1_.uses_flat_scratch, 0
	.set _ZN2at6native12_GLOBAL__N_125multi_tensor_apply_kernelINS1_18TensorListMetadataILi4EEENS1_32PointwiseOpScalar0dTensorFunctorIN3c104HalfELi4ELi2ELi3EEEJSt7dividesIfEfEEEvT_T0_DpT1_.has_dyn_sized_stack, 0
	.set _ZN2at6native12_GLOBAL__N_125multi_tensor_apply_kernelINS1_18TensorListMetadataILi4EEENS1_32PointwiseOpScalar0dTensorFunctorIN3c104HalfELi4ELi2ELi3EEEJSt7dividesIfEfEEEvT_T0_DpT1_.has_recursion, 0
	.set _ZN2at6native12_GLOBAL__N_125multi_tensor_apply_kernelINS1_18TensorListMetadataILi4EEENS1_32PointwiseOpScalar0dTensorFunctorIN3c104HalfELi4ELi2ELi3EEEJSt7dividesIfEfEEEvT_T0_DpT1_.has_indirect_call, 0
	.section	.AMDGPU.csdata,"",@progbits
; Kernel info:
; codeLenInByte = 2148
; TotalNumSgprs: 38
; NumVgprs: 23
; ScratchSize: 0
; MemoryBound: 0
; FloatMode: 240
; IeeeMode: 1
; LDSByteSize: 0 bytes/workgroup (compile time only)
; SGPRBlocks: 4
; VGPRBlocks: 5
; NumSGPRsForWavesPerEU: 38
; NumVGPRsForWavesPerEU: 23
; Occupancy: 10
; WaveLimiterHint : 0
; COMPUTE_PGM_RSRC2:SCRATCH_EN: 0
; COMPUTE_PGM_RSRC2:USER_SGPR: 6
; COMPUTE_PGM_RSRC2:TRAP_HANDLER: 0
; COMPUTE_PGM_RSRC2:TGID_X_EN: 1
; COMPUTE_PGM_RSRC2:TGID_Y_EN: 0
; COMPUTE_PGM_RSRC2:TGID_Z_EN: 0
; COMPUTE_PGM_RSRC2:TIDIG_COMP_CNT: 0
	.section	.text._ZN2at6native12_GLOBAL__N_125multi_tensor_apply_kernelINS1_18TensorListMetadataILi4EEENS1_32PointwiseOpScalar0dTensorFunctorIN3c108BFloat16ELi4ELi2ELi3EEEJSt7dividesIfEfEEEvT_T0_DpT1_,"axG",@progbits,_ZN2at6native12_GLOBAL__N_125multi_tensor_apply_kernelINS1_18TensorListMetadataILi4EEENS1_32PointwiseOpScalar0dTensorFunctorIN3c108BFloat16ELi4ELi2ELi3EEEJSt7dividesIfEfEEEvT_T0_DpT1_,comdat
	.globl	_ZN2at6native12_GLOBAL__N_125multi_tensor_apply_kernelINS1_18TensorListMetadataILi4EEENS1_32PointwiseOpScalar0dTensorFunctorIN3c108BFloat16ELi4ELi2ELi3EEEJSt7dividesIfEfEEEvT_T0_DpT1_ ; -- Begin function _ZN2at6native12_GLOBAL__N_125multi_tensor_apply_kernelINS1_18TensorListMetadataILi4EEENS1_32PointwiseOpScalar0dTensorFunctorIN3c108BFloat16ELi4ELi2ELi3EEEJSt7dividesIfEfEEEvT_T0_DpT1_
	.p2align	8
	.type	_ZN2at6native12_GLOBAL__N_125multi_tensor_apply_kernelINS1_18TensorListMetadataILi4EEENS1_32PointwiseOpScalar0dTensorFunctorIN3c108BFloat16ELi4ELi2ELi3EEEJSt7dividesIfEfEEEvT_T0_DpT1_,@function
_ZN2at6native12_GLOBAL__N_125multi_tensor_apply_kernelINS1_18TensorListMetadataILi4EEENS1_32PointwiseOpScalar0dTensorFunctorIN3c108BFloat16ELi4ELi2ELi3EEEJSt7dividesIfEfEEEvT_T0_DpT1_: ; @_ZN2at6native12_GLOBAL__N_125multi_tensor_apply_kernelINS1_18TensorListMetadataILi4EEENS1_32PointwiseOpScalar0dTensorFunctorIN3c108BFloat16ELi4ELi2ELi3EEEJSt7dividesIfEfEEEvT_T0_DpT1_
; %bb.0:
	v_mov_b32_e32 v1, s6
	global_load_ubyte v1, v1, s[4:5] offset:1440
	s_add_u32 s0, s4, s6
	s_mul_hi_u32 s1, s6, 3
	s_mul_i32 s6, s6, 3
	s_addc_u32 s2, s5, 0
	s_add_u32 s0, s0, s6
	s_addc_u32 s1, s2, s1
	s_load_dword s0, s[0:1], 0x6e0
	v_mov_b32_e32 v2, 0
	s_mov_b32 s9, 0
	s_mov_b32 s19, s9
	s_waitcnt vmcnt(0)
	v_readfirstlane_b32 s1, v1
	s_lshl_b32 s8, s1, 3
	s_load_dwordx2 s[6:7], s[4:5], s8 offset:0x120
	s_load_dwordx2 s[10:11], s[4:5], s8 offset:0x240
	;; [unrolled: 1-line block ×4, first 2 shown]
	s_waitcnt lgkmcnt(0)
	s_ashr_i32 s1, s0, 31
	s_lshl_b64 s[2:3], s[0:1], 17
	global_load_ushort v1, v2, s[6:7]
	s_mov_b32 s7, s9
	s_add_u32 s25, s16, s2
	s_addc_u32 s26, s17, s3
	s_add_u32 s6, s6, s2
	s_load_dword s24, s[4:5], 0xbec
	s_load_dwordx2 s[20:21], s[4:5], s8 offset:0x480
	s_and_b32 s8, s25, 7
	s_and_b32 s6, s6, 7
	s_cmp_lg_u64 s[6:7], 0
	s_cselect_b64 s[6:7], -1, 0
	s_add_u32 s27, s10, s2
	s_addc_u32 s28, s11, s3
	s_add_u32 s29, s12, s2
	s_addc_u32 s30, s13, s3
	s_or_b32 s14, s29, s27
	s_and_b32 s14, s14, 7
	s_cmp_lg_u32 s14, 0
	s_cselect_b64 s[14:15], -1, 0
	s_lshl_b64 s[0:1], s[0:1], 16
	s_or_b64 s[6:7], s[14:15], s[6:7]
	s_waitcnt lgkmcnt(0)
	s_sub_u32 s14, s20, s0
	s_subb_u32 s15, s21, s1
	s_and_b32 s18, s20, 3
	s_or_b64 s[0:1], s[8:9], s[18:19]
	s_cmp_lg_u64 s[0:1], 0
	s_cselect_b64 s[0:1], -1, 0
	s_or_b64 s[0:1], s[6:7], s[0:1]
	s_andn2_b64 vcc, exec, s[0:1]
	s_mov_b64 s[0:1], -1
	s_waitcnt vmcnt(0)
	v_lshlrev_b32_e32 v13, 16, v1
	s_cbranch_vccz .LBB65_5
; %bb.1:
	v_mov_b32_e32 v3, 0x10000
	v_mov_b32_e32 v4, 0
	v_cmp_lt_i64_e32 vcc, s[14:15], v[3:4]
	v_lshlrev_b32_e32 v1, 2, v0
	s_and_b64 s[0:1], vcc, exec
	s_cselect_b32 s19, s15, 0
	s_cselect_b32 s18, s14, 0x10000
	v_cmp_gt_i64_e32 vcc, s[18:19], v[1:2]
	s_and_saveexec_b64 s[20:21], vcc
	s_cbranch_execz .LBB65_4
; %bb.2:
	s_load_dword s6, s[4:5], 0xbfc
	v_mov_b32_e32 v1, v2
	v_lshlrev_b32_e32 v2, 3, v0
	v_mov_b32_e32 v4, s3
	v_add_co_u32_e32 v3, vcc, s2, v2
	s_waitcnt lgkmcnt(0)
	s_and_b32 s31, s6, 0xffff
	v_mov_b32_e32 v2, v1
	v_cmp_eq_f32_e64 s[0:1], s24, 1.0
	v_addc_co_u32_e32 v4, vcc, 0, v4, vcc
	s_lshl_b32 s33, s31, 3
	s_mov_b64 s[22:23], 0
	v_mov_b32_e32 v5, s17
	v_mov_b32_e32 v6, s11
	s_movk_i32 s11, 0x7fff
	v_mov_b32_e32 v7, 0x7fc0
	v_mov_b32_e32 v8, 0x7fc00000
	v_mov_b32_e32 v9, s13
	v_mov_b32_e32 v1, v0
.LBB65_3:                               ; =>This Inner Loop Header: Depth=1
	v_add_co_u32_e32 v10, vcc, s10, v3
	v_addc_co_u32_e32 v11, vcc, v6, v4, vcc
	global_load_dwordx2 v[10:11], v[10:11], off
	v_add_co_u32_e32 v1, vcc, s31, v1
	v_addc_co_u32_e32 v2, vcc, 0, v2, vcc
	v_lshlrev_b64 v[14:15], 2, v[1:2]
	v_cmp_le_i64_e64 s[2:3], s[18:19], v[14:15]
	s_or_b64 s[22:23], s[2:3], s[22:23]
	s_waitcnt vmcnt(0)
	v_lshlrev_b32_e32 v12, 16, v10
	v_and_b32_e32 v14, 0xffff0000, v10
	v_alignbit_b32 v10, v11, v10, 16
	v_and_b32_e32 v15, 0xffff0000, v11
	v_div_scale_f32 v11, s[6:7], v12, v12, v13
	v_div_scale_f32 v16, s[6:7], v14, v14, v13
	v_div_scale_f32 v17, vcc, v13, v12, v13
	v_rcp_f32_e32 v18, v11
	v_rcp_f32_e32 v19, v16
	v_fma_f32 v20, -v11, v18, 1.0
	v_fmac_f32_e32 v18, v20, v18
	v_fma_f32 v20, -v16, v19, 1.0
	v_fmac_f32_e32 v19, v20, v19
	v_mul_f32_e32 v20, v17, v18
	v_fma_f32 v21, -v11, v20, v17
	v_fmac_f32_e32 v20, v21, v18
	v_fma_f32 v11, -v11, v20, v17
	v_div_scale_f32 v17, s[6:7], v13, v14, v13
	v_and_b32_e32 v21, 0xffff0000, v10
	v_div_fmas_f32 v18, v11, v18, v20
	s_mov_b64 vcc, s[6:7]
	v_mul_f32_e32 v10, v17, v19
	v_fma_f32 v11, -v16, v10, v17
	v_fmac_f32_e32 v10, v11, v19
	v_div_scale_f32 v11, s[8:9], v21, v21, v13
	v_fma_f32 v16, -v16, v10, v17
	v_div_scale_f32 v17, s[8:9], v13, v21, v13
	v_div_fmas_f32 v16, v16, v19, v10
	s_mov_b64 vcc, s[8:9]
	v_rcp_f32_e32 v10, v11
	v_fma_f32 v19, -v11, v10, 1.0
	v_fmac_f32_e32 v10, v19, v10
	v_mul_f32_e32 v19, v17, v10
	v_fma_f32 v20, -v11, v19, v17
	v_fmac_f32_e32 v19, v20, v10
	v_fma_f32 v11, -v11, v19, v17
	v_div_scale_f32 v17, s[6:7], v15, v15, v13
	v_div_fmas_f32 v19, v11, v10, v19
	v_rcp_f32_e32 v10, v17
	v_fma_f32 v11, -v17, v10, 1.0
	v_fmac_f32_e32 v10, v11, v10
	v_div_scale_f32 v11, vcc, v13, v15, v13
	v_mul_f32_e32 v20, v11, v10
	v_fma_f32 v22, -v17, v20, v11
	v_fmac_f32_e32 v20, v22, v10
	v_fma_f32 v11, -v17, v20, v11
	v_div_fmas_f32 v17, v11, v10, v20
	v_add_co_u32_e32 v10, vcc, s16, v3
	v_addc_co_u32_e32 v11, vcc, v5, v4, vcc
	global_load_dwordx2 v[10:11], v[10:11], off
	v_div_fixup_f32 v15, v17, v15, v13
	s_waitcnt vmcnt(0)
	v_lshlrev_b32_e32 v20, 16, v10
	v_and_b32_e32 v22, 0xffff0000, v10
	v_alignbit_b32 v23, v11, v10, 16
	v_div_fixup_f32 v10, v18, v12, v13
	v_and_b32_e32 v24, 0xffff0000, v11
	v_add_f32_e32 v11, v10, v20
	v_fmac_f32_e32 v20, s24, v10
	v_div_fixup_f32 v10, v16, v14, v13
	v_add_f32_e32 v14, v10, v22
	v_fmac_f32_e32 v22, s24, v10
	v_add_co_u32_e32 v10, vcc, s12, v3
	v_cndmask_b32_e64 v12, v20, v11, s[0:1]
	v_div_fixup_f32 v16, v19, v21, v13
	v_addc_co_u32_e32 v11, vcc, v9, v4, vcc
	v_and_b32_e32 v18, 0xffff0000, v23
	v_add_co_u32_e32 v3, vcc, s33, v3
	v_cndmask_b32_e64 v14, v22, v14, s[0:1]
	v_add_f32_e32 v19, v16, v18
	v_fmac_f32_e32 v18, s24, v16
	v_bfe_u32 v16, v12, 16, 1
	v_addc_co_u32_e32 v4, vcc, 0, v4, vcc
	v_add3_u32 v16, v12, v16, s11
	v_bfe_u32 v17, v14, 16, 1
	v_cndmask_b32_e64 v18, v18, v19, s[0:1]
	v_add_f32_e32 v19, v15, v24
	v_fmac_f32_e32 v24, s24, v15
	v_lshrrev_b32_e32 v15, 16, v16
	v_add3_u32 v16, v14, v17, s11
	v_bfe_u32 v17, v18, 16, 1
	v_cndmask_b32_e64 v19, v24, v19, s[0:1]
	v_cmp_o_f32_e32 vcc, v12, v12
	v_cndmask_b32_e32 v12, v7, v15, vcc
	v_and_b32_e32 v15, 0xffff0000, v16
	v_add3_u32 v16, v18, v17, s11
	v_bfe_u32 v17, v19, 16, 1
	v_cmp_o_f32_e32 vcc, v14, v14
	v_cndmask_b32_e32 v14, v8, v15, vcc
	v_lshrrev_b32_e32 v15, 16, v16
	v_cmp_o_f32_e32 vcc, v18, v18
	v_add3_u32 v16, v19, v17, s11
	v_or_b32_e32 v12, v12, v14
	v_cndmask_b32_e32 v15, v7, v15, vcc
	v_and_b32_e32 v14, 0xffff0000, v16
	v_cmp_o_f32_e32 vcc, v19, v19
	v_cndmask_b32_e32 v16, v8, v14, vcc
	v_or3_b32 v14, v12, 0, 0
	v_or3_b32 v15, 0, v15, v16
	global_store_dwordx2 v[10:11], v[14:15], off
	s_andn2_b64 exec, exec, s[22:23]
	s_cbranch_execnz .LBB65_3
.LBB65_4:
	s_or_b64 exec, exec, s[20:21]
	s_mov_b64 s[0:1], 0
.LBB65_5:
	s_andn2_b64 vcc, exec, s[0:1]
	s_cbranch_vccnz .LBB65_25
; %bb.6:
	v_cmp_lt_i64_e64 s[0:1], s[14:15], 1
	s_and_b64 vcc, exec, s[0:1]
	s_cbranch_vccnz .LBB65_25
; %bb.7:
	v_mov_b32_e32 v1, 0x10000
	s_load_dword s4, s[4:5], 0xbfc
	v_mov_b32_e32 v2, 0
	v_cmp_lt_i64_e32 vcc, s[14:15], v[1:2]
	s_mov_b32 s10, 0
	s_and_b64 s[0:1], vcc, exec
	v_cmp_lt_u64_e32 vcc, s[14:15], v[1:2]
	s_cselect_b32 s3, s15, 0
	s_cselect_b32 s2, s14, 0x10000
	s_waitcnt lgkmcnt(0)
	s_and_b32 s11, s4, 0xffff
	s_and_b64 s[4:5], vcc, exec
	v_cmp_eq_f32_e64 s[0:1], s24, 1.0
	s_cselect_b32 s5, s15, 0
	s_cselect_b32 s4, s14, 0x10000
	s_lshl_b32 s12, s11, 1
	s_mul_i32 s13, s11, 3
	s_lshl_b32 s14, s11, 2
	s_mov_b64 s[6:7], 0
	s_movk_i32 s15, 0x7fff
	v_mov_b32_e32 v14, 0x7fc0
	s_branch .LBB65_9
.LBB65_8:                               ;   in Loop: Header=BB65_9 Depth=1
	s_or_b64 exec, exec, s[8:9]
	s_add_u32 s6, s6, s14
	v_mov_b32_e32 v1, s2
	s_addc_u32 s7, s7, 0
	v_mov_b32_e32 v2, s3
	v_cmp_ge_i64_e32 vcc, s[6:7], v[1:2]
	s_cbranch_vccnz .LBB65_25
.LBB65_9:                               ; =>This Inner Loop Header: Depth=1
	v_mov_b32_e32 v1, s7
	v_add_co_u32_e32 v11, vcc, s6, v0
	v_addc_co_u32_e32 v12, vcc, 0, v1, vcc
	v_cmp_gt_i64_e32 vcc, s[2:3], v[11:12]
	v_mov_b32_e32 v3, 0
	v_mov_b32_e32 v1, 0
	;; [unrolled: 1-line block ×4, first 2 shown]
	s_and_saveexec_b64 s[8:9], vcc
	s_cbranch_execz .LBB65_11
; %bb.10:                               ;   in Loop: Header=BB65_9 Depth=1
	v_lshlrev_b64 v[1:2], 1, v[11:12]
	v_mov_b32_e32 v4, s26
	v_add_co_u32_e32 v3, vcc, s25, v1
	v_addc_co_u32_e32 v4, vcc, v4, v2, vcc
	v_mov_b32_e32 v5, s28
	v_add_co_u32_e32 v1, vcc, s27, v1
	v_addc_co_u32_e32 v2, vcc, v5, v2, vcc
	global_load_ushort v5, v[3:4], off
	global_load_ushort v6, v[1:2], off
	v_mov_b32_e32 v2, s10
	v_mov_b32_e32 v4, s10
	s_waitcnt vmcnt(1)
	v_and_b32_e32 v1, 0xffff, v5
	s_waitcnt vmcnt(0)
	v_and_b32_e32 v3, 0xffff, v6
.LBB65_11:                              ;   in Loop: Header=BB65_9 Depth=1
	s_or_b64 exec, exec, s[8:9]
	v_add_co_u32_e32 v9, vcc, s11, v11
	v_addc_co_u32_e32 v10, vcc, 0, v12, vcc
	v_cmp_gt_i64_e32 vcc, s[2:3], v[9:10]
	s_and_saveexec_b64 s[8:9], vcc
	s_cbranch_execz .LBB65_13
; %bb.12:                               ;   in Loop: Header=BB65_9 Depth=1
	v_lshlrev_b64 v[5:6], 1, v[9:10]
	v_mov_b32_e32 v8, s28
	v_add_co_u32_e32 v7, vcc, s27, v5
	v_addc_co_u32_e32 v8, vcc, v8, v6, vcc
	v_mov_b32_e32 v15, s26
	v_add_co_u32_e32 v5, vcc, s25, v5
	v_addc_co_u32_e32 v6, vcc, v15, v6, vcc
	global_load_ushort v15, v[5:6], off
	global_load_ushort v16, v[7:8], off
	s_waitcnt vmcnt(1)
	v_lshl_or_b32 v1, v15, 16, v1
	s_waitcnt vmcnt(0)
	v_lshl_or_b32 v3, v16, 16, v3
.LBB65_13:                              ;   in Loop: Header=BB65_9 Depth=1
	s_or_b64 exec, exec, s[8:9]
	v_add_co_u32_e32 v7, vcc, s12, v11
	v_addc_co_u32_e32 v8, vcc, 0, v12, vcc
	v_cmp_gt_i64_e32 vcc, s[2:3], v[7:8]
	s_and_saveexec_b64 s[8:9], vcc
	s_cbranch_execz .LBB65_15
; %bb.14:                               ;   in Loop: Header=BB65_9 Depth=1
	v_lshlrev_b64 v[5:6], 1, v[7:8]
	v_mov_b32_e32 v16, s28
	v_add_co_u32_e32 v15, vcc, s27, v5
	v_addc_co_u32_e32 v16, vcc, v16, v6, vcc
	v_mov_b32_e32 v17, s26
	v_add_co_u32_e32 v5, vcc, s25, v5
	v_addc_co_u32_e32 v6, vcc, v17, v6, vcc
	global_load_ushort v17, v[5:6], off
	global_load_ushort v18, v[15:16], off
	s_waitcnt vmcnt(1)
	v_or_b32_e32 v2, v17, v2
	s_waitcnt vmcnt(0)
	v_or_b32_e32 v4, v18, v4
.LBB65_15:                              ;   in Loop: Header=BB65_9 Depth=1
	s_or_b64 exec, exec, s[8:9]
	v_add_co_u32_e32 v5, vcc, s13, v11
	v_addc_co_u32_e32 v6, vcc, 0, v12, vcc
	v_cmp_gt_i64_e32 vcc, s[2:3], v[5:6]
	s_and_saveexec_b64 s[8:9], vcc
	s_cbranch_execnz .LBB65_20
; %bb.16:                               ;   in Loop: Header=BB65_9 Depth=1
	s_or_b64 exec, exec, s[8:9]
	v_cmp_gt_u64_e32 vcc, s[4:5], v[11:12]
	s_and_saveexec_b64 s[8:9], vcc
	s_cbranch_execnz .LBB65_21
.LBB65_17:                              ;   in Loop: Header=BB65_9 Depth=1
	s_or_b64 exec, exec, s[8:9]
	v_cmp_gt_u64_e32 vcc, s[4:5], v[9:10]
	s_and_saveexec_b64 s[8:9], vcc
	s_cbranch_execnz .LBB65_22
.LBB65_18:                              ;   in Loop: Header=BB65_9 Depth=1
	s_or_b64 exec, exec, s[8:9]
	v_cmp_gt_u64_e32 vcc, s[4:5], v[7:8]
	s_and_saveexec_b64 s[8:9], vcc
	s_cbranch_execnz .LBB65_23
.LBB65_19:                              ;   in Loop: Header=BB65_9 Depth=1
	s_or_b64 exec, exec, s[8:9]
	v_cmp_gt_u64_e32 vcc, s[4:5], v[5:6]
	s_and_saveexec_b64 s[8:9], vcc
	s_cbranch_execz .LBB65_8
	s_branch .LBB65_24
.LBB65_20:                              ;   in Loop: Header=BB65_9 Depth=1
	v_lshlrev_b64 v[15:16], 1, v[5:6]
	v_mov_b32_e32 v18, s28
	v_add_co_u32_e32 v17, vcc, s27, v15
	v_addc_co_u32_e32 v18, vcc, v18, v16, vcc
	v_mov_b32_e32 v19, s26
	v_add_co_u32_e32 v15, vcc, s25, v15
	v_addc_co_u32_e32 v16, vcc, v19, v16, vcc
	global_load_ushort v19, v[15:16], off
	global_load_ushort v20, v[17:18], off
	s_waitcnt vmcnt(1)
	v_lshlrev_b32_e32 v15, 16, v19
	s_waitcnt vmcnt(0)
	v_lshlrev_b32_e32 v16, 16, v20
	v_or_b32_e32 v2, v15, v2
	v_or_b32_e32 v4, v16, v4
	s_or_b64 exec, exec, s[8:9]
	v_cmp_gt_u64_e32 vcc, s[4:5], v[11:12]
	s_and_saveexec_b64 s[8:9], vcc
	s_cbranch_execz .LBB65_17
.LBB65_21:                              ;   in Loop: Header=BB65_9 Depth=1
	v_lshlrev_b32_e32 v15, 16, v3
	v_div_scale_f32 v16, s[16:17], v15, v15, v13
	v_div_scale_f32 v17, vcc, v13, v15, v13
	v_lshlrev_b64 v[11:12], 1, v[11:12]
	v_rcp_f32_e32 v18, v16
	v_fma_f32 v19, -v16, v18, 1.0
	v_fmac_f32_e32 v18, v19, v18
	v_mul_f32_e32 v19, v17, v18
	v_fma_f32 v20, -v16, v19, v17
	v_fmac_f32_e32 v19, v20, v18
	v_fma_f32 v16, -v16, v19, v17
	v_div_fmas_f32 v16, v16, v18, v19
	v_lshlrev_b32_e32 v17, 16, v1
	v_mov_b32_e32 v18, s30
	v_add_co_u32_e32 v11, vcc, s29, v11
	v_addc_co_u32_e32 v12, vcc, v18, v12, vcc
	v_div_fixup_f32 v15, v16, v15, v13
	v_add_f32_e32 v16, v15, v17
	v_fmac_f32_e32 v17, s24, v15
	v_cndmask_b32_e64 v15, v17, v16, s[0:1]
	v_bfe_u32 v16, v15, 16, 1
	v_cmp_o_f32_e32 vcc, v15, v15
	v_add3_u32 v15, v15, v16, s15
	v_cndmask_b32_sdwa v15, v14, v15, vcc dst_sel:DWORD dst_unused:UNUSED_PAD src0_sel:DWORD src1_sel:WORD_1
	global_store_short v[11:12], v15, off
	s_or_b64 exec, exec, s[8:9]
	v_cmp_gt_u64_e32 vcc, s[4:5], v[9:10]
	s_and_saveexec_b64 s[8:9], vcc
	s_cbranch_execz .LBB65_18
.LBB65_22:                              ;   in Loop: Header=BB65_9 Depth=1
	v_and_b32_e32 v11, 0xffff0000, v3
	v_div_scale_f32 v12, s[16:17], v11, v11, v13
	v_div_scale_f32 v15, vcc, v13, v11, v13
	v_lshlrev_b64 v[9:10], 1, v[9:10]
	v_rcp_f32_e32 v16, v12
	v_fma_f32 v17, -v12, v16, 1.0
	v_fmac_f32_e32 v16, v17, v16
	v_mul_f32_e32 v17, v15, v16
	v_fma_f32 v18, -v12, v17, v15
	v_fmac_f32_e32 v17, v18, v16
	v_fma_f32 v12, -v12, v17, v15
	v_div_fmas_f32 v12, v12, v16, v17
	v_and_b32_e32 v15, 0xffff0000, v1
	v_mov_b32_e32 v16, s30
	v_div_fixup_f32 v11, v12, v11, v13
	v_add_f32_e32 v12, v11, v15
	v_fmac_f32_e32 v15, s24, v11
	v_cndmask_b32_e64 v11, v15, v12, s[0:1]
	v_bfe_u32 v12, v11, 16, 1
	v_cmp_o_f32_e32 vcc, v11, v11
	v_add3_u32 v11, v11, v12, s15
	v_cndmask_b32_sdwa v11, v14, v11, vcc dst_sel:DWORD dst_unused:UNUSED_PAD src0_sel:DWORD src1_sel:WORD_1
	v_add_co_u32_e32 v9, vcc, s29, v9
	v_addc_co_u32_e32 v10, vcc, v16, v10, vcc
	global_store_short v[9:10], v11, off
	s_or_b64 exec, exec, s[8:9]
	v_cmp_gt_u64_e32 vcc, s[4:5], v[7:8]
	s_and_saveexec_b64 s[8:9], vcc
	s_cbranch_execz .LBB65_19
.LBB65_23:                              ;   in Loop: Header=BB65_9 Depth=1
	v_alignbit_b32 v3, v4, v3, 16
	v_and_b32_e32 v3, 0xffff0000, v3
	v_div_scale_f32 v9, s[16:17], v3, v3, v13
	v_div_scale_f32 v10, vcc, v13, v3, v13
	v_alignbit_b32 v1, v2, v1, 16
	v_and_b32_e32 v1, 0xffff0000, v1
	v_lshlrev_b64 v[7:8], 1, v[7:8]
	v_rcp_f32_e32 v11, v9
	v_fma_f32 v12, -v9, v11, 1.0
	v_fmac_f32_e32 v11, v12, v11
	v_mul_f32_e32 v12, v10, v11
	v_fma_f32 v15, -v9, v12, v10
	v_fmac_f32_e32 v12, v15, v11
	v_fma_f32 v9, -v9, v12, v10
	v_div_fmas_f32 v9, v9, v11, v12
	v_mov_b32_e32 v10, s30
	v_div_fixup_f32 v3, v9, v3, v13
	v_add_f32_e32 v9, v3, v1
	v_fmac_f32_e32 v1, s24, v3
	v_cndmask_b32_e64 v1, v1, v9, s[0:1]
	v_bfe_u32 v3, v1, 16, 1
	v_cmp_o_f32_e32 vcc, v1, v1
	v_add3_u32 v1, v1, v3, s15
	v_cndmask_b32_sdwa v1, v14, v1, vcc dst_sel:DWORD dst_unused:UNUSED_PAD src0_sel:DWORD src1_sel:WORD_1
	v_add_co_u32_e32 v7, vcc, s29, v7
	v_addc_co_u32_e32 v8, vcc, v10, v8, vcc
	global_store_short v[7:8], v1, off
	s_or_b64 exec, exec, s[8:9]
	v_cmp_gt_u64_e32 vcc, s[4:5], v[5:6]
	s_and_saveexec_b64 s[8:9], vcc
	s_cbranch_execz .LBB65_8
.LBB65_24:                              ;   in Loop: Header=BB65_9 Depth=1
	v_and_b32_e32 v3, 0xffff0000, v4
	v_div_scale_f32 v1, s[16:17], v3, v3, v13
	v_div_scale_f32 v4, vcc, v13, v3, v13
	v_rcp_f32_e32 v7, v1
	v_fma_f32 v8, -v1, v7, 1.0
	v_fmac_f32_e32 v7, v8, v7
	v_mul_f32_e32 v8, v4, v7
	v_fma_f32 v9, -v1, v8, v4
	v_fmac_f32_e32 v8, v9, v7
	v_fma_f32 v1, -v1, v8, v4
	v_div_fmas_f32 v4, v1, v7, v8
	v_and_b32_e32 v7, 0xffff0000, v2
	v_lshlrev_b64 v[1:2], 1, v[5:6]
	v_mov_b32_e32 v5, s30
	v_div_fixup_f32 v3, v4, v3, v13
	v_add_f32_e32 v4, v3, v7
	v_fmac_f32_e32 v7, s24, v3
	v_cndmask_b32_e64 v3, v7, v4, s[0:1]
	v_bfe_u32 v4, v3, 16, 1
	v_cmp_o_f32_e32 vcc, v3, v3
	v_add3_u32 v3, v3, v4, s15
	v_cndmask_b32_sdwa v3, v14, v3, vcc dst_sel:DWORD dst_unused:UNUSED_PAD src0_sel:DWORD src1_sel:WORD_1
	v_add_co_u32_e32 v1, vcc, s29, v1
	v_addc_co_u32_e32 v2, vcc, v5, v2, vcc
	global_store_short v[1:2], v3, off
	s_branch .LBB65_8
.LBB65_25:
	s_endpgm
	.section	.rodata,"a",@progbits
	.p2align	6, 0x0
	.amdhsa_kernel _ZN2at6native12_GLOBAL__N_125multi_tensor_apply_kernelINS1_18TensorListMetadataILi4EEENS1_32PointwiseOpScalar0dTensorFunctorIN3c108BFloat16ELi4ELi2ELi3EEEJSt7dividesIfEfEEEvT_T0_DpT1_
		.amdhsa_group_segment_fixed_size 0
		.amdhsa_private_segment_fixed_size 0
		.amdhsa_kernarg_size 3312
		.amdhsa_user_sgpr_count 6
		.amdhsa_user_sgpr_private_segment_buffer 1
		.amdhsa_user_sgpr_dispatch_ptr 0
		.amdhsa_user_sgpr_queue_ptr 0
		.amdhsa_user_sgpr_kernarg_segment_ptr 1
		.amdhsa_user_sgpr_dispatch_id 0
		.amdhsa_user_sgpr_flat_scratch_init 0
		.amdhsa_user_sgpr_private_segment_size 0
		.amdhsa_uses_dynamic_stack 0
		.amdhsa_system_sgpr_private_segment_wavefront_offset 0
		.amdhsa_system_sgpr_workgroup_id_x 1
		.amdhsa_system_sgpr_workgroup_id_y 0
		.amdhsa_system_sgpr_workgroup_id_z 0
		.amdhsa_system_sgpr_workgroup_info 0
		.amdhsa_system_vgpr_workitem_id 0
		.amdhsa_next_free_vgpr 25
		.amdhsa_next_free_sgpr 34
		.amdhsa_reserve_vcc 1
		.amdhsa_reserve_flat_scratch 0
		.amdhsa_float_round_mode_32 0
		.amdhsa_float_round_mode_16_64 0
		.amdhsa_float_denorm_mode_32 3
		.amdhsa_float_denorm_mode_16_64 3
		.amdhsa_dx10_clamp 1
		.amdhsa_ieee_mode 1
		.amdhsa_fp16_overflow 0
		.amdhsa_exception_fp_ieee_invalid_op 0
		.amdhsa_exception_fp_denorm_src 0
		.amdhsa_exception_fp_ieee_div_zero 0
		.amdhsa_exception_fp_ieee_overflow 0
		.amdhsa_exception_fp_ieee_underflow 0
		.amdhsa_exception_fp_ieee_inexact 0
		.amdhsa_exception_int_div_zero 0
	.end_amdhsa_kernel
	.section	.text._ZN2at6native12_GLOBAL__N_125multi_tensor_apply_kernelINS1_18TensorListMetadataILi4EEENS1_32PointwiseOpScalar0dTensorFunctorIN3c108BFloat16ELi4ELi2ELi3EEEJSt7dividesIfEfEEEvT_T0_DpT1_,"axG",@progbits,_ZN2at6native12_GLOBAL__N_125multi_tensor_apply_kernelINS1_18TensorListMetadataILi4EEENS1_32PointwiseOpScalar0dTensorFunctorIN3c108BFloat16ELi4ELi2ELi3EEEJSt7dividesIfEfEEEvT_T0_DpT1_,comdat
.Lfunc_end65:
	.size	_ZN2at6native12_GLOBAL__N_125multi_tensor_apply_kernelINS1_18TensorListMetadataILi4EEENS1_32PointwiseOpScalar0dTensorFunctorIN3c108BFloat16ELi4ELi2ELi3EEEJSt7dividesIfEfEEEvT_T0_DpT1_, .Lfunc_end65-_ZN2at6native12_GLOBAL__N_125multi_tensor_apply_kernelINS1_18TensorListMetadataILi4EEENS1_32PointwiseOpScalar0dTensorFunctorIN3c108BFloat16ELi4ELi2ELi3EEEJSt7dividesIfEfEEEvT_T0_DpT1_
                                        ; -- End function
	.set _ZN2at6native12_GLOBAL__N_125multi_tensor_apply_kernelINS1_18TensorListMetadataILi4EEENS1_32PointwiseOpScalar0dTensorFunctorIN3c108BFloat16ELi4ELi2ELi3EEEJSt7dividesIfEfEEEvT_T0_DpT1_.num_vgpr, 25
	.set _ZN2at6native12_GLOBAL__N_125multi_tensor_apply_kernelINS1_18TensorListMetadataILi4EEENS1_32PointwiseOpScalar0dTensorFunctorIN3c108BFloat16ELi4ELi2ELi3EEEJSt7dividesIfEfEEEvT_T0_DpT1_.num_agpr, 0
	.set _ZN2at6native12_GLOBAL__N_125multi_tensor_apply_kernelINS1_18TensorListMetadataILi4EEENS1_32PointwiseOpScalar0dTensorFunctorIN3c108BFloat16ELi4ELi2ELi3EEEJSt7dividesIfEfEEEvT_T0_DpT1_.numbered_sgpr, 34
	.set _ZN2at6native12_GLOBAL__N_125multi_tensor_apply_kernelINS1_18TensorListMetadataILi4EEENS1_32PointwiseOpScalar0dTensorFunctorIN3c108BFloat16ELi4ELi2ELi3EEEJSt7dividesIfEfEEEvT_T0_DpT1_.num_named_barrier, 0
	.set _ZN2at6native12_GLOBAL__N_125multi_tensor_apply_kernelINS1_18TensorListMetadataILi4EEENS1_32PointwiseOpScalar0dTensorFunctorIN3c108BFloat16ELi4ELi2ELi3EEEJSt7dividesIfEfEEEvT_T0_DpT1_.private_seg_size, 0
	.set _ZN2at6native12_GLOBAL__N_125multi_tensor_apply_kernelINS1_18TensorListMetadataILi4EEENS1_32PointwiseOpScalar0dTensorFunctorIN3c108BFloat16ELi4ELi2ELi3EEEJSt7dividesIfEfEEEvT_T0_DpT1_.uses_vcc, 1
	.set _ZN2at6native12_GLOBAL__N_125multi_tensor_apply_kernelINS1_18TensorListMetadataILi4EEENS1_32PointwiseOpScalar0dTensorFunctorIN3c108BFloat16ELi4ELi2ELi3EEEJSt7dividesIfEfEEEvT_T0_DpT1_.uses_flat_scratch, 0
	.set _ZN2at6native12_GLOBAL__N_125multi_tensor_apply_kernelINS1_18TensorListMetadataILi4EEENS1_32PointwiseOpScalar0dTensorFunctorIN3c108BFloat16ELi4ELi2ELi3EEEJSt7dividesIfEfEEEvT_T0_DpT1_.has_dyn_sized_stack, 0
	.set _ZN2at6native12_GLOBAL__N_125multi_tensor_apply_kernelINS1_18TensorListMetadataILi4EEENS1_32PointwiseOpScalar0dTensorFunctorIN3c108BFloat16ELi4ELi2ELi3EEEJSt7dividesIfEfEEEvT_T0_DpT1_.has_recursion, 0
	.set _ZN2at6native12_GLOBAL__N_125multi_tensor_apply_kernelINS1_18TensorListMetadataILi4EEENS1_32PointwiseOpScalar0dTensorFunctorIN3c108BFloat16ELi4ELi2ELi3EEEJSt7dividesIfEfEEEvT_T0_DpT1_.has_indirect_call, 0
	.section	.AMDGPU.csdata,"",@progbits
; Kernel info:
; codeLenInByte = 2440
; TotalNumSgprs: 38
; NumVgprs: 25
; ScratchSize: 0
; MemoryBound: 0
; FloatMode: 240
; IeeeMode: 1
; LDSByteSize: 0 bytes/workgroup (compile time only)
; SGPRBlocks: 4
; VGPRBlocks: 6
; NumSGPRsForWavesPerEU: 38
; NumVGPRsForWavesPerEU: 25
; Occupancy: 9
; WaveLimiterHint : 0
; COMPUTE_PGM_RSRC2:SCRATCH_EN: 0
; COMPUTE_PGM_RSRC2:USER_SGPR: 6
; COMPUTE_PGM_RSRC2:TRAP_HANDLER: 0
; COMPUTE_PGM_RSRC2:TGID_X_EN: 1
; COMPUTE_PGM_RSRC2:TGID_Y_EN: 0
; COMPUTE_PGM_RSRC2:TGID_Z_EN: 0
; COMPUTE_PGM_RSRC2:TIDIG_COMP_CNT: 0
	.section	.text._ZN2at6native12_GLOBAL__N_125multi_tensor_apply_kernelINS1_18TensorListMetadataILi3EEENS1_24PointwiseOpScalarFunctorIhLi3ELi3ELi0EEEJSt7dividesIhEhEEEvT_T0_DpT1_,"axG",@progbits,_ZN2at6native12_GLOBAL__N_125multi_tensor_apply_kernelINS1_18TensorListMetadataILi3EEENS1_24PointwiseOpScalarFunctorIhLi3ELi3ELi0EEEJSt7dividesIhEhEEEvT_T0_DpT1_,comdat
	.globl	_ZN2at6native12_GLOBAL__N_125multi_tensor_apply_kernelINS1_18TensorListMetadataILi3EEENS1_24PointwiseOpScalarFunctorIhLi3ELi3ELi0EEEJSt7dividesIhEhEEEvT_T0_DpT1_ ; -- Begin function _ZN2at6native12_GLOBAL__N_125multi_tensor_apply_kernelINS1_18TensorListMetadataILi3EEENS1_24PointwiseOpScalarFunctorIhLi3ELi3ELi0EEEJSt7dividesIhEhEEEvT_T0_DpT1_
	.p2align	8
	.type	_ZN2at6native12_GLOBAL__N_125multi_tensor_apply_kernelINS1_18TensorListMetadataILi3EEENS1_24PointwiseOpScalarFunctorIhLi3ELi3ELi0EEEJSt7dividesIhEhEEEvT_T0_DpT1_,@function
_ZN2at6native12_GLOBAL__N_125multi_tensor_apply_kernelINS1_18TensorListMetadataILi3EEENS1_24PointwiseOpScalarFunctorIhLi3ELi3ELi0EEEJSt7dividesIhEhEEEvT_T0_DpT1_: ; @_ZN2at6native12_GLOBAL__N_125multi_tensor_apply_kernelINS1_18TensorListMetadataILi3EEENS1_24PointwiseOpScalarFunctorIhLi3ELi3ELi0EEEJSt7dividesIhEhEEEvT_T0_DpT1_
; %bb.0:
	v_mov_b32_e32 v1, s6
	global_load_ubyte v1, v1, s[4:5] offset:1536
	s_add_u32 s0, s4, s6
	s_mul_hi_u32 s1, s6, 3
	s_mul_i32 s6, s6, 3
	s_addc_u32 s2, s5, 0
	s_add_u32 s0, s0, s6
	s_addc_u32 s1, s2, s1
	s_load_dword s2, s[0:1], 0x740
	s_load_dword s22, s[4:5], 0xc48
	s_mov_b32 s1, 0
	s_waitcnt lgkmcnt(0)
	s_ashr_i32 s3, s2, 31
	s_lshl_b64 s[2:3], s[2:3], 16
	s_waitcnt vmcnt(0)
	v_readfirstlane_b32 s0, v1
	s_lshl_b32 s0, s0, 3
	s_load_dwordx2 s[6:7], s[4:5], s0 offset:0x0
	s_load_dwordx2 s[14:15], s[4:5], s0 offset:0x480
	;; [unrolled: 1-line block ×4, first 2 shown]
	s_waitcnt lgkmcnt(0)
	s_add_u32 s16, s6, s2
	s_addc_u32 s17, s7, s3
	s_add_u32 s0, s8, s2
	s_or_b32 s0, s10, s0
	s_and_b32 s0, s0, 3
	s_cmp_eq_u32 s0, 0
	s_cselect_b64 s[18:19], -1, 0
	s_sub_u32 s12, s14, s2
	s_subb_u32 s13, s15, s3
	s_or_b64 s[14:15], s[14:15], s[16:17]
	s_and_b32 s0, s14, 3
	s_cmp_eq_u64 s[0:1], 0
	s_cselect_b64 s[0:1], -1, 0
	s_and_b64 s[14:15], s[18:19], s[0:1]
	s_mov_b64 s[0:1], -1
	s_and_b64 vcc, exec, s[14:15]
	s_cbranch_vccnz .LBB66_19
; %bb.1:
	v_cmp_lt_i64_e64 s[0:1], s[12:13], 1
	s_and_b64 vcc, exec, s[0:1]
	s_cbranch_vccnz .LBB66_18
; %bb.2:
	v_mov_b32_e32 v1, 0x10000
	s_load_dword s16, s[4:5], 0xc5c
	v_mov_b32_e32 v2, 0
	v_cmp_lt_i64_e32 vcc, s[12:13], v[1:2]
	v_mov_b32_e32 v4, s7
	s_and_b64 s[0:1], vcc, exec
	v_cmp_lt_u64_e32 vcc, s[12:13], v[1:2]
	s_cselect_b32 s15, s13, 0
	s_cselect_b32 s14, s12, 0x10000
	s_waitcnt lgkmcnt(0)
	s_and_b32 s20, s16, 0xffff
	s_and_b64 s[0:1], vcc, exec
	v_mov_b32_e32 v1, s3
	v_add_co_u32_e32 v19, vcc, s2, v0
	s_cselect_b32 s17, s13, 0
	s_cselect_b32 s16, s12, 0x10000
	s_lshl_b32 s21, s20, 1
	s_mul_i32 s0, s20, 3
	s_lshl_b32 s23, s20, 2
	v_addc_co_u32_e32 v20, vcc, 0, v1, vcc
	v_mov_b32_e32 v2, s7
	v_add_co_u32_e32 v1, vcc, s6, v19
	s_add_u32 s1, s2, s0
	v_addc_co_u32_e32 v2, vcc, v2, v20, vcc
	s_addc_u32 s18, s3, 0
	v_mov_b32_e32 v3, s18
	v_add_co_u32_e32 v9, vcc, s1, v0
	v_addc_co_u32_e32 v10, vcc, 0, v3, vcc
	v_add_co_u32_e32 v3, vcc, s6, v9
	s_add_u32 s1, s2, s21
	v_addc_co_u32_e32 v4, vcc, v4, v10, vcc
	s_addc_u32 s18, s3, 0
	v_mov_b32_e32 v5, s18
	v_add_co_u32_e32 v13, vcc, s1, v0
	v_addc_co_u32_e32 v14, vcc, 0, v5, vcc
	v_mov_b32_e32 v6, s7
	v_add_co_u32_e32 v5, vcc, s6, v13
	v_addc_co_u32_e32 v6, vcc, v6, v14, vcc
	v_mov_b32_e32 v8, s9
	v_add_co_u32_e32 v7, vcc, s8, v9
	v_addc_co_u32_e32 v8, vcc, v8, v10, vcc
	v_mov_b32_e32 v11, s11
	v_add_co_u32_e32 v9, vcc, s10, v9
	v_addc_co_u32_e32 v10, vcc, v11, v10, vcc
	v_mov_b32_e32 v12, s9
	v_add_co_u32_e32 v11, vcc, s8, v13
	v_addc_co_u32_e32 v12, vcc, v12, v14, vcc
	v_mov_b32_e32 v15, s11
	v_add_co_u32_e32 v13, vcc, s10, v13
	v_addc_co_u32_e32 v14, vcc, v15, v14, vcc
	v_mov_b32_e32 v16, s9
	v_add_co_u32_e32 v15, vcc, s8, v19
	v_addc_co_u32_e32 v16, vcc, v16, v20, vcc
	v_mov_b32_e32 v18, s11
	v_add_co_u32_e32 v17, vcc, s10, v19
	v_addc_co_u32_e32 v18, vcc, v18, v20, vcc
	v_add_co_u32_e32 v23, vcc, s20, v19
	v_addc_co_u32_e32 v24, vcc, 0, v20, vcc
	v_mov_b32_e32 v20, s7
	v_add_co_u32_e32 v19, vcc, s6, v23
	v_addc_co_u32_e32 v20, vcc, v20, v24, vcc
	v_mov_b32_e32 v22, s9
	;; [unrolled: 3-line block ×3, first 2 shown]
	v_add_co_u32_e32 v23, vcc, s10, v23
	v_addc_co_u32_e32 v24, vcc, v25, v24, vcc
	v_add_co_u32_e32 v25, vcc, s0, v0
	v_addc_co_u32_e64 v26, s[0:1], 0, 0, vcc
	v_add_co_u32_e32 v27, vcc, s21, v0
	v_addc_co_u32_e64 v28, s[0:1], 0, 0, vcc
	v_add_co_u32_e32 v29, vcc, s20, v0
	s_mov_b64 s[18:19], 0
	s_lshr_b32 s24, s22, 16
	v_addc_co_u32_e64 v30, s[0:1], 0, 0, vcc
	s_branch .LBB66_4
.LBB66_3:                               ;   in Loop: Header=BB66_4 Depth=1
	s_or_b64 exec, exec, s[0:1]
	v_add_co_u32_e32 v42, vcc, s18, v9
	v_mov_b32_e32 v44, s19
	v_addc_co_u32_e32 v43, vcc, v10, v44, vcc
	global_load_ubyte v42, v[42:43], off
	s_waitcnt vmcnt(1)
	v_cvt_f32_ubyte0_e32 v37, v37
	v_rcp_iflag_f32_e32 v43, v37
	v_cvt_f32_ubyte0_e32 v34, v34
	v_cvt_f32_ubyte0_e32 v33, v33
	;; [unrolled: 1-line block ×3, first 2 shown]
	v_mul_f32_e32 v43, v34, v43
	v_trunc_f32_e32 v43, v43
	v_mad_f32 v34, -v43, v37, v34
	v_cvt_u32_f32_e32 v43, v43
	v_cmp_ge_f32_e64 vcc, |v34|, v37
	v_addc_co_u32_e32 v34, vcc, 0, v43, vcc
	v_mad_legacy_u16 v34, v34, s24, v35
	v_cvt_f32_ubyte0_e32 v35, v36
	v_cvt_f32_ubyte0_e32 v36, v40
	v_rcp_iflag_f32_e32 v37, v36
	v_mul_f32_e32 v37, v35, v37
	v_trunc_f32_e32 v37, v37
	v_mad_f32 v35, -v37, v36, v35
	v_cvt_u32_f32_e32 v37, v37
	v_cmp_ge_f32_e64 vcc, |v35|, v36
	v_cvt_f32_ubyte0_e32 v36, v39
	v_addc_co_u32_e32 v35, vcc, 0, v37, vcc
	v_mad_legacy_u16 v35, v35, s24, v38
	s_waitcnt vmcnt(0)
	v_cvt_f32_ubyte0_e32 v37, v42
	v_rcp_iflag_f32_e32 v38, v37
	v_mul_f32_e32 v38, v36, v38
	v_trunc_f32_e32 v38, v38
	v_mad_f32 v36, -v38, v37, v36
	v_cmp_ge_f32_e64 vcc, |v36|, v37
	v_rcp_iflag_f32_e32 v37, v33
	v_cvt_u32_f32_e32 v38, v38
	v_mul_f32_e32 v37, v32, v37
	v_trunc_f32_e32 v37, v37
	v_mad_f32 v32, -v37, v33, v32
	v_cvt_u32_f32_e32 v37, v37
	v_addc_co_u32_e32 v36, vcc, 0, v38, vcc
	v_cmp_ge_f32_e64 vcc, |v32|, v33
	v_addc_co_u32_e32 v32, vcc, 0, v37, vcc
	v_mad_legacy_u16 v33, v32, s24, v31
	v_add_co_u32_e32 v31, vcc, s18, v1
	v_addc_co_u32_e32 v32, vcc, v2, v44, vcc
	global_store_byte v[31:32], v33, off
	v_add_co_u32_e32 v31, vcc, s18, v19
	v_addc_co_u32_e32 v32, vcc, v20, v44, vcc
	global_store_byte v[31:32], v34, off
	;; [unrolled: 3-line block ×3, first 2 shown]
	v_add_co_u32_e32 v31, vcc, s18, v3
	v_mad_legacy_u16 v36, v36, s24, v41
	v_addc_co_u32_e32 v32, vcc, v4, v44, vcc
	global_store_byte v[31:32], v36, off
	s_add_u32 s18, s18, s23
	v_mov_b32_e32 v32, s15
	s_addc_u32 s19, s19, 0
	v_mov_b32_e32 v31, s14
	v_cmp_lt_i64_e32 vcc, s[18:19], v[31:32]
	s_cbranch_vccz .LBB66_18
.LBB66_4:                               ; =>This Inner Loop Header: Depth=1
	v_mov_b32_e32 v32, s19
	v_add_co_u32_e32 v31, vcc, s18, v0
	v_addc_co_u32_e32 v32, vcc, 0, v32, vcc
	v_cmp_gt_u64_e32 vcc, s[16:17], v[31:32]
	v_mov_b32_e32 v32, 0
	v_mov_b32_e32 v31, 0
	s_and_saveexec_b64 s[20:21], vcc
	s_cbranch_execz .LBB66_6
; %bb.5:                                ;   in Loop: Header=BB66_4 Depth=1
	v_mov_b32_e32 v31, s19
	v_add_co_u32_e64 v33, s[0:1], s18, v1
	v_addc_co_u32_e64 v34, s[0:1], v2, v31, s[0:1]
	v_add_co_u32_e64 v35, s[0:1], s18, v15
	v_addc_co_u32_e64 v36, s[0:1], v16, v31, s[0:1]
	global_load_ubyte v31, v[33:34], off
	global_load_ubyte v32, v[35:36], off
.LBB66_6:                               ;   in Loop: Header=BB66_4 Depth=1
	s_or_b64 exec, exec, s[20:21]
	v_mov_b32_e32 v34, 0
	v_mov_b32_e32 v33, 0
	s_and_saveexec_b64 s[0:1], vcc
	s_cbranch_execz .LBB66_8
; %bb.7:                                ;   in Loop: Header=BB66_4 Depth=1
	v_mov_b32_e32 v33, s19
	v_add_co_u32_e32 v35, vcc, s18, v17
	v_addc_co_u32_e32 v36, vcc, v18, v33, vcc
	global_load_ubyte v33, v[35:36], off
.LBB66_8:                               ;   in Loop: Header=BB66_4 Depth=1
	s_or_b64 exec, exec, s[0:1]
	v_mov_b32_e32 v36, s19
	v_add_co_u32_e32 v35, vcc, s18, v29
	v_addc_co_u32_e32 v36, vcc, v30, v36, vcc
	v_cmp_gt_u64_e32 vcc, s[16:17], v[35:36]
	v_mov_b32_e32 v35, 0
	s_and_saveexec_b64 s[20:21], vcc
	s_cbranch_execz .LBB66_10
; %bb.9:                                ;   in Loop: Header=BB66_4 Depth=1
	v_mov_b32_e32 v34, s19
	v_add_co_u32_e64 v36, s[0:1], s18, v21
	v_addc_co_u32_e64 v37, s[0:1], v22, v34, s[0:1]
	v_add_co_u32_e64 v38, s[0:1], s18, v19
	v_addc_co_u32_e64 v39, s[0:1], v20, v34, s[0:1]
	global_load_ubyte v35, v[38:39], off
	global_load_ubyte v34, v[36:37], off
.LBB66_10:                              ;   in Loop: Header=BB66_4 Depth=1
	s_or_b64 exec, exec, s[20:21]
	v_mov_b32_e32 v36, 0
	v_mov_b32_e32 v37, 0
	s_and_saveexec_b64 s[0:1], vcc
	s_cbranch_execz .LBB66_12
; %bb.11:                               ;   in Loop: Header=BB66_4 Depth=1
	v_mov_b32_e32 v38, s19
	v_add_co_u32_e32 v37, vcc, s18, v23
	v_addc_co_u32_e32 v38, vcc, v24, v38, vcc
	global_load_ubyte v37, v[37:38], off
.LBB66_12:                              ;   in Loop: Header=BB66_4 Depth=1
	s_or_b64 exec, exec, s[0:1]
	v_mov_b32_e32 v39, s19
	v_add_co_u32_e32 v38, vcc, s18, v27
	v_addc_co_u32_e32 v39, vcc, v28, v39, vcc
	v_cmp_gt_u64_e32 vcc, s[16:17], v[38:39]
	v_mov_b32_e32 v38, 0
	s_and_saveexec_b64 s[20:21], vcc
	s_cbranch_execz .LBB66_14
; %bb.13:                               ;   in Loop: Header=BB66_4 Depth=1
	v_mov_b32_e32 v36, s19
	v_add_co_u32_e64 v39, s[0:1], s18, v11
	v_addc_co_u32_e64 v40, s[0:1], v12, v36, s[0:1]
	v_add_co_u32_e64 v41, s[0:1], s18, v5
	v_addc_co_u32_e64 v42, s[0:1], v6, v36, s[0:1]
	global_load_ubyte v38, v[41:42], off
	global_load_ubyte v36, v[39:40], off
.LBB66_14:                              ;   in Loop: Header=BB66_4 Depth=1
	s_or_b64 exec, exec, s[20:21]
	v_mov_b32_e32 v39, 0
	v_mov_b32_e32 v40, 0
	s_and_saveexec_b64 s[0:1], vcc
	s_cbranch_execz .LBB66_16
; %bb.15:                               ;   in Loop: Header=BB66_4 Depth=1
	v_mov_b32_e32 v41, s19
	v_add_co_u32_e32 v40, vcc, s18, v13
	v_addc_co_u32_e32 v41, vcc, v14, v41, vcc
	global_load_ubyte v40, v[40:41], off
.LBB66_16:                              ;   in Loop: Header=BB66_4 Depth=1
	s_or_b64 exec, exec, s[0:1]
	v_mov_b32_e32 v42, s19
	v_add_co_u32_e32 v41, vcc, s18, v25
	v_addc_co_u32_e32 v42, vcc, v26, v42, vcc
	v_cmp_gt_u64_e32 vcc, s[16:17], v[41:42]
	v_mov_b32_e32 v41, 0
	s_and_saveexec_b64 s[0:1], vcc
	s_cbranch_execz .LBB66_3
; %bb.17:                               ;   in Loop: Header=BB66_4 Depth=1
	v_mov_b32_e32 v39, s19
	v_add_co_u32_e32 v42, vcc, s18, v7
	v_addc_co_u32_e32 v43, vcc, v8, v39, vcc
	v_add_co_u32_e32 v44, vcc, s18, v3
	v_addc_co_u32_e32 v45, vcc, v4, v39, vcc
	global_load_ubyte v41, v[44:45], off
	global_load_ubyte v39, v[42:43], off
	s_branch .LBB66_3
.LBB66_18:
	s_mov_b64 s[0:1], 0
.LBB66_19:
	s_andn2_b64 vcc, exec, s[0:1]
	s_cbranch_vccnz .LBB66_23
; %bb.20:
	v_mov_b32_e32 v1, 0x10000
	v_mov_b32_e32 v2, 0
	v_cmp_lt_i64_e32 vcc, s[12:13], v[1:2]
	v_mov_b32_e32 v3, 0
	s_and_b64 s[0:1], vcc, exec
	s_cselect_b32 s13, s13, 0
	s_cselect_b32 s12, s12, 0x10000
	v_lshlrev_b32_e32 v2, 2, v0
	v_cmp_gt_i64_e32 vcc, s[12:13], v[2:3]
	s_and_saveexec_b64 s[0:1], vcc
	s_cbranch_execz .LBB66_23
; %bb.21:
	s_load_dword s0, s[4:5], 0xc5c
	v_mov_b32_e32 v1, v3
	v_mov_b32_e32 v3, s3
	v_add_co_u32_e32 v2, vcc, s2, v2
	s_waitcnt lgkmcnt(0)
	s_and_b32 s16, s0, 0xffff
	v_addc_co_u32_e32 v3, vcc, 0, v3, vcc
	s_lshl_b32 s17, s16, 2
	s_mov_b64 s[14:15], 0
	s_lshr_b32 s18, s22, 16
	v_mov_b32_e32 v4, s7
	v_mov_b32_e32 v5, s9
	;; [unrolled: 1-line block ×3, first 2 shown]
	s_mov_b32 s7, 0x6050400
.LBB66_22:                              ; =>This Inner Loop Header: Depth=1
	v_add_co_u32_e32 v7, vcc, s6, v2
	v_addc_co_u32_e32 v8, vcc, v4, v3, vcc
	v_add_co_u32_e32 v9, vcc, s8, v2
	v_addc_co_u32_e32 v10, vcc, v5, v3, vcc
	v_add_co_u32_e32 v11, vcc, s10, v2
	v_addc_co_u32_e32 v12, vcc, v6, v3, vcc
	global_load_dword v13, v[9:10], off
	global_load_dword v14, v[11:12], off
	;; [unrolled: 1-line block ×3, first 2 shown]
	v_add_co_u32_e32 v0, vcc, s16, v0
	v_addc_co_u32_e32 v1, vcc, 0, v1, vcc
	v_add_co_u32_e32 v2, vcc, s17, v2
	v_lshlrev_b64 v[9:10], 2, v[0:1]
	v_addc_co_u32_e32 v3, vcc, 0, v3, vcc
	v_cmp_le_i64_e32 vcc, s[12:13], v[9:10]
	s_or_b64 s[14:15], vcc, s[14:15]
	s_waitcnt vmcnt(2)
	v_cvt_f32_ubyte1_e32 v12, v13
	s_waitcnt vmcnt(1)
	v_cvt_f32_ubyte1_e32 v16, v14
	v_cvt_f32_ubyte2_e32 v19, v14
	v_cvt_f32_ubyte0_e32 v10, v14
	v_cvt_f32_ubyte3_e32 v14, v14
	v_rcp_iflag_f32_e32 v22, v16
	v_rcp_iflag_f32_e32 v23, v19
	;; [unrolled: 1-line block ×4, first 2 shown]
	v_cvt_f32_ubyte2_e32 v18, v13
	v_cvt_f32_ubyte0_e32 v9, v13
	v_cvt_f32_ubyte3_e32 v13, v13
	v_mul_f32_e32 v22, v12, v22
	v_mul_f32_e32 v23, v18, v23
	;; [unrolled: 1-line block ×4, first 2 shown]
	v_trunc_f32_e32 v22, v22
	v_trunc_f32_e32 v23, v23
	;; [unrolled: 1-line block ×4, first 2 shown]
	v_mad_f32 v12, -v22, v16, v12
	v_cvt_u32_f32_e32 v22, v22
	v_mad_f32 v18, -v23, v19, v18
	v_cvt_u32_f32_e32 v23, v23
	;; [unrolled: 2-line block ×4, first 2 shown]
	v_cmp_ge_f32_e64 vcc, |v12|, v16
	v_cmp_ge_f32_e64 s[0:1], |v18|, v19
	s_waitcnt vmcnt(0)
	v_lshrrev_b32_e32 v11, 8, v15
	v_lshrrev_b32_e32 v17, 16, v15
	v_cmp_ge_f32_e64 s[2:3], |v13|, v14
	v_cmp_ge_f32_e64 s[4:5], |v9|, v10
	v_addc_co_u32_e32 v10, vcc, 0, v22, vcc
	v_addc_co_u32_e64 v12, vcc, 0, v23, s[0:1]
	v_lshrrev_b32_e32 v20, 24, v15
	v_addc_co_u32_e64 v9, s[4:5], 0, v21, s[4:5]
	v_addc_co_u32_e64 v13, vcc, 0, v24, s[2:3]
	v_mad_legacy_u16 v10, v10, s18, v11
	v_mad_legacy_u16 v11, v12, s18, v17
	;; [unrolled: 1-line block ×4, first 2 shown]
	v_and_b32_e32 v10, 0xff, v10
	v_and_b32_e32 v11, 0xff, v11
	v_lshlrev_b32_e32 v12, 24, v12
	v_perm_b32 v9, v10, v9, s7
	v_lshlrev_b32_e32 v10, 16, v11
	v_or3_b32 v9, v9, v10, v12
	global_store_dword v[7:8], v9, off
	s_andn2_b64 exec, exec, s[14:15]
	s_cbranch_execnz .LBB66_22
.LBB66_23:
	s_endpgm
	.section	.rodata,"a",@progbits
	.p2align	6, 0x0
	.amdhsa_kernel _ZN2at6native12_GLOBAL__N_125multi_tensor_apply_kernelINS1_18TensorListMetadataILi3EEENS1_24PointwiseOpScalarFunctorIhLi3ELi3ELi0EEEJSt7dividesIhEhEEEvT_T0_DpT1_
		.amdhsa_group_segment_fixed_size 0
		.amdhsa_private_segment_fixed_size 0
		.amdhsa_kernarg_size 3408
		.amdhsa_user_sgpr_count 6
		.amdhsa_user_sgpr_private_segment_buffer 1
		.amdhsa_user_sgpr_dispatch_ptr 0
		.amdhsa_user_sgpr_queue_ptr 0
		.amdhsa_user_sgpr_kernarg_segment_ptr 1
		.amdhsa_user_sgpr_dispatch_id 0
		.amdhsa_user_sgpr_flat_scratch_init 0
		.amdhsa_user_sgpr_private_segment_size 0
		.amdhsa_uses_dynamic_stack 0
		.amdhsa_system_sgpr_private_segment_wavefront_offset 0
		.amdhsa_system_sgpr_workgroup_id_x 1
		.amdhsa_system_sgpr_workgroup_id_y 0
		.amdhsa_system_sgpr_workgroup_id_z 0
		.amdhsa_system_sgpr_workgroup_info 0
		.amdhsa_system_vgpr_workitem_id 0
		.amdhsa_next_free_vgpr 46
		.amdhsa_next_free_sgpr 25
		.amdhsa_reserve_vcc 1
		.amdhsa_reserve_flat_scratch 0
		.amdhsa_float_round_mode_32 0
		.amdhsa_float_round_mode_16_64 0
		.amdhsa_float_denorm_mode_32 3
		.amdhsa_float_denorm_mode_16_64 3
		.amdhsa_dx10_clamp 1
		.amdhsa_ieee_mode 1
		.amdhsa_fp16_overflow 0
		.amdhsa_exception_fp_ieee_invalid_op 0
		.amdhsa_exception_fp_denorm_src 0
		.amdhsa_exception_fp_ieee_div_zero 0
		.amdhsa_exception_fp_ieee_overflow 0
		.amdhsa_exception_fp_ieee_underflow 0
		.amdhsa_exception_fp_ieee_inexact 0
		.amdhsa_exception_int_div_zero 0
	.end_amdhsa_kernel
	.section	.text._ZN2at6native12_GLOBAL__N_125multi_tensor_apply_kernelINS1_18TensorListMetadataILi3EEENS1_24PointwiseOpScalarFunctorIhLi3ELi3ELi0EEEJSt7dividesIhEhEEEvT_T0_DpT1_,"axG",@progbits,_ZN2at6native12_GLOBAL__N_125multi_tensor_apply_kernelINS1_18TensorListMetadataILi3EEENS1_24PointwiseOpScalarFunctorIhLi3ELi3ELi0EEEJSt7dividesIhEhEEEvT_T0_DpT1_,comdat
.Lfunc_end66:
	.size	_ZN2at6native12_GLOBAL__N_125multi_tensor_apply_kernelINS1_18TensorListMetadataILi3EEENS1_24PointwiseOpScalarFunctorIhLi3ELi3ELi0EEEJSt7dividesIhEhEEEvT_T0_DpT1_, .Lfunc_end66-_ZN2at6native12_GLOBAL__N_125multi_tensor_apply_kernelINS1_18TensorListMetadataILi3EEENS1_24PointwiseOpScalarFunctorIhLi3ELi3ELi0EEEJSt7dividesIhEhEEEvT_T0_DpT1_
                                        ; -- End function
	.set _ZN2at6native12_GLOBAL__N_125multi_tensor_apply_kernelINS1_18TensorListMetadataILi3EEENS1_24PointwiseOpScalarFunctorIhLi3ELi3ELi0EEEJSt7dividesIhEhEEEvT_T0_DpT1_.num_vgpr, 46
	.set _ZN2at6native12_GLOBAL__N_125multi_tensor_apply_kernelINS1_18TensorListMetadataILi3EEENS1_24PointwiseOpScalarFunctorIhLi3ELi3ELi0EEEJSt7dividesIhEhEEEvT_T0_DpT1_.num_agpr, 0
	.set _ZN2at6native12_GLOBAL__N_125multi_tensor_apply_kernelINS1_18TensorListMetadataILi3EEENS1_24PointwiseOpScalarFunctorIhLi3ELi3ELi0EEEJSt7dividesIhEhEEEvT_T0_DpT1_.numbered_sgpr, 25
	.set _ZN2at6native12_GLOBAL__N_125multi_tensor_apply_kernelINS1_18TensorListMetadataILi3EEENS1_24PointwiseOpScalarFunctorIhLi3ELi3ELi0EEEJSt7dividesIhEhEEEvT_T0_DpT1_.num_named_barrier, 0
	.set _ZN2at6native12_GLOBAL__N_125multi_tensor_apply_kernelINS1_18TensorListMetadataILi3EEENS1_24PointwiseOpScalarFunctorIhLi3ELi3ELi0EEEJSt7dividesIhEhEEEvT_T0_DpT1_.private_seg_size, 0
	.set _ZN2at6native12_GLOBAL__N_125multi_tensor_apply_kernelINS1_18TensorListMetadataILi3EEENS1_24PointwiseOpScalarFunctorIhLi3ELi3ELi0EEEJSt7dividesIhEhEEEvT_T0_DpT1_.uses_vcc, 1
	.set _ZN2at6native12_GLOBAL__N_125multi_tensor_apply_kernelINS1_18TensorListMetadataILi3EEENS1_24PointwiseOpScalarFunctorIhLi3ELi3ELi0EEEJSt7dividesIhEhEEEvT_T0_DpT1_.uses_flat_scratch, 0
	.set _ZN2at6native12_GLOBAL__N_125multi_tensor_apply_kernelINS1_18TensorListMetadataILi3EEENS1_24PointwiseOpScalarFunctorIhLi3ELi3ELi0EEEJSt7dividesIhEhEEEvT_T0_DpT1_.has_dyn_sized_stack, 0
	.set _ZN2at6native12_GLOBAL__N_125multi_tensor_apply_kernelINS1_18TensorListMetadataILi3EEENS1_24PointwiseOpScalarFunctorIhLi3ELi3ELi0EEEJSt7dividesIhEhEEEvT_T0_DpT1_.has_recursion, 0
	.set _ZN2at6native12_GLOBAL__N_125multi_tensor_apply_kernelINS1_18TensorListMetadataILi3EEENS1_24PointwiseOpScalarFunctorIhLi3ELi3ELi0EEEJSt7dividesIhEhEEEvT_T0_DpT1_.has_indirect_call, 0
	.section	.AMDGPU.csdata,"",@progbits
; Kernel info:
; codeLenInByte = 1824
; TotalNumSgprs: 29
; NumVgprs: 46
; ScratchSize: 0
; MemoryBound: 0
; FloatMode: 240
; IeeeMode: 1
; LDSByteSize: 0 bytes/workgroup (compile time only)
; SGPRBlocks: 3
; VGPRBlocks: 11
; NumSGPRsForWavesPerEU: 29
; NumVGPRsForWavesPerEU: 46
; Occupancy: 5
; WaveLimiterHint : 0
; COMPUTE_PGM_RSRC2:SCRATCH_EN: 0
; COMPUTE_PGM_RSRC2:USER_SGPR: 6
; COMPUTE_PGM_RSRC2:TRAP_HANDLER: 0
; COMPUTE_PGM_RSRC2:TGID_X_EN: 1
; COMPUTE_PGM_RSRC2:TGID_Y_EN: 0
; COMPUTE_PGM_RSRC2:TGID_Z_EN: 0
; COMPUTE_PGM_RSRC2:TIDIG_COMP_CNT: 0
	.section	.text._ZN2at6native12_GLOBAL__N_125multi_tensor_apply_kernelINS1_18TensorListMetadataILi3EEENS1_24PointwiseOpScalarFunctorIaLi3ELi3ELi0EEEJSt7dividesIaEaEEEvT_T0_DpT1_,"axG",@progbits,_ZN2at6native12_GLOBAL__N_125multi_tensor_apply_kernelINS1_18TensorListMetadataILi3EEENS1_24PointwiseOpScalarFunctorIaLi3ELi3ELi0EEEJSt7dividesIaEaEEEvT_T0_DpT1_,comdat
	.globl	_ZN2at6native12_GLOBAL__N_125multi_tensor_apply_kernelINS1_18TensorListMetadataILi3EEENS1_24PointwiseOpScalarFunctorIaLi3ELi3ELi0EEEJSt7dividesIaEaEEEvT_T0_DpT1_ ; -- Begin function _ZN2at6native12_GLOBAL__N_125multi_tensor_apply_kernelINS1_18TensorListMetadataILi3EEENS1_24PointwiseOpScalarFunctorIaLi3ELi3ELi0EEEJSt7dividesIaEaEEEvT_T0_DpT1_
	.p2align	8
	.type	_ZN2at6native12_GLOBAL__N_125multi_tensor_apply_kernelINS1_18TensorListMetadataILi3EEENS1_24PointwiseOpScalarFunctorIaLi3ELi3ELi0EEEJSt7dividesIaEaEEEvT_T0_DpT1_,@function
_ZN2at6native12_GLOBAL__N_125multi_tensor_apply_kernelINS1_18TensorListMetadataILi3EEENS1_24PointwiseOpScalarFunctorIaLi3ELi3ELi0EEEJSt7dividesIaEaEEEvT_T0_DpT1_: ; @_ZN2at6native12_GLOBAL__N_125multi_tensor_apply_kernelINS1_18TensorListMetadataILi3EEENS1_24PointwiseOpScalarFunctorIaLi3ELi3ELi0EEEJSt7dividesIaEaEEEvT_T0_DpT1_
; %bb.0:
	v_mov_b32_e32 v1, s6
	global_load_ubyte v1, v1, s[4:5] offset:1536
	s_add_u32 s0, s4, s6
	s_mul_hi_u32 s1, s6, 3
	s_mul_i32 s6, s6, 3
	s_addc_u32 s2, s5, 0
	s_add_u32 s0, s0, s6
	s_addc_u32 s1, s2, s1
	s_load_dword s2, s[0:1], 0x740
	s_load_dword s33, s[4:5], 0xc48
	s_mov_b32 s1, 0
	s_waitcnt lgkmcnt(0)
	s_ashr_i32 s3, s2, 31
	s_lshl_b64 s[20:21], s[2:3], 16
	s_waitcnt vmcnt(0)
	v_readfirstlane_b32 s0, v1
	s_lshl_b32 s0, s0, 3
	s_load_dwordx2 s[14:15], s[4:5], s0 offset:0x0
	s_load_dwordx2 s[6:7], s[4:5], s0 offset:0x480
	;; [unrolled: 1-line block ×4, first 2 shown]
	s_waitcnt lgkmcnt(0)
	s_add_u32 s2, s14, s20
	s_addc_u32 s3, s15, s21
	s_add_u32 s0, s16, s20
	s_or_b32 s0, s18, s0
	s_and_b32 s0, s0, 3
	s_cmp_eq_u32 s0, 0
	s_cselect_b64 s[8:9], -1, 0
	s_sub_u32 s22, s6, s20
	s_subb_u32 s23, s7, s21
	s_or_b64 s[2:3], s[6:7], s[2:3]
	s_and_b32 s0, s2, 3
	s_cmp_eq_u64 s[0:1], 0
	s_cselect_b64 s[0:1], -1, 0
	s_and_b64 s[2:3], s[8:9], s[0:1]
	s_mov_b64 s[0:1], -1
	s_and_b64 vcc, exec, s[2:3]
	s_cbranch_vccnz .LBB67_45
; %bb.1:
	v_cmp_lt_i64_e64 s[0:1], s[22:23], 1
	s_and_b64 vcc, exec, s[0:1]
	s_cbranch_vccnz .LBB67_44
; %bb.2:
	v_mov_b32_e32 v1, 0x10000
	s_load_dword s2, s[4:5], 0xc5c
	v_mov_b32_e32 v2, 0
	v_cmp_lt_i64_e32 vcc, s[22:23], v[1:2]
	v_mov_b32_e32 v4, s15
	s_and_b64 s[0:1], vcc, exec
	v_cmp_lt_u64_e32 vcc, s[22:23], v[1:2]
	s_cselect_b32 s25, s23, 0
	s_cselect_b32 s24, s22, 0x10000
	s_waitcnt lgkmcnt(0)
	s_and_b32 s2, s2, 0xffff
	s_and_b64 s[0:1], vcc, exec
	s_cselect_b32 s27, s23, 0
	s_cselect_b32 s26, s22, 0x10000
	s_lshl_b32 s3, s2, 1
	s_bfe_u32 s1, s33, 0x80010
	s_cmp_lg_u32 s1, 1
	v_mov_b32_e32 v1, s21
	v_add_co_u32_e32 v19, vcc, s20, v0
	s_mul_i32 s0, s2, 3
	s_cselect_b64 s[28:29], -1, 0
	s_lshl_b32 s34, s2, 2
	v_addc_co_u32_e32 v20, vcc, 0, v1, vcc
	v_mov_b32_e32 v2, s15
	v_add_co_u32_e32 v1, vcc, s14, v19
	s_add_u32 s1, s20, s0
	v_addc_co_u32_e32 v2, vcc, v2, v20, vcc
	s_addc_u32 s6, s21, 0
	v_mov_b32_e32 v3, s6
	v_add_co_u32_e32 v7, vcc, s1, v0
	v_addc_co_u32_e32 v8, vcc, 0, v3, vcc
	v_add_co_u32_e32 v3, vcc, s14, v7
	v_addc_co_u32_e32 v4, vcc, v4, v8, vcc
	v_mov_b32_e32 v6, s17
	v_add_co_u32_e32 v5, vcc, s16, v7
	v_addc_co_u32_e32 v6, vcc, v6, v8, vcc
	v_mov_b32_e32 v9, s19
	v_add_co_u32_e32 v7, vcc, s18, v7
	s_add_u32 s1, s20, s3
	v_addc_co_u32_e32 v8, vcc, v9, v8, vcc
	s_addc_u32 s6, s21, 0
	v_mov_b32_e32 v9, s6
	v_add_co_u32_e32 v13, vcc, s1, v0
	v_addc_co_u32_e32 v14, vcc, 0, v9, vcc
	v_mov_b32_e32 v10, s15
	v_add_co_u32_e32 v9, vcc, s14, v13
	v_addc_co_u32_e32 v10, vcc, v10, v14, vcc
	;; [unrolled: 3-line block ×6, first 2 shown]
	v_add_co_u32_e32 v23, vcc, s2, v19
	v_addc_co_u32_e32 v24, vcc, 0, v20, vcc
	v_mov_b32_e32 v20, s15
	v_add_co_u32_e32 v19, vcc, s14, v23
	v_addc_co_u32_e32 v20, vcc, v20, v24, vcc
	v_mov_b32_e32 v22, s17
	;; [unrolled: 3-line block ×3, first 2 shown]
	v_add_co_u32_e32 v23, vcc, s18, v23
	v_addc_co_u32_e32 v24, vcc, v25, v24, vcc
	v_add_co_u32_e32 v25, vcc, s0, v0
	v_addc_co_u32_e64 v26, s[0:1], 0, 0, vcc
	v_add_co_u32_e32 v27, vcc, s3, v0
	v_addc_co_u32_e64 v28, s[0:1], 0, 0, vcc
	v_add_co_u32_e32 v29, vcc, s2, v0
	s_mov_b64 s[30:31], 0
	s_lshr_b32 s35, s33, 16
	v_addc_co_u32_e64 v30, s[0:1], 0, 0, vcc
	s_branch .LBB67_4
.LBB67_3:                               ;   in Loop: Header=BB67_4 Depth=1
	s_or_b64 exec, exec, s[0:1]
	s_add_u32 s30, s30, s34
	v_mov_b32_e32 v32, s25
	s_addc_u32 s31, s31, 0
	v_mov_b32_e32 v31, s24
	v_cmp_ge_i64_e32 vcc, s[30:31], v[31:32]
	s_cbranch_vccnz .LBB67_44
.LBB67_4:                               ; =>This Inner Loop Header: Depth=1
	v_mov_b32_e32 v32, s31
	v_add_co_u32_e32 v31, vcc, s30, v0
	v_addc_co_u32_e32 v32, vcc, 0, v32, vcc
	v_cmp_gt_u64_e64 s[0:1], s[26:27], v[31:32]
	v_mov_b32_e32 v38, 0
	v_mov_b32_e32 v32, 0
	s_and_saveexec_b64 s[2:3], s[0:1]
	s_cbranch_execz .LBB67_6
; %bb.5:                                ;   in Loop: Header=BB67_4 Depth=1
	v_mov_b32_e32 v31, s31
	v_add_co_u32_e32 v33, vcc, s30, v1
	v_addc_co_u32_e32 v34, vcc, v2, v31, vcc
	v_add_co_u32_e32 v35, vcc, s30, v15
	v_addc_co_u32_e32 v36, vcc, v16, v31, vcc
	global_load_ubyte v32, v[33:34], off
	global_load_ubyte v38, v[35:36], off
.LBB67_6:                               ;   in Loop: Header=BB67_4 Depth=1
	s_or_b64 exec, exec, s[2:3]
	v_mov_b32_e32 v36, 0
	v_mov_b32_e32 v42, 0
	s_and_saveexec_b64 s[2:3], s[0:1]
	s_cbranch_execz .LBB67_8
; %bb.7:                                ;   in Loop: Header=BB67_4 Depth=1
	v_mov_b32_e32 v31, s31
	v_add_co_u32_e32 v33, vcc, s30, v17
	v_addc_co_u32_e32 v34, vcc, v18, v31, vcc
	global_load_ubyte v42, v[33:34], off
.LBB67_8:                               ;   in Loop: Header=BB67_4 Depth=1
	s_or_b64 exec, exec, s[2:3]
	v_mov_b32_e32 v31, s31
	v_add_co_u32_e32 v33, vcc, s30, v29
	v_addc_co_u32_e32 v34, vcc, v30, v31, vcc
	v_cmp_gt_u64_e64 s[2:3], s[26:27], v[33:34]
	v_mov_b32_e32 v31, 0
	s_and_saveexec_b64 s[6:7], s[2:3]
	s_cbranch_execz .LBB67_10
; %bb.9:                                ;   in Loop: Header=BB67_4 Depth=1
	v_mov_b32_e32 v31, s31
	v_add_co_u32_e32 v33, vcc, s30, v21
	v_addc_co_u32_e32 v34, vcc, v22, v31, vcc
	v_add_co_u32_e32 v39, vcc, s30, v19
	v_addc_co_u32_e32 v40, vcc, v20, v31, vcc
	global_load_ubyte v31, v[39:40], off
	global_load_ubyte v36, v[33:34], off
.LBB67_10:                              ;   in Loop: Header=BB67_4 Depth=1
	s_or_b64 exec, exec, s[6:7]
	v_mov_b32_e32 v35, 0
	v_mov_b32_e32 v40, 0
	s_and_saveexec_b64 s[6:7], s[2:3]
	s_cbranch_execz .LBB67_12
; %bb.11:                               ;   in Loop: Header=BB67_4 Depth=1
	v_mov_b32_e32 v34, s31
	v_add_co_u32_e32 v33, vcc, s30, v23
	v_addc_co_u32_e32 v34, vcc, v24, v34, vcc
	global_load_ubyte v40, v[33:34], off
.LBB67_12:                              ;   in Loop: Header=BB67_4 Depth=1
	s_or_b64 exec, exec, s[6:7]
	v_mov_b32_e32 v34, s31
	v_add_co_u32_e32 v33, vcc, s30, v27
	v_addc_co_u32_e32 v34, vcc, v28, v34, vcc
	v_cmp_gt_u64_e64 s[6:7], s[26:27], v[33:34]
	v_mov_b32_e32 v33, 0
	s_and_saveexec_b64 s[8:9], s[6:7]
	s_cbranch_execz .LBB67_14
; %bb.13:                               ;   in Loop: Header=BB67_4 Depth=1
	v_mov_b32_e32 v33, s31
	v_add_co_u32_e32 v43, vcc, s30, v11
	v_addc_co_u32_e32 v44, vcc, v12, v33, vcc
	v_add_co_u32_e32 v45, vcc, s30, v9
	v_addc_co_u32_e32 v46, vcc, v10, v33, vcc
	global_load_ubyte v33, v[45:46], off
	global_load_ubyte v35, v[43:44], off
.LBB67_14:                              ;   in Loop: Header=BB67_4 Depth=1
	s_or_b64 exec, exec, s[8:9]
	v_mov_b32_e32 v37, 0
	v_mov_b32_e32 v39, 0
	s_and_saveexec_b64 s[8:9], s[6:7]
	s_cbranch_execz .LBB67_16
; %bb.15:                               ;   in Loop: Header=BB67_4 Depth=1
	v_mov_b32_e32 v34, s31
	v_add_co_u32_e32 v43, vcc, s30, v13
	v_addc_co_u32_e32 v44, vcc, v14, v34, vcc
	global_load_ubyte v39, v[43:44], off
.LBB67_16:                              ;   in Loop: Header=BB67_4 Depth=1
	s_or_b64 exec, exec, s[8:9]
	v_mov_b32_e32 v34, s31
	v_add_co_u32_e32 v43, vcc, s30, v25
	v_addc_co_u32_e32 v44, vcc, v26, v34, vcc
	v_cmp_gt_u64_e64 s[8:9], s[26:27], v[43:44]
	v_mov_b32_e32 v34, 0
	s_and_saveexec_b64 s[10:11], s[8:9]
	s_cbranch_execz .LBB67_18
; %bb.17:                               ;   in Loop: Header=BB67_4 Depth=1
	v_mov_b32_e32 v34, s31
	v_add_co_u32_e32 v43, vcc, s30, v5
	v_addc_co_u32_e32 v44, vcc, v6, v34, vcc
	v_add_co_u32_e32 v45, vcc, s30, v3
	v_addc_co_u32_e32 v46, vcc, v4, v34, vcc
	global_load_ubyte v34, v[45:46], off
	global_load_ubyte v37, v[43:44], off
.LBB67_18:                              ;   in Loop: Header=BB67_4 Depth=1
	s_or_b64 exec, exec, s[10:11]
	v_mov_b32_e32 v41, 0
	s_and_saveexec_b64 s[10:11], s[8:9]
	s_cbranch_execz .LBB67_20
; %bb.19:                               ;   in Loop: Header=BB67_4 Depth=1
	v_mov_b32_e32 v41, s31
	v_add_co_u32_e32 v43, vcc, s30, v7
	v_addc_co_u32_e32 v44, vcc, v8, v41, vcc
	global_load_ubyte v41, v[43:44], off
.LBB67_20:                              ;   in Loop: Header=BB67_4 Depth=1
	s_or_b64 exec, exec, s[10:11]
	s_waitcnt vmcnt(0)
	v_cvt_f32_i32_sdwa v43, sext(v42) dst_sel:DWORD dst_unused:UNUSED_PAD src0_sel:BYTE_0
	v_cvt_f32_i32_sdwa v44, sext(v38) dst_sel:DWORD dst_unused:UNUSED_PAD src0_sel:BYTE_0
	v_xor_b32_sdwa v42, sext(v38), sext(v42) dst_sel:DWORD dst_unused:UNUSED_PAD src0_sel:BYTE_0 src1_sel:BYTE_0
	v_ashrrev_i32_e32 v42, 30, v42
	v_rcp_iflag_f32_e32 v45, v43
	v_or_b32_e32 v42, 1, v42
	s_mov_b64 s[12:13], -1
	s_and_b64 vcc, exec, s[28:29]
	v_mul_f32_e32 v45, v44, v45
	v_trunc_f32_e32 v45, v45
	v_cvt_i32_f32_e32 v46, v45
	v_mad_f32 v44, -v45, v43, v44
	v_cmp_ge_f32_e64 s[10:11], |v44|, |v43|
	v_cndmask_b32_e64 v42, 0, v42, s[10:11]
	v_add_u32_e32 v42, v46, v42
	v_bfe_i32 v42, v42, 0, 8
                                        ; implicit-def: $vgpr38
	s_cbranch_vccz .LBB67_22
; %bb.21:                               ;   in Loop: Header=BB67_4 Depth=1
	v_mad_legacy_u16 v38, s35, v42, v32
	s_mov_b64 s[12:13], 0
.LBB67_22:                              ;   in Loop: Header=BB67_4 Depth=1
	s_andn2_b64 vcc, exec, s[12:13]
	s_cbranch_vccnz .LBB67_24
; %bb.23:                               ;   in Loop: Header=BB67_4 Depth=1
	v_add_u16_e32 v38, v32, v42
.LBB67_24:                              ;   in Loop: Header=BB67_4 Depth=1
	v_cvt_f32_i32_sdwa v32, sext(v40) dst_sel:DWORD dst_unused:UNUSED_PAD src0_sel:BYTE_0
	v_xor_b32_sdwa v40, sext(v36), sext(v40) dst_sel:DWORD dst_unused:UNUSED_PAD src0_sel:BYTE_0 src1_sel:BYTE_0
	v_cvt_f32_i32_sdwa v36, sext(v36) dst_sel:DWORD dst_unused:UNUSED_PAD src0_sel:BYTE_0
	v_cndmask_b32_e64 v42, 0, 1, s[28:29]
	v_rcp_iflag_f32_e32 v43, v32
	v_cmp_ne_u32_e64 s[10:11], 1, v42
	v_ashrrev_i32_e32 v40, 30, v40
	v_or_b32_e32 v40, 1, v40
	v_mul_f32_e32 v42, v36, v43
	v_trunc_f32_e32 v42, v42
	v_cvt_i32_f32_e32 v43, v42
	v_mad_f32 v36, -v42, v32, v36
	v_cmp_ge_f32_e64 vcc, |v36|, |v32|
	v_cndmask_b32_e32 v32, 0, v40, vcc
	v_add_u32_e32 v32, v43, v32
	v_bfe_i32 v36, v32, 0, 8
	s_andn2_b64 vcc, exec, s[28:29]
	s_mov_b64 s[12:13], -1
                                        ; implicit-def: $vgpr32
	s_cbranch_vccnz .LBB67_26
; %bb.25:                               ;   in Loop: Header=BB67_4 Depth=1
	v_mad_legacy_u16 v32, s35, v36, v31
	s_mov_b64 s[12:13], 0
.LBB67_26:                              ;   in Loop: Header=BB67_4 Depth=1
	s_andn2_b64 vcc, exec, s[12:13]
	s_cbranch_vccnz .LBB67_28
; %bb.27:                               ;   in Loop: Header=BB67_4 Depth=1
	v_add_u16_e32 v32, v31, v36
.LBB67_28:                              ;   in Loop: Header=BB67_4 Depth=1
	v_cvt_f32_i32_sdwa v31, sext(v39) dst_sel:DWORD dst_unused:UNUSED_PAD src0_sel:BYTE_0
	v_xor_b32_sdwa v36, sext(v35), sext(v39) dst_sel:DWORD dst_unused:UNUSED_PAD src0_sel:BYTE_0 src1_sel:BYTE_0
	v_cvt_f32_i32_sdwa v35, sext(v35) dst_sel:DWORD dst_unused:UNUSED_PAD src0_sel:BYTE_0
	v_ashrrev_i32_e32 v36, 30, v36
	v_rcp_iflag_f32_e32 v39, v31
	v_or_b32_e32 v36, 1, v36
	s_and_b64 vcc, exec, s[10:11]
	v_mul_f32_e32 v39, v35, v39
	v_trunc_f32_e32 v39, v39
	v_cvt_i32_f32_e32 v40, v39
	v_mad_f32 v35, -v39, v31, v35
	v_cmp_ge_f32_e64 s[12:13], |v35|, |v31|
	v_cndmask_b32_e64 v31, 0, v36, s[12:13]
	v_add_u32_e32 v31, v40, v31
	v_bfe_i32 v35, v31, 0, 8
	s_mov_b64 s[12:13], -1
                                        ; implicit-def: $vgpr31
	s_cbranch_vccnz .LBB67_30
; %bb.29:                               ;   in Loop: Header=BB67_4 Depth=1
	v_mad_legacy_u16 v31, s35, v35, v33
	s_mov_b64 s[12:13], 0
.LBB67_30:                              ;   in Loop: Header=BB67_4 Depth=1
	s_andn2_b64 vcc, exec, s[12:13]
	s_cbranch_vccnz .LBB67_32
; %bb.31:                               ;   in Loop: Header=BB67_4 Depth=1
	v_add_u16_e32 v31, v33, v35
.LBB67_32:                              ;   in Loop: Header=BB67_4 Depth=1
	v_cvt_f32_i32_sdwa v33, sext(v41) dst_sel:DWORD dst_unused:UNUSED_PAD src0_sel:BYTE_0
	v_xor_b32_sdwa v35, sext(v37), sext(v41) dst_sel:DWORD dst_unused:UNUSED_PAD src0_sel:BYTE_0 src1_sel:BYTE_0
	v_cvt_f32_i32_sdwa v36, sext(v37) dst_sel:DWORD dst_unused:UNUSED_PAD src0_sel:BYTE_0
	v_ashrrev_i32_e32 v35, 30, v35
	v_rcp_iflag_f32_e32 v37, v33
	s_and_b64 vcc, exec, s[10:11]
	v_or_b32_e32 v35, 1, v35
	v_mul_f32_e32 v37, v36, v37
	v_trunc_f32_e32 v37, v37
	v_cvt_i32_f32_e32 v39, v37
	v_mad_f32 v36, -v37, v33, v36
	v_cmp_ge_f32_e64 s[10:11], |v36|, |v33|
	v_cndmask_b32_e64 v33, 0, v35, s[10:11]
	v_add_u32_e32 v33, v39, v33
	v_bfe_i32 v35, v33, 0, 8
	s_mov_b64 s[10:11], -1
                                        ; implicit-def: $vgpr33
	s_cbranch_vccz .LBB67_38
; %bb.33:                               ;   in Loop: Header=BB67_4 Depth=1
	s_andn2_b64 vcc, exec, s[10:11]
	s_cbranch_vccz .LBB67_39
.LBB67_34:                              ;   in Loop: Header=BB67_4 Depth=1
	s_and_saveexec_b64 s[10:11], s[0:1]
	s_xor_b64 s[0:1], exec, s[10:11]
	s_cbranch_execnz .LBB67_40
.LBB67_35:                              ;   in Loop: Header=BB67_4 Depth=1
	s_or_b64 exec, exec, s[0:1]
	s_and_saveexec_b64 s[0:1], s[2:3]
	s_cbranch_execnz .LBB67_41
.LBB67_36:                              ;   in Loop: Header=BB67_4 Depth=1
	s_or_b64 exec, exec, s[0:1]
	s_and_saveexec_b64 s[0:1], s[6:7]
	s_cbranch_execnz .LBB67_42
.LBB67_37:                              ;   in Loop: Header=BB67_4 Depth=1
	s_or_b64 exec, exec, s[0:1]
	s_and_saveexec_b64 s[0:1], s[8:9]
	s_cbranch_execz .LBB67_3
	s_branch .LBB67_43
.LBB67_38:                              ;   in Loop: Header=BB67_4 Depth=1
	v_mad_legacy_u16 v33, s35, v35, v34
	s_cbranch_execnz .LBB67_34
.LBB67_39:                              ;   in Loop: Header=BB67_4 Depth=1
	v_add_u16_e32 v33, v34, v35
	s_and_saveexec_b64 s[10:11], s[0:1]
	s_xor_b64 s[0:1], exec, s[10:11]
	s_cbranch_execz .LBB67_35
.LBB67_40:                              ;   in Loop: Header=BB67_4 Depth=1
	v_mov_b32_e32 v35, s31
	v_add_co_u32_e32 v34, vcc, s30, v1
	v_addc_co_u32_e32 v35, vcc, v2, v35, vcc
	global_store_byte v[34:35], v38, off
	s_or_b64 exec, exec, s[0:1]
	s_and_saveexec_b64 s[0:1], s[2:3]
	s_cbranch_execz .LBB67_36
.LBB67_41:                              ;   in Loop: Header=BB67_4 Depth=1
	v_mov_b32_e32 v35, s31
	v_add_co_u32_e32 v34, vcc, s30, v19
	v_addc_co_u32_e32 v35, vcc, v20, v35, vcc
	global_store_byte v[34:35], v32, off
	s_or_b64 exec, exec, s[0:1]
	s_and_saveexec_b64 s[0:1], s[6:7]
	s_cbranch_execz .LBB67_37
.LBB67_42:                              ;   in Loop: Header=BB67_4 Depth=1
	v_mov_b32_e32 v32, s31
	v_add_co_u32_e32 v34, vcc, s30, v9
	v_addc_co_u32_e32 v35, vcc, v10, v32, vcc
	global_store_byte v[34:35], v31, off
	s_or_b64 exec, exec, s[0:1]
	s_and_saveexec_b64 s[0:1], s[8:9]
	s_cbranch_execz .LBB67_3
.LBB67_43:                              ;   in Loop: Header=BB67_4 Depth=1
	v_mov_b32_e32 v32, s31
	v_add_co_u32_e32 v31, vcc, s30, v3
	v_addc_co_u32_e32 v32, vcc, v4, v32, vcc
	global_store_byte v[31:32], v33, off
	s_branch .LBB67_3
.LBB67_44:
	s_mov_b64 s[0:1], 0
.LBB67_45:
	s_andn2_b64 vcc, exec, s[0:1]
	s_cbranch_vccnz .LBB67_49
; %bb.46:
	v_mov_b32_e32 v1, 0x10000
	v_mov_b32_e32 v2, 0
	v_cmp_lt_i64_e32 vcc, s[22:23], v[1:2]
	v_mov_b32_e32 v3, 0
	s_and_b64 s[0:1], vcc, exec
	s_cselect_b32 s1, s23, 0
	s_cselect_b32 s0, s22, 0x10000
	v_lshlrev_b32_e32 v2, 2, v0
	v_cmp_gt_i64_e32 vcc, s[0:1], v[2:3]
	s_and_saveexec_b64 s[2:3], vcc
	s_cbranch_execz .LBB67_49
; %bb.47:
	s_load_dword s2, s[4:5], 0xc5c
	v_mov_b32_e32 v1, v3
	v_mov_b32_e32 v3, s21
	v_add_co_u32_e32 v2, vcc, s20, v2
	s_waitcnt lgkmcnt(0)
	s_and_b32 s4, s2, 0xffff
	v_addc_co_u32_e32 v3, vcc, 0, v3, vcc
	s_lshl_b32 s5, s4, 2
	s_mov_b64 s[2:3], 0
	s_lshr_b32 s6, s33, 16
	v_mov_b32_e32 v4, s15
	v_mov_b32_e32 v5, s17
	;; [unrolled: 1-line block ×3, first 2 shown]
	s_mov_b32 s7, 0x6050400
.LBB67_48:                              ; =>This Inner Loop Header: Depth=1
	v_add_co_u32_e32 v7, vcc, s14, v2
	v_addc_co_u32_e32 v8, vcc, v4, v3, vcc
	v_add_co_u32_e32 v9, vcc, s16, v2
	v_addc_co_u32_e32 v10, vcc, v5, v3, vcc
	;; [unrolled: 2-line block ×3, first 2 shown]
	global_load_dword v13, v[9:10], off
	global_load_dword v14, v[11:12], off
	;; [unrolled: 1-line block ×3, first 2 shown]
	v_add_co_u32_e32 v0, vcc, s4, v0
	v_addc_co_u32_e32 v1, vcc, 0, v1, vcc
	v_add_co_u32_e32 v2, vcc, s5, v2
	v_lshlrev_b64 v[9:10], 2, v[0:1]
	v_addc_co_u32_e32 v3, vcc, 0, v3, vcc
	v_cmp_le_i64_e32 vcc, s[0:1], v[9:10]
	s_or_b64 s[2:3], vcc, s[2:3]
	s_waitcnt vmcnt(2)
	v_cvt_f32_i32_sdwa v10, sext(v13) dst_sel:DWORD dst_unused:UNUSED_PAD src0_sel:BYTE_0
	s_waitcnt vmcnt(1)
	v_cvt_f32_i32_sdwa v11, sext(v14) dst_sel:DWORD dst_unused:UNUSED_PAD src0_sel:BYTE_0
	v_cvt_f32_i32_sdwa v20, sext(v14) dst_sel:DWORD dst_unused:UNUSED_PAD src0_sel:BYTE_1
	v_cvt_f32_i32_sdwa v23, sext(v14) dst_sel:DWORD dst_unused:UNUSED_PAD src0_sel:BYTE_2
	v_xor_b32_sdwa v9, sext(v13), sext(v14) dst_sel:DWORD dst_unused:UNUSED_PAD src0_sel:BYTE_0 src1_sel:BYTE_0
	v_xor_b32_sdwa v18, sext(v13), sext(v14) dst_sel:DWORD dst_unused:UNUSED_PAD src0_sel:BYTE_1 src1_sel:BYTE_1
	v_xor_b32_sdwa v21, sext(v13), sext(v14) dst_sel:DWORD dst_unused:UNUSED_PAD src0_sel:BYTE_2 src1_sel:BYTE_2
	v_xor_b32_sdwa v24, sext(v13), sext(v14) dst_sel:DWORD dst_unused:UNUSED_PAD src0_sel:BYTE_3 src1_sel:BYTE_3
	v_cvt_f32_i32_sdwa v14, sext(v14) dst_sel:DWORD dst_unused:UNUSED_PAD src0_sel:BYTE_3
	v_cvt_f32_i32_sdwa v19, sext(v13) dst_sel:DWORD dst_unused:UNUSED_PAD src0_sel:BYTE_1
	v_rcp_iflag_f32_e32 v25, v11
	v_rcp_iflag_f32_e32 v26, v20
	v_cvt_f32_i32_sdwa v22, sext(v13) dst_sel:DWORD dst_unused:UNUSED_PAD src0_sel:BYTE_2
	v_rcp_iflag_f32_e32 v27, v23
	v_cvt_f32_i32_sdwa v13, sext(v13) dst_sel:DWORD dst_unused:UNUSED_PAD src0_sel:BYTE_3
	v_rcp_iflag_f32_e32 v28, v14
	v_mul_f32_e32 v25, v10, v25
	v_mul_f32_e32 v26, v19, v26
	;; [unrolled: 1-line block ×3, first 2 shown]
	v_trunc_f32_e32 v25, v25
	v_trunc_f32_e32 v26, v26
	v_ashrrev_i32_e32 v9, 30, v9
	v_trunc_f32_e32 v27, v27
	v_mad_f32 v10, -v25, v11, v10
	v_mad_f32 v19, -v26, v20, v19
	v_cvt_i32_f32_e32 v26, v26
	v_ashrrev_i32_e32 v18, 30, v18
	v_or_b32_e32 v9, 1, v9
	v_mul_f32_e32 v28, v13, v28
	v_cvt_i32_f32_e32 v25, v25
	v_mad_f32 v22, -v27, v23, v22
	v_cvt_i32_f32_e32 v27, v27
	v_cmp_ge_f32_e64 vcc, |v10|, |v11|
	v_ashrrev_i32_e32 v21, 30, v21
	v_or_b32_e32 v18, 1, v18
	v_trunc_f32_e32 v28, v28
	v_cndmask_b32_e32 v9, 0, v9, vcc
	v_cmp_ge_f32_e64 vcc, |v19|, |v20|
	v_or_b32_e32 v21, 1, v21
	v_mad_f32 v13, -v28, v14, v13
	v_cvt_i32_f32_e32 v28, v28
	v_cndmask_b32_e32 v10, 0, v18, vcc
	v_cmp_ge_f32_e64 vcc, |v22|, |v23|
	s_waitcnt vmcnt(0)
	v_lshrrev_b32_e32 v12, 8, v15
	v_ashrrev_i32_e32 v24, 30, v24
	v_cndmask_b32_e32 v11, 0, v21, vcc
	v_add_u32_e32 v10, v26, v10
	v_lshrrev_b32_e32 v16, 16, v15
	v_or_b32_e32 v24, 1, v24
	v_cmp_ge_f32_e64 vcc, |v13|, |v14|
	v_add_u32_e32 v9, v25, v9
	v_add_u32_e32 v11, v27, v11
	v_mad_legacy_u16 v10, s6, v10, v12
	v_cndmask_b32_e32 v13, 0, v24, vcc
	v_mad_legacy_u16 v9, s6, v9, v15
	v_mad_legacy_u16 v11, s6, v11, v16
	v_and_b32_e32 v10, 0xff, v10
	v_lshrrev_b32_e32 v17, 24, v15
	v_add_u32_e32 v13, v28, v13
	v_and_b32_e32 v11, 0xff, v11
	v_perm_b32 v9, v10, v9, s7
	v_mad_legacy_u16 v12, s6, v13, v17
	v_lshl_or_b32 v9, v11, 16, v9
	v_lshl_or_b32 v9, v12, 24, v9
	global_store_dword v[7:8], v9, off
	s_andn2_b64 exec, exec, s[2:3]
	s_cbranch_execnz .LBB67_48
.LBB67_49:
	s_endpgm
	.section	.rodata,"a",@progbits
	.p2align	6, 0x0
	.amdhsa_kernel _ZN2at6native12_GLOBAL__N_125multi_tensor_apply_kernelINS1_18TensorListMetadataILi3EEENS1_24PointwiseOpScalarFunctorIaLi3ELi3ELi0EEEJSt7dividesIaEaEEEvT_T0_DpT1_
		.amdhsa_group_segment_fixed_size 0
		.amdhsa_private_segment_fixed_size 0
		.amdhsa_kernarg_size 3408
		.amdhsa_user_sgpr_count 6
		.amdhsa_user_sgpr_private_segment_buffer 1
		.amdhsa_user_sgpr_dispatch_ptr 0
		.amdhsa_user_sgpr_queue_ptr 0
		.amdhsa_user_sgpr_kernarg_segment_ptr 1
		.amdhsa_user_sgpr_dispatch_id 0
		.amdhsa_user_sgpr_flat_scratch_init 0
		.amdhsa_user_sgpr_private_segment_size 0
		.amdhsa_uses_dynamic_stack 0
		.amdhsa_system_sgpr_private_segment_wavefront_offset 0
		.amdhsa_system_sgpr_workgroup_id_x 1
		.amdhsa_system_sgpr_workgroup_id_y 0
		.amdhsa_system_sgpr_workgroup_id_z 0
		.amdhsa_system_sgpr_workgroup_info 0
		.amdhsa_system_vgpr_workitem_id 0
		.amdhsa_next_free_vgpr 47
		.amdhsa_next_free_sgpr 36
		.amdhsa_reserve_vcc 1
		.amdhsa_reserve_flat_scratch 0
		.amdhsa_float_round_mode_32 0
		.amdhsa_float_round_mode_16_64 0
		.amdhsa_float_denorm_mode_32 3
		.amdhsa_float_denorm_mode_16_64 3
		.amdhsa_dx10_clamp 1
		.amdhsa_ieee_mode 1
		.amdhsa_fp16_overflow 0
		.amdhsa_exception_fp_ieee_invalid_op 0
		.amdhsa_exception_fp_denorm_src 0
		.amdhsa_exception_fp_ieee_div_zero 0
		.amdhsa_exception_fp_ieee_overflow 0
		.amdhsa_exception_fp_ieee_underflow 0
		.amdhsa_exception_fp_ieee_inexact 0
		.amdhsa_exception_int_div_zero 0
	.end_amdhsa_kernel
	.section	.text._ZN2at6native12_GLOBAL__N_125multi_tensor_apply_kernelINS1_18TensorListMetadataILi3EEENS1_24PointwiseOpScalarFunctorIaLi3ELi3ELi0EEEJSt7dividesIaEaEEEvT_T0_DpT1_,"axG",@progbits,_ZN2at6native12_GLOBAL__N_125multi_tensor_apply_kernelINS1_18TensorListMetadataILi3EEENS1_24PointwiseOpScalarFunctorIaLi3ELi3ELi0EEEJSt7dividesIaEaEEEvT_T0_DpT1_,comdat
.Lfunc_end67:
	.size	_ZN2at6native12_GLOBAL__N_125multi_tensor_apply_kernelINS1_18TensorListMetadataILi3EEENS1_24PointwiseOpScalarFunctorIaLi3ELi3ELi0EEEJSt7dividesIaEaEEEvT_T0_DpT1_, .Lfunc_end67-_ZN2at6native12_GLOBAL__N_125multi_tensor_apply_kernelINS1_18TensorListMetadataILi3EEENS1_24PointwiseOpScalarFunctorIaLi3ELi3ELi0EEEJSt7dividesIaEaEEEvT_T0_DpT1_
                                        ; -- End function
	.set _ZN2at6native12_GLOBAL__N_125multi_tensor_apply_kernelINS1_18TensorListMetadataILi3EEENS1_24PointwiseOpScalarFunctorIaLi3ELi3ELi0EEEJSt7dividesIaEaEEEvT_T0_DpT1_.num_vgpr, 47
	.set _ZN2at6native12_GLOBAL__N_125multi_tensor_apply_kernelINS1_18TensorListMetadataILi3EEENS1_24PointwiseOpScalarFunctorIaLi3ELi3ELi0EEEJSt7dividesIaEaEEEvT_T0_DpT1_.num_agpr, 0
	.set _ZN2at6native12_GLOBAL__N_125multi_tensor_apply_kernelINS1_18TensorListMetadataILi3EEENS1_24PointwiseOpScalarFunctorIaLi3ELi3ELi0EEEJSt7dividesIaEaEEEvT_T0_DpT1_.numbered_sgpr, 36
	.set _ZN2at6native12_GLOBAL__N_125multi_tensor_apply_kernelINS1_18TensorListMetadataILi3EEENS1_24PointwiseOpScalarFunctorIaLi3ELi3ELi0EEEJSt7dividesIaEaEEEvT_T0_DpT1_.num_named_barrier, 0
	.set _ZN2at6native12_GLOBAL__N_125multi_tensor_apply_kernelINS1_18TensorListMetadataILi3EEENS1_24PointwiseOpScalarFunctorIaLi3ELi3ELi0EEEJSt7dividesIaEaEEEvT_T0_DpT1_.private_seg_size, 0
	.set _ZN2at6native12_GLOBAL__N_125multi_tensor_apply_kernelINS1_18TensorListMetadataILi3EEENS1_24PointwiseOpScalarFunctorIaLi3ELi3ELi0EEEJSt7dividesIaEaEEEvT_T0_DpT1_.uses_vcc, 1
	.set _ZN2at6native12_GLOBAL__N_125multi_tensor_apply_kernelINS1_18TensorListMetadataILi3EEENS1_24PointwiseOpScalarFunctorIaLi3ELi3ELi0EEEJSt7dividesIaEaEEEvT_T0_DpT1_.uses_flat_scratch, 0
	.set _ZN2at6native12_GLOBAL__N_125multi_tensor_apply_kernelINS1_18TensorListMetadataILi3EEENS1_24PointwiseOpScalarFunctorIaLi3ELi3ELi0EEEJSt7dividesIaEaEEEvT_T0_DpT1_.has_dyn_sized_stack, 0
	.set _ZN2at6native12_GLOBAL__N_125multi_tensor_apply_kernelINS1_18TensorListMetadataILi3EEENS1_24PointwiseOpScalarFunctorIaLi3ELi3ELi0EEEJSt7dividesIaEaEEEvT_T0_DpT1_.has_recursion, 0
	.set _ZN2at6native12_GLOBAL__N_125multi_tensor_apply_kernelINS1_18TensorListMetadataILi3EEENS1_24PointwiseOpScalarFunctorIaLi3ELi3ELi0EEEJSt7dividesIaEaEEEvT_T0_DpT1_.has_indirect_call, 0
	.section	.AMDGPU.csdata,"",@progbits
; Kernel info:
; codeLenInByte = 2324
; TotalNumSgprs: 40
; NumVgprs: 47
; ScratchSize: 0
; MemoryBound: 0
; FloatMode: 240
; IeeeMode: 1
; LDSByteSize: 0 bytes/workgroup (compile time only)
; SGPRBlocks: 4
; VGPRBlocks: 11
; NumSGPRsForWavesPerEU: 40
; NumVGPRsForWavesPerEU: 47
; Occupancy: 5
; WaveLimiterHint : 0
; COMPUTE_PGM_RSRC2:SCRATCH_EN: 0
; COMPUTE_PGM_RSRC2:USER_SGPR: 6
; COMPUTE_PGM_RSRC2:TRAP_HANDLER: 0
; COMPUTE_PGM_RSRC2:TGID_X_EN: 1
; COMPUTE_PGM_RSRC2:TGID_Y_EN: 0
; COMPUTE_PGM_RSRC2:TGID_Z_EN: 0
; COMPUTE_PGM_RSRC2:TIDIG_COMP_CNT: 0
	.section	.text._ZN2at6native12_GLOBAL__N_125multi_tensor_apply_kernelINS1_18TensorListMetadataILi3EEENS1_24PointwiseOpScalarFunctorIiLi3ELi3ELi0EEEJSt7dividesIiEiEEEvT_T0_DpT1_,"axG",@progbits,_ZN2at6native12_GLOBAL__N_125multi_tensor_apply_kernelINS1_18TensorListMetadataILi3EEENS1_24PointwiseOpScalarFunctorIiLi3ELi3ELi0EEEJSt7dividesIiEiEEEvT_T0_DpT1_,comdat
	.globl	_ZN2at6native12_GLOBAL__N_125multi_tensor_apply_kernelINS1_18TensorListMetadataILi3EEENS1_24PointwiseOpScalarFunctorIiLi3ELi3ELi0EEEJSt7dividesIiEiEEEvT_T0_DpT1_ ; -- Begin function _ZN2at6native12_GLOBAL__N_125multi_tensor_apply_kernelINS1_18TensorListMetadataILi3EEENS1_24PointwiseOpScalarFunctorIiLi3ELi3ELi0EEEJSt7dividesIiEiEEEvT_T0_DpT1_
	.p2align	8
	.type	_ZN2at6native12_GLOBAL__N_125multi_tensor_apply_kernelINS1_18TensorListMetadataILi3EEENS1_24PointwiseOpScalarFunctorIiLi3ELi3ELi0EEEJSt7dividesIiEiEEEvT_T0_DpT1_,@function
_ZN2at6native12_GLOBAL__N_125multi_tensor_apply_kernelINS1_18TensorListMetadataILi3EEENS1_24PointwiseOpScalarFunctorIiLi3ELi3ELi0EEEJSt7dividesIiEiEEEvT_T0_DpT1_: ; @_ZN2at6native12_GLOBAL__N_125multi_tensor_apply_kernelINS1_18TensorListMetadataILi3EEENS1_24PointwiseOpScalarFunctorIiLi3ELi3ELi0EEEJSt7dividesIiEiEEEvT_T0_DpT1_
; %bb.0:
	v_mov_b32_e32 v1, s6
	global_load_ubyte v1, v1, s[4:5] offset:1536
	s_add_u32 s0, s4, s6
	s_mul_hi_u32 s1, s6, 3
	s_mul_i32 s6, s6, 3
	s_addc_u32 s2, s5, 0
	s_add_u32 s0, s0, s6
	s_addc_u32 s1, s2, s1
	s_load_dword s6, s[0:1], 0x740
	s_load_dword s16, s[4:5], 0xc4c
	s_mov_b32 s11, 0
	s_mov_b32 s13, s11
	s_waitcnt lgkmcnt(0)
	s_ashr_i32 s7, s6, 31
	s_lshl_b64 s[8:9], s[6:7], 18
	s_waitcnt vmcnt(0)
	v_readfirstlane_b32 s0, v1
	s_lshl_b32 s10, s0, 3
	s_load_dwordx2 s[14:15], s[4:5], s10 offset:0x0
	s_load_dwordx2 s[24:25], s[4:5], s10 offset:0x480
	;; [unrolled: 1-line block ×4, first 2 shown]
	s_waitcnt lgkmcnt(0)
	s_add_u32 s17, s14, s8
	s_addc_u32 s18, s15, s9
	s_and_b32 s10, s17, 15
	s_add_u32 s19, s2, s8
	s_addc_u32 s20, s3, s9
	s_add_u32 s21, s0, s8
	s_addc_u32 s22, s1, s9
	s_or_b32 s12, s21, s19
	s_and_b32 s12, s12, 15
	s_cmp_eq_u32 s12, 0
	s_cselect_b64 s[26:27], -1, 0
	s_lshl_b64 s[6:7], s[6:7], 16
	s_sub_u32 s6, s24, s6
	s_subb_u32 s7, s25, s7
	s_and_b32 s12, s24, 3
	s_or_b64 s[10:11], s[10:11], s[12:13]
	s_cmp_eq_u64 s[10:11], 0
	s_cselect_b64 s[10:11], -1, 0
	s_and_b64 s[12:13], s[26:27], s[10:11]
	s_mov_b64 s[10:11], -1
	s_and_b64 vcc, exec, s[12:13]
	s_cbranch_vccnz .LBB68_19
; %bb.1:
	v_cmp_lt_i64_e64 s[10:11], s[6:7], 1
	s_and_b64 vcc, exec, s[10:11]
	s_cbranch_vccnz .LBB68_18
; %bb.2:
	v_mov_b32_e32 v1, 0x10000
	s_load_dword s12, s[4:5], 0xc5c
	v_mov_b32_e32 v2, 0
	v_cmp_lt_i64_e32 vcc, s[6:7], v[1:2]
	v_mov_b32_e32 v3, 0
	s_and_b64 s[10:11], vcc, exec
	s_cselect_b32 s11, s7, 0
	s_cselect_b32 s10, s6, 0x10000
	v_cmp_lt_u64_e32 vcc, s[6:7], v[1:2]
	s_waitcnt lgkmcnt(0)
	s_and_b32 s25, s12, 0xffff
	v_lshlrev_b32_e32 v2, 2, v0
	v_mad_u64_u32 v[3:4], s[26:27], s25, 12, v[2:3]
	s_and_b64 s[12:13], vcc, exec
	v_mov_b32_e32 v6, s15
	v_add_co_u32_e32 v5, vcc, s14, v3
	s_cselect_b32 s13, s7, 0
	s_cselect_b32 s12, s6, 0x10000
	v_addc_co_u32_e32 v6, vcc, v6, v4, vcc
	s_lshl_b32 s26, s25, 3
	v_add_co_u32_e32 v15, vcc, s26, v2
	v_addc_co_u32_e64 v16, s[26:27], 0, 0, vcc
	v_mov_b32_e32 v8, s3
	v_add_co_u32_e32 v7, vcc, s2, v3
	v_addc_co_u32_e32 v8, vcc, v8, v4, vcc
	v_mov_b32_e32 v10, s1
	v_add_co_u32_e32 v9, vcc, s0, v3
	v_addc_co_u32_e32 v10, vcc, v10, v4, vcc
	;; [unrolled: 3-line block ×6, first 2 shown]
	v_mov_b32_e32 v20, s3
	v_add_co_u32_e32 v19, vcc, s2, v2
	s_lshl_b32 s28, s25, 1
	s_lshl_b32 s23, s25, 2
	;; [unrolled: 1-line block ×3, first 2 shown]
	v_addc_co_u32_e32 v20, vcc, 0, v20, vcc
	v_mov_b32_e32 v22, s1
	s_add_u32 s26, s14, s23
	v_add_co_u32_e32 v21, vcc, s0, v2
	s_addc_u32 s27, s15, 0
	v_addc_co_u32_e32 v22, vcc, 0, v22, vcc
	v_mov_b32_e32 v4, s27
	v_add_co_u32_e32 v23, vcc, s26, v2
	v_addc_co_u32_e32 v24, vcc, 0, v4, vcc
	v_add_co_u32_e32 v25, vcc, s25, v0
	v_lshlrev_b32_e32 v1, 2, v25
	v_addc_co_u32_e64 v26, s[26:27], 0, 0, vcc
	v_mov_b32_e32 v2, s15
	v_add_co_u32_e32 v27, vcc, s14, v1
	v_addc_co_u32_e32 v28, vcc, 0, v2, vcc
	v_mov_b32_e32 v2, s3
	v_add_co_u32_e32 v29, vcc, s2, v1
	v_addc_co_u32_e32 v30, vcc, 0, v2, vcc
	v_mov_b32_e32 v2, s1
	v_add_co_u32_e32 v31, vcc, s0, v1
	s_mul_i32 s29, s25, 3
	v_addc_co_u32_e32 v32, vcc, 0, v2, vcc
	v_add_co_u32_e32 v33, vcc, s29, v0
	v_addc_co_u32_e64 v34, s[0:1], 0, 0, vcc
	v_add_co_u32_e32 v35, vcc, s28, v0
	s_mov_b64 s[14:15], 0
	v_addc_co_u32_e64 v36, s[0:1], 0, 0, vcc
	s_branch .LBB68_4
.LBB68_3:                               ;   in Loop: Header=BB68_4 Depth=1
	s_or_b64 exec, exec, s[0:1]
	v_mov_b32_e32 v46, s9
	v_add_co_u32_e32 v44, vcc, s8, v9
	v_addc_co_u32_e32 v45, vcc, v10, v46, vcc
	global_load_dword v44, v[44:45], off
	s_waitcnt vmcnt(1)
	v_sub_u32_e32 v50, 0, v38
	v_sub_u32_e32 v49, 0, v42
	v_xor_b32_e32 v55, v37, v38
	v_max_i32_e32 v38, v38, v50
	v_sub_u32_e32 v45, 0, v41
	v_xor_b32_e32 v54, v42, v43
	v_max_i32_e32 v42, v42, v49
	v_cvt_f32_u32_e32 v49, v38
	v_sub_u32_e32 v47, 0, v39
	v_xor_b32_e32 v53, v39, v41
	v_max_i32_e32 v41, v41, v45
	v_max_i32_e32 v39, v39, v47
	v_cvt_f32_u32_e32 v47, v41
	v_rcp_iflag_f32_e32 v49, v49
	v_sub_u32_e32 v48, 0, v43
	v_max_i32_e32 v43, v43, v48
	v_rcp_iflag_f32_e32 v47, v47
	v_cvt_f32_u32_e32 v48, v43
	v_mul_f32_e32 v49, 0x4f7ffffe, v49
	v_cvt_u32_f32_e32 v49, v49
	v_mul_f32_e32 v47, 0x4f7ffffe, v47
	v_sub_u32_e32 v52, 0, v40
	v_rcp_iflag_f32_e32 v48, v48
	v_cvt_u32_f32_e32 v47, v47
	v_max_i32_e32 v45, v40, v52
	v_sub_u32_e32 v52, 0, v38
	v_mul_lo_u32 v52, v52, v49
	v_sub_u32_e32 v50, 0, v41
	v_mul_f32_e32 v48, 0x4f7ffffe, v48
	v_mul_lo_u32 v50, v50, v47
	v_cvt_u32_f32_e32 v48, v48
	v_mul_hi_u32 v52, v49, v52
	v_sub_u32_e32 v51, 0, v37
	v_max_i32_e32 v37, v37, v51
	v_sub_u32_e32 v51, 0, v43
	v_mul_hi_u32 v50, v47, v50
	v_mul_lo_u32 v51, v51, v48
	v_add_u32_e32 v49, v49, v52
	v_mul_hi_u32 v49, v37, v49
	v_add_u32_e32 v47, v47, v50
	v_mul_hi_u32 v51, v48, v51
	v_mul_hi_u32 v47, v39, v47
	v_ashrrev_i32_e32 v50, 31, v55
	v_mul_lo_u32 v55, v49, v38
	v_add_u32_e32 v48, v48, v51
	v_mul_lo_u32 v51, v47, v41
	v_mul_hi_u32 v48, v42, v48
	v_sub_u32_e32 v37, v37, v55
	v_sub_u32_e32 v55, v37, v38
	v_cmp_ge_u32_e64 s[2:3], v37, v38
	v_sub_u32_e32 v39, v39, v51
	v_cndmask_b32_e64 v37, v37, v55, s[2:3]
	v_add_u32_e32 v56, 1, v47
	v_cmp_ge_u32_e32 vcc, v39, v41
	v_mul_lo_u32 v52, v48, v43
	v_cndmask_b32_e32 v47, v47, v56, vcc
	v_sub_u32_e32 v51, v39, v41
	v_cndmask_b32_e32 v39, v39, v51, vcc
	v_sub_u32_e32 v42, v42, v52
	v_cmp_ge_u32_e32 vcc, v39, v41
	v_add_u32_e32 v57, 1, v48
	v_sub_u32_e32 v52, v42, v43
	v_cmp_ge_u32_e64 s[0:1], v42, v43
	v_cndmask_b32_e64 v42, v42, v52, s[0:1]
	v_cndmask_b32_e64 v48, v48, v57, s[0:1]
	v_add_u32_e32 v51, 1, v47
	v_add_u32_e32 v52, 1, v48
	v_cndmask_b32_e32 v39, v47, v51, vcc
	v_cmp_ge_u32_e32 vcc, v42, v43
	v_cndmask_b32_e32 v42, v48, v52, vcc
	v_cmp_ge_u32_e32 vcc, v37, v38
	v_ashrrev_i32_e32 v53, 31, v53
	v_ashrrev_i32_e32 v54, 31, v54
	v_add_u32_e32 v58, 1, v49
	v_cndmask_b32_e64 v49, v49, v58, s[2:3]
	v_add_u32_e32 v57, 1, v49
	v_cndmask_b32_e32 v37, v49, v57, vcc
	v_xor_b32_e32 v37, v37, v50
	v_sub_u32_e32 v43, v37, v50
	s_waitcnt vmcnt(0)
	v_sub_u32_e32 v55, 0, v44
	v_max_i32_e32 v55, v44, v55
	v_cvt_f32_u32_e32 v56, v55
	s_add_u32 s14, s14, s23
	s_addc_u32 s15, s15, 0
	v_rcp_iflag_f32_e32 v41, v56
	v_mul_f32_e32 v38, 0x4f7ffffe, v41
	v_cvt_u32_f32_e32 v41, v38
	v_xor_b32_e32 v38, v39, v53
	v_xor_b32_e32 v39, v42, v54
	v_sub_u32_e32 v42, 0, v55
	v_mul_lo_u32 v42, v42, v41
	v_sub_u32_e32 v38, v38, v53
	v_sub_u32_e32 v39, v39, v54
	v_mad_u64_u32 v[37:38], s[0:1], v38, s16, v[2:3]
	v_mul_hi_u32 v42, v41, v42
	v_add_u32_e32 v2, v41, v42
	v_mul_hi_u32 v41, v45, v2
	v_mad_u64_u32 v[2:3], s[0:1], v39, s16, v[3:4]
	v_xor_b32_e32 v3, v40, v44
	v_ashrrev_i32_e32 v3, 31, v3
	v_mad_u64_u32 v[38:39], s[0:1], v43, s16, v[1:2]
	v_mul_lo_u32 v1, v41, v55
	v_add_u32_e32 v39, 1, v41
	v_sub_u32_e32 v1, v45, v1
	v_sub_u32_e32 v40, v1, v55
	v_cmp_ge_u32_e32 vcc, v1, v55
	v_cndmask_b32_e32 v1, v1, v40, vcc
	v_cndmask_b32_e32 v39, v41, v39, vcc
	v_add_u32_e32 v40, 1, v39
	v_cmp_ge_u32_e32 vcc, v1, v55
	v_cndmask_b32_e32 v1, v39, v40, vcc
	v_add_co_u32_e32 v39, vcc, s8, v17
	v_addc_co_u32_e32 v40, vcc, v18, v46, vcc
	global_store_dword v[39:40], v38, off
	v_add_co_u32_e32 v38, vcc, s8, v23
	v_addc_co_u32_e32 v39, vcc, v24, v46, vcc
	v_xor_b32_e32 v1, v1, v3
	global_store_dword v[38:39], v37, off
	v_add_co_u32_e32 v37, vcc, s8, v11
	v_sub_u32_e32 v1, v1, v3
	v_addc_co_u32_e32 v38, vcc, v12, v46, vcc
	v_mad_u64_u32 v[3:4], s[0:1], v1, s16, v[4:5]
	v_add_co_u32_e32 v1, vcc, s8, v5
	global_store_dword v[37:38], v2, off
	v_addc_co_u32_e32 v2, vcc, v6, v46, vcc
	v_add_co_u32_e32 v17, vcc, s24, v17
	v_addc_co_u32_e32 v18, vcc, 0, v18, vcc
	v_add_co_u32_e32 v19, vcc, s24, v19
	;; [unrolled: 2-line block ×11, first 2 shown]
	v_addc_co_u32_e32 v28, vcc, 0, v28, vcc
	global_store_dword v[1:2], v3, off
	v_add_co_u32_e32 v29, vcc, s24, v29
	v_mov_b32_e32 v1, s10
	v_addc_co_u32_e32 v30, vcc, 0, v30, vcc
	v_mov_b32_e32 v2, s11
	v_cmp_lt_i64_e32 vcc, s[14:15], v[1:2]
	v_add_co_u32_e64 v31, s[0:1], s24, v31
	v_addc_co_u32_e64 v32, s[0:1], 0, v32, s[0:1]
	s_cbranch_vccz .LBB68_18
.LBB68_4:                               ; =>This Inner Loop Header: Depth=1
	v_mov_b32_e32 v2, s15
	v_add_co_u32_e32 v1, vcc, s14, v0
	v_addc_co_u32_e32 v2, vcc, 0, v2, vcc
	v_cmp_gt_u64_e32 vcc, s[12:13], v[1:2]
	v_mov_b32_e32 v37, 0
	v_mov_b32_e32 v1, 0
	s_and_saveexec_b64 s[2:3], vcc
	s_cbranch_execz .LBB68_6
; %bb.5:                                ;   in Loop: Header=BB68_4 Depth=1
	v_mov_b32_e32 v1, s9
	v_add_co_u32_e64 v2, s[0:1], s8, v17
	v_addc_co_u32_e64 v3, s[0:1], v18, v1, s[0:1]
	v_add_co_u32_e64 v38, s[0:1], s8, v19
	v_addc_co_u32_e64 v39, s[0:1], v20, v1, s[0:1]
	global_load_dword v1, v[2:3], off
	global_load_dword v37, v[38:39], off
.LBB68_6:                               ;   in Loop: Header=BB68_4 Depth=1
	s_or_b64 exec, exec, s[2:3]
	v_mov_b32_e32 v39, 0
	v_mov_b32_e32 v38, 0
	s_and_saveexec_b64 s[0:1], vcc
	s_cbranch_execz .LBB68_8
; %bb.7:                                ;   in Loop: Header=BB68_4 Depth=1
	v_mov_b32_e32 v3, s9
	v_add_co_u32_e32 v2, vcc, s8, v21
	v_addc_co_u32_e32 v3, vcc, v22, v3, vcc
	global_load_dword v38, v[2:3], off
.LBB68_8:                               ;   in Loop: Header=BB68_4 Depth=1
	s_or_b64 exec, exec, s[0:1]
	v_mov_b32_e32 v3, s15
	v_add_co_u32_e32 v2, vcc, s14, v25
	v_addc_co_u32_e32 v3, vcc, v26, v3, vcc
	v_cmp_gt_u64_e32 vcc, s[12:13], v[2:3]
	v_mov_b32_e32 v2, 0
	s_and_saveexec_b64 s[2:3], vcc
	s_cbranch_execz .LBB68_10
; %bb.9:                                ;   in Loop: Header=BB68_4 Depth=1
	v_mov_b32_e32 v2, s9
	v_add_co_u32_e64 v3, s[0:1], s8, v27
	v_addc_co_u32_e64 v4, s[0:1], v28, v2, s[0:1]
	v_add_co_u32_e64 v40, s[0:1], s8, v29
	v_addc_co_u32_e64 v41, s[0:1], v30, v2, s[0:1]
	global_load_dword v2, v[3:4], off
	global_load_dword v39, v[40:41], off
.LBB68_10:                              ;   in Loop: Header=BB68_4 Depth=1
	s_or_b64 exec, exec, s[2:3]
	v_mov_b32_e32 v42, 0
	v_mov_b32_e32 v41, 0
	s_and_saveexec_b64 s[0:1], vcc
	s_cbranch_execz .LBB68_12
; %bb.11:                               ;   in Loop: Header=BB68_4 Depth=1
	v_mov_b32_e32 v4, s9
	v_add_co_u32_e32 v3, vcc, s8, v31
	v_addc_co_u32_e32 v4, vcc, v32, v4, vcc
	global_load_dword v41, v[3:4], off
.LBB68_12:                              ;   in Loop: Header=BB68_4 Depth=1
	s_or_b64 exec, exec, s[0:1]
	v_mov_b32_e32 v4, s15
	v_add_co_u32_e32 v3, vcc, s14, v35
	v_addc_co_u32_e32 v4, vcc, v36, v4, vcc
	v_cmp_gt_u64_e32 vcc, s[12:13], v[3:4]
	v_mov_b32_e32 v3, 0
	s_and_saveexec_b64 s[2:3], vcc
	s_cbranch_execz .LBB68_14
; %bb.13:                               ;   in Loop: Header=BB68_4 Depth=1
	v_mov_b32_e32 v3, s9
	v_add_co_u32_e64 v43, s[0:1], s8, v11
	v_addc_co_u32_e64 v44, s[0:1], v12, v3, s[0:1]
	v_add_co_u32_e64 v45, s[0:1], s8, v13
	v_addc_co_u32_e64 v46, s[0:1], v14, v3, s[0:1]
	global_load_dword v3, v[43:44], off
	global_load_dword v42, v[45:46], off
.LBB68_14:                              ;   in Loop: Header=BB68_4 Depth=1
	s_or_b64 exec, exec, s[2:3]
	v_mov_b32_e32 v40, 0
	v_mov_b32_e32 v43, 0
	s_and_saveexec_b64 s[0:1], vcc
	s_cbranch_execz .LBB68_16
; %bb.15:                               ;   in Loop: Header=BB68_4 Depth=1
	v_mov_b32_e32 v4, s9
	v_add_co_u32_e32 v43, vcc, s8, v15
	v_addc_co_u32_e32 v44, vcc, v16, v4, vcc
	global_load_dword v43, v[43:44], off
.LBB68_16:                              ;   in Loop: Header=BB68_4 Depth=1
	s_or_b64 exec, exec, s[0:1]
	v_mov_b32_e32 v4, s15
	v_add_co_u32_e32 v44, vcc, s14, v33
	v_addc_co_u32_e32 v45, vcc, v34, v4, vcc
	v_cmp_gt_u64_e32 vcc, s[12:13], v[44:45]
	v_mov_b32_e32 v4, 0
	s_and_saveexec_b64 s[0:1], vcc
	s_cbranch_execz .LBB68_3
; %bb.17:                               ;   in Loop: Header=BB68_4 Depth=1
	v_mov_b32_e32 v4, s9
	v_add_co_u32_e32 v44, vcc, s8, v5
	v_addc_co_u32_e32 v45, vcc, v6, v4, vcc
	v_add_co_u32_e32 v46, vcc, s8, v7
	v_addc_co_u32_e32 v47, vcc, v8, v4, vcc
	global_load_dword v4, v[44:45], off
	global_load_dword v40, v[46:47], off
	s_branch .LBB68_3
.LBB68_18:
	s_mov_b64 s[10:11], 0
.LBB68_19:
	s_andn2_b64 vcc, exec, s[10:11]
	s_cbranch_vccnz .LBB68_23
; %bb.20:
	v_mov_b32_e32 v1, 0x10000
	v_mov_b32_e32 v2, 0
	v_cmp_lt_i64_e32 vcc, s[6:7], v[1:2]
	v_mov_b32_e32 v2, 0
	s_and_b64 s[0:1], vcc, exec
	s_cselect_b32 s9, s7, 0
	s_cselect_b32 s8, s6, 0x10000
	v_lshlrev_b32_e32 v1, 2, v0
	v_cmp_gt_i64_e32 vcc, s[8:9], v[1:2]
	s_and_saveexec_b64 s[0:1], vcc
	s_cbranch_execz .LBB68_23
; %bb.21:
	s_load_dword s0, s[4:5], 0xc5c
	v_mov_b32_e32 v1, v2
	v_lshlrev_b32_e32 v2, 4, v0
	s_mov_b64 s[10:11], 0
	s_waitcnt lgkmcnt(0)
	s_and_b32 s12, s0, 0xffff
	s_lshl_b32 s13, s12, 4
.LBB68_22:                              ; =>This Inner Loop Header: Depth=1
	v_add_co_u32_e64 v0, s[2:3], s12, v0
	v_mov_b32_e32 v4, s20
	v_add_co_u32_e32 v15, vcc, s19, v2
	v_addc_co_u32_e64 v1, s[2:3], 0, v1, s[2:3]
	v_mov_b32_e32 v3, s18
	v_mov_b32_e32 v5, s22
	v_add_co_u32_e64 v17, s[0:1], s21, v2
	v_add_co_u32_e64 v19, s[2:3], s17, v2
	v_addc_co_u32_e32 v16, vcc, 0, v4, vcc
	v_addc_co_u32_e64 v20, s[2:3], 0, v3, s[2:3]
	v_addc_co_u32_e64 v18, vcc, 0, v5, s[0:1]
	global_load_dwordx4 v[3:6], v[15:16], off
	global_load_dwordx4 v[7:10], v[17:18], off
	;; [unrolled: 1-line block ×3, first 2 shown]
	v_lshlrev_b64 v[21:22], 2, v[0:1]
	s_add_u32 s21, s21, s13
	v_cmp_le_i64_e32 vcc, s[8:9], v[21:22]
	s_addc_u32 s22, s22, 0
	s_add_u32 s17, s17, s13
	s_addc_u32 s18, s18, 0
	s_add_u32 s19, s19, s13
	s_addc_u32 s20, s20, 0
	s_or_b64 s[10:11], vcc, s[10:11]
	s_waitcnt vmcnt(2)
	v_sub_u32_e32 v22, 0, v4
	s_waitcnt vmcnt(1)
	v_sub_u32_e32 v18, 0, v7
	v_xor_b32_e32 v16, v3, v7
	v_sub_u32_e32 v23, 0, v8
	v_max_i32_e32 v7, v7, v18
	v_xor_b32_e32 v21, v4, v8
	v_xor_b32_e32 v24, v5, v9
	v_sub_u32_e32 v26, 0, v9
	v_max_i32_e32 v4, v4, v22
	v_max_i32_e32 v8, v8, v23
	v_cvt_f32_u32_e32 v22, v7
	v_sub_u32_e32 v29, 0, v10
	v_ashrrev_i32_e32 v18, 31, v24
	v_max_i32_e32 v9, v9, v26
	v_cvt_f32_u32_e32 v24, v8
	v_xor_b32_e32 v27, v6, v10
	v_sub_u32_e32 v28, 0, v6
	v_max_i32_e32 v10, v10, v29
	v_cvt_f32_u32_e32 v26, v9
	v_max_i32_e32 v6, v6, v28
	v_cvt_f32_u32_e32 v28, v10
	v_rcp_iflag_f32_e32 v22, v22
	v_rcp_iflag_f32_e32 v24, v24
	;; [unrolled: 1-line block ×4, first 2 shown]
	v_mul_f32_e32 v22, 0x4f7ffffe, v22
	v_mul_f32_e32 v24, 0x4f7ffffe, v24
	v_cvt_u32_f32_e32 v22, v22
	v_mul_f32_e32 v26, 0x4f7ffffe, v26
	v_cvt_u32_f32_e32 v24, v24
	;; [unrolled: 2-line block ×3, first 2 shown]
	v_sub_u32_e32 v25, 0, v5
	v_sub_u32_e32 v23, 0, v7
	v_cvt_u32_f32_e32 v28, v28
	v_sub_u32_e32 v17, 0, v3
	v_max_i32_e32 v5, v5, v25
	v_sub_u32_e32 v25, 0, v8
	v_mul_lo_u32 v23, v23, v22
	v_max_i32_e32 v3, v3, v17
	v_ashrrev_i32_e32 v17, 31, v21
	v_ashrrev_i32_e32 v21, 31, v27
	v_sub_u32_e32 v27, 0, v9
	v_mul_lo_u32 v25, v25, v24
	v_sub_u32_e32 v29, 0, v10
	v_mul_lo_u32 v27, v27, v26
	v_mul_lo_u32 v29, v29, v28
	v_mul_hi_u32 v23, v22, v23
	v_mul_hi_u32 v25, v24, v25
	;; [unrolled: 1-line block ×4, first 2 shown]
	v_add_u32_e32 v22, v22, v23
	v_add_u32_e32 v23, v24, v25
	v_mul_hi_u32 v22, v3, v22
	v_add_u32_e32 v24, v26, v27
	v_mul_hi_u32 v23, v4, v23
	;; [unrolled: 2-line block ×3, first 2 shown]
	v_mul_hi_u32 v25, v6, v25
	v_mul_lo_u32 v26, v22, v7
	v_mul_lo_u32 v28, v23, v8
	;; [unrolled: 1-line block ×4, first 2 shown]
	v_sub_u32_e32 v3, v3, v26
	v_add_u32_e32 v27, 1, v22
	v_sub_u32_e32 v4, v4, v28
	v_cmp_ge_u32_e64 s[0:1], v3, v7
	v_sub_u32_e32 v26, v3, v7
	v_add_u32_e32 v29, 1, v23
	v_sub_u32_e32 v5, v5, v30
	v_cndmask_b32_e64 v22, v22, v27, s[0:1]
	v_cmp_ge_u32_e64 s[2:3], v4, v8
	v_sub_u32_e32 v27, v4, v8
	v_cndmask_b32_e64 v3, v3, v26, s[0:1]
	v_add_u32_e32 v32, 1, v24
	v_sub_u32_e32 v6, v6, v31
	v_cndmask_b32_e64 v23, v23, v29, s[2:3]
	v_cmp_ge_u32_e64 s[4:5], v5, v9
	v_sub_u32_e32 v28, v5, v9
	v_add_u32_e32 v26, 1, v22
	v_cndmask_b32_e64 v4, v4, v27, s[2:3]
	v_cmp_ge_u32_e64 s[0:1], v3, v7
	v_add_u32_e32 v33, 1, v25
	v_cndmask_b32_e64 v24, v24, v32, s[4:5]
	v_cmp_ge_u32_e64 s[6:7], v6, v10
	v_sub_u32_e32 v29, v6, v10
	v_add_u32_e32 v27, 1, v23
	v_cndmask_b32_e64 v5, v5, v28, s[4:5]
	v_cndmask_b32_e64 v3, v22, v26, s[0:1]
	v_cmp_ge_u32_e64 s[0:1], v4, v8
	v_cndmask_b32_e64 v25, v25, v33, s[6:7]
	v_add_u32_e32 v28, 1, v24
	v_cndmask_b32_e64 v6, v6, v29, s[6:7]
	v_cndmask_b32_e64 v4, v23, v27, s[0:1]
	v_cmp_ge_u32_e64 s[0:1], v5, v9
	v_ashrrev_i32_e32 v16, 31, v16
	v_add_u32_e32 v29, 1, v25
	v_cndmask_b32_e64 v5, v24, v28, s[0:1]
	v_cmp_ge_u32_e64 s[0:1], v6, v10
	v_cndmask_b32_e64 v6, v25, v29, s[0:1]
	v_xor_b32_e32 v3, v3, v16
	v_xor_b32_e32 v4, v4, v17
	;; [unrolled: 1-line block ×4, first 2 shown]
	v_sub_u32_e32 v3, v3, v16
	s_waitcnt vmcnt(0)
	v_mov_b32_e32 v15, v14
	v_sub_u32_e32 v9, v4, v17
	v_sub_u32_e32 v10, v5, v18
	;; [unrolled: 1-line block ×3, first 2 shown]
	v_mad_u64_u32 v[3:4], s[0:1], v3, s16, v[11:12]
	v_mad_u64_u32 v[7:8], s[0:1], v5, s16, v[15:16]
	;; [unrolled: 1-line block ×4, first 2 shown]
	v_mov_b32_e32 v6, v7
	global_store_dwordx4 v[19:20], v[3:6], off
	s_andn2_b64 exec, exec, s[10:11]
	s_cbranch_execnz .LBB68_22
.LBB68_23:
	s_endpgm
	.section	.rodata,"a",@progbits
	.p2align	6, 0x0
	.amdhsa_kernel _ZN2at6native12_GLOBAL__N_125multi_tensor_apply_kernelINS1_18TensorListMetadataILi3EEENS1_24PointwiseOpScalarFunctorIiLi3ELi3ELi0EEEJSt7dividesIiEiEEEvT_T0_DpT1_
		.amdhsa_group_segment_fixed_size 0
		.amdhsa_private_segment_fixed_size 0
		.amdhsa_kernarg_size 3408
		.amdhsa_user_sgpr_count 6
		.amdhsa_user_sgpr_private_segment_buffer 1
		.amdhsa_user_sgpr_dispatch_ptr 0
		.amdhsa_user_sgpr_queue_ptr 0
		.amdhsa_user_sgpr_kernarg_segment_ptr 1
		.amdhsa_user_sgpr_dispatch_id 0
		.amdhsa_user_sgpr_flat_scratch_init 0
		.amdhsa_user_sgpr_private_segment_size 0
		.amdhsa_uses_dynamic_stack 0
		.amdhsa_system_sgpr_private_segment_wavefront_offset 0
		.amdhsa_system_sgpr_workgroup_id_x 1
		.amdhsa_system_sgpr_workgroup_id_y 0
		.amdhsa_system_sgpr_workgroup_id_z 0
		.amdhsa_system_sgpr_workgroup_info 0
		.amdhsa_system_vgpr_workitem_id 0
		.amdhsa_next_free_vgpr 59
		.amdhsa_next_free_sgpr 30
		.amdhsa_reserve_vcc 1
		.amdhsa_reserve_flat_scratch 0
		.amdhsa_float_round_mode_32 0
		.amdhsa_float_round_mode_16_64 0
		.amdhsa_float_denorm_mode_32 3
		.amdhsa_float_denorm_mode_16_64 3
		.amdhsa_dx10_clamp 1
		.amdhsa_ieee_mode 1
		.amdhsa_fp16_overflow 0
		.amdhsa_exception_fp_ieee_invalid_op 0
		.amdhsa_exception_fp_denorm_src 0
		.amdhsa_exception_fp_ieee_div_zero 0
		.amdhsa_exception_fp_ieee_overflow 0
		.amdhsa_exception_fp_ieee_underflow 0
		.amdhsa_exception_fp_ieee_inexact 0
		.amdhsa_exception_int_div_zero 0
	.end_amdhsa_kernel
	.section	.text._ZN2at6native12_GLOBAL__N_125multi_tensor_apply_kernelINS1_18TensorListMetadataILi3EEENS1_24PointwiseOpScalarFunctorIiLi3ELi3ELi0EEEJSt7dividesIiEiEEEvT_T0_DpT1_,"axG",@progbits,_ZN2at6native12_GLOBAL__N_125multi_tensor_apply_kernelINS1_18TensorListMetadataILi3EEENS1_24PointwiseOpScalarFunctorIiLi3ELi3ELi0EEEJSt7dividesIiEiEEEvT_T0_DpT1_,comdat
.Lfunc_end68:
	.size	_ZN2at6native12_GLOBAL__N_125multi_tensor_apply_kernelINS1_18TensorListMetadataILi3EEENS1_24PointwiseOpScalarFunctorIiLi3ELi3ELi0EEEJSt7dividesIiEiEEEvT_T0_DpT1_, .Lfunc_end68-_ZN2at6native12_GLOBAL__N_125multi_tensor_apply_kernelINS1_18TensorListMetadataILi3EEENS1_24PointwiseOpScalarFunctorIiLi3ELi3ELi0EEEJSt7dividesIiEiEEEvT_T0_DpT1_
                                        ; -- End function
	.set _ZN2at6native12_GLOBAL__N_125multi_tensor_apply_kernelINS1_18TensorListMetadataILi3EEENS1_24PointwiseOpScalarFunctorIiLi3ELi3ELi0EEEJSt7dividesIiEiEEEvT_T0_DpT1_.num_vgpr, 59
	.set _ZN2at6native12_GLOBAL__N_125multi_tensor_apply_kernelINS1_18TensorListMetadataILi3EEENS1_24PointwiseOpScalarFunctorIiLi3ELi3ELi0EEEJSt7dividesIiEiEEEvT_T0_DpT1_.num_agpr, 0
	.set _ZN2at6native12_GLOBAL__N_125multi_tensor_apply_kernelINS1_18TensorListMetadataILi3EEENS1_24PointwiseOpScalarFunctorIiLi3ELi3ELi0EEEJSt7dividesIiEiEEEvT_T0_DpT1_.numbered_sgpr, 30
	.set _ZN2at6native12_GLOBAL__N_125multi_tensor_apply_kernelINS1_18TensorListMetadataILi3EEENS1_24PointwiseOpScalarFunctorIiLi3ELi3ELi0EEEJSt7dividesIiEiEEEvT_T0_DpT1_.num_named_barrier, 0
	.set _ZN2at6native12_GLOBAL__N_125multi_tensor_apply_kernelINS1_18TensorListMetadataILi3EEENS1_24PointwiseOpScalarFunctorIiLi3ELi3ELi0EEEJSt7dividesIiEiEEEvT_T0_DpT1_.private_seg_size, 0
	.set _ZN2at6native12_GLOBAL__N_125multi_tensor_apply_kernelINS1_18TensorListMetadataILi3EEENS1_24PointwiseOpScalarFunctorIiLi3ELi3ELi0EEEJSt7dividesIiEiEEEvT_T0_DpT1_.uses_vcc, 1
	.set _ZN2at6native12_GLOBAL__N_125multi_tensor_apply_kernelINS1_18TensorListMetadataILi3EEENS1_24PointwiseOpScalarFunctorIiLi3ELi3ELi0EEEJSt7dividesIiEiEEEvT_T0_DpT1_.uses_flat_scratch, 0
	.set _ZN2at6native12_GLOBAL__N_125multi_tensor_apply_kernelINS1_18TensorListMetadataILi3EEENS1_24PointwiseOpScalarFunctorIiLi3ELi3ELi0EEEJSt7dividesIiEiEEEvT_T0_DpT1_.has_dyn_sized_stack, 0
	.set _ZN2at6native12_GLOBAL__N_125multi_tensor_apply_kernelINS1_18TensorListMetadataILi3EEENS1_24PointwiseOpScalarFunctorIiLi3ELi3ELi0EEEJSt7dividesIiEiEEEvT_T0_DpT1_.has_recursion, 0
	.set _ZN2at6native12_GLOBAL__N_125multi_tensor_apply_kernelINS1_18TensorListMetadataILi3EEENS1_24PointwiseOpScalarFunctorIiLi3ELi3ELi0EEEJSt7dividesIiEiEEEvT_T0_DpT1_.has_indirect_call, 0
	.section	.AMDGPU.csdata,"",@progbits
; Kernel info:
; codeLenInByte = 2696
; TotalNumSgprs: 34
; NumVgprs: 59
; ScratchSize: 0
; MemoryBound: 0
; FloatMode: 240
; IeeeMode: 1
; LDSByteSize: 0 bytes/workgroup (compile time only)
; SGPRBlocks: 4
; VGPRBlocks: 14
; NumSGPRsForWavesPerEU: 34
; NumVGPRsForWavesPerEU: 59
; Occupancy: 4
; WaveLimiterHint : 0
; COMPUTE_PGM_RSRC2:SCRATCH_EN: 0
; COMPUTE_PGM_RSRC2:USER_SGPR: 6
; COMPUTE_PGM_RSRC2:TRAP_HANDLER: 0
; COMPUTE_PGM_RSRC2:TGID_X_EN: 1
; COMPUTE_PGM_RSRC2:TGID_Y_EN: 0
; COMPUTE_PGM_RSRC2:TGID_Z_EN: 0
; COMPUTE_PGM_RSRC2:TIDIG_COMP_CNT: 0
	.section	.text._ZN2at6native12_GLOBAL__N_125multi_tensor_apply_kernelINS1_18TensorListMetadataILi3EEENS1_24PointwiseOpScalarFunctorIlLi3ELi3ELi0EEEJSt7dividesIlElEEEvT_T0_DpT1_,"axG",@progbits,_ZN2at6native12_GLOBAL__N_125multi_tensor_apply_kernelINS1_18TensorListMetadataILi3EEENS1_24PointwiseOpScalarFunctorIlLi3ELi3ELi0EEEJSt7dividesIlElEEEvT_T0_DpT1_,comdat
	.globl	_ZN2at6native12_GLOBAL__N_125multi_tensor_apply_kernelINS1_18TensorListMetadataILi3EEENS1_24PointwiseOpScalarFunctorIlLi3ELi3ELi0EEEJSt7dividesIlElEEEvT_T0_DpT1_ ; -- Begin function _ZN2at6native12_GLOBAL__N_125multi_tensor_apply_kernelINS1_18TensorListMetadataILi3EEENS1_24PointwiseOpScalarFunctorIlLi3ELi3ELi0EEEJSt7dividesIlElEEEvT_T0_DpT1_
	.p2align	8
	.type	_ZN2at6native12_GLOBAL__N_125multi_tensor_apply_kernelINS1_18TensorListMetadataILi3EEENS1_24PointwiseOpScalarFunctorIlLi3ELi3ELi0EEEJSt7dividesIlElEEEvT_T0_DpT1_,@function
_ZN2at6native12_GLOBAL__N_125multi_tensor_apply_kernelINS1_18TensorListMetadataILi3EEENS1_24PointwiseOpScalarFunctorIlLi3ELi3ELi0EEEJSt7dividesIlElEEEvT_T0_DpT1_: ; @_ZN2at6native12_GLOBAL__N_125multi_tensor_apply_kernelINS1_18TensorListMetadataILi3EEENS1_24PointwiseOpScalarFunctorIlLi3ELi3ELi0EEEJSt7dividesIlElEEEvT_T0_DpT1_
; %bb.0:
	v_mov_b32_e32 v1, s6
	global_load_ubyte v1, v1, s[4:5] offset:1536
	s_add_u32 s0, s4, s6
	s_mul_hi_u32 s1, s6, 3
	s_mul_i32 s6, s6, 3
	s_addc_u32 s2, s5, 0
	s_add_u32 s0, s0, s6
	s_addc_u32 s1, s2, s1
	s_load_dword s6, s[0:1], 0x740
	s_load_dwordx2 s[2:3], s[4:5], 0xc50
	s_mov_b32 s11, 0
	s_mov_b32 s13, s11
	s_waitcnt lgkmcnt(0)
	s_ashr_i32 s7, s6, 31
	s_lshl_b64 s[8:9], s[6:7], 19
	s_waitcnt vmcnt(0)
	v_readfirstlane_b32 s0, v1
	s_lshl_b32 s10, s0, 3
	s_load_dwordx2 s[16:17], s[4:5], s10 offset:0x0
	s_load_dwordx2 s[24:25], s[4:5], s10 offset:0x480
	;; [unrolled: 1-line block ×4, first 2 shown]
	s_waitcnt lgkmcnt(0)
	s_add_u32 s18, s16, s8
	s_addc_u32 s19, s17, s9
	s_and_b32 s10, s18, 31
	s_add_u32 s20, s14, s8
	s_addc_u32 s21, s15, s9
	s_add_u32 s22, s0, s8
	s_addc_u32 s23, s1, s9
	s_or_b32 s12, s22, s20
	s_and_b32 s12, s12, 31
	s_cmp_eq_u32 s12, 0
	s_cselect_b64 s[26:27], -1, 0
	s_lshl_b64 s[6:7], s[6:7], 16
	s_sub_u32 s6, s24, s6
	s_subb_u32 s7, s25, s7
	s_and_b32 s12, s24, 3
	s_or_b64 s[10:11], s[10:11], s[12:13]
	s_cmp_eq_u64 s[10:11], 0
	s_cselect_b64 s[10:11], -1, 0
	s_and_b64 s[12:13], s[26:27], s[10:11]
	s_mov_b64 s[10:11], -1
	s_and_b64 vcc, exec, s[12:13]
	s_cbranch_vccnz .LBB69_35
; %bb.1:
	v_cmp_lt_i64_e64 s[10:11], s[6:7], 1
	s_and_b64 vcc, exec, s[10:11]
	s_cbranch_vccnz .LBB69_34
; %bb.2:
	v_mov_b32_e32 v2, 0x10000
	s_load_dword s12, s[4:5], 0xc64
	v_mov_b32_e32 v3, 0
	v_cmp_lt_i64_e32 vcc, s[6:7], v[2:3]
	v_mov_b32_e32 v1, 0
	s_and_b64 s[10:11], vcc, exec
	s_cselect_b32 s11, s7, 0
	s_cselect_b32 s10, s6, 0x10000
	v_cmp_lt_u64_e32 vcc, s[6:7], v[2:3]
	s_waitcnt lgkmcnt(0)
	s_and_b32 s28, s12, 0xffff
	v_lshlrev_b32_e32 v2, 3, v0
	v_mov_b32_e32 v3, v1
	v_mad_u64_u32 v[3:4], s[26:27], s28, 24, v[2:3]
	s_and_b64 s[12:13], vcc, exec
	v_mov_b32_e32 v8, s17
	v_add_co_u32_e32 v29, vcc, s16, v3
	v_addc_co_u32_e32 v30, vcc, v8, v4, vcc
	v_mov_b32_e32 v8, s15
	v_add_co_u32_e32 v31, vcc, s14, v3
	v_addc_co_u32_e32 v32, vcc, v8, v4, vcc
	s_cselect_b32 s13, s7, 0
	s_cselect_b32 s12, s6, 0x10000
	s_lshl_b32 s29, s28, 1
	s_lshl_b32 s24, s28, 2
	;; [unrolled: 1-line block ×5, first 2 shown]
	v_mov_b32_e32 v8, s1
	v_add_co_u32_e32 v33, vcc, s0, v3
	s_add_u32 s30, s16, s27
	v_addc_co_u32_e32 v34, vcc, v8, v4, vcc
	s_addc_u32 s27, s17, 0
	v_add_co_u32_e32 v4, vcc, s26, v2
	v_mov_b32_e32 v3, s27
	v_addc_co_u32_e64 v8, s[26:27], 0, 0, vcc
	v_mov_b32_e32 v9, s17
	v_add_co_u32_e32 v35, vcc, s16, v4
	v_addc_co_u32_e32 v36, vcc, v9, v8, vcc
	v_mov_b32_e32 v9, s15
	v_add_co_u32_e32 v37, vcc, s14, v4
	v_addc_co_u32_e32 v38, vcc, v9, v8, vcc
	v_mov_b32_e32 v9, s1
	v_add_co_u32_e32 v39, vcc, s0, v4
	v_addc_co_u32_e32 v40, vcc, v9, v8, vcc
	v_mov_b32_e32 v5, s17
	v_add_co_u32_e32 v41, vcc, s16, v2
	v_addc_co_u32_e32 v42, vcc, 0, v5, vcc
	v_mov_b32_e32 v6, s15
	v_add_co_u32_e32 v43, vcc, s14, v2
	v_addc_co_u32_e32 v44, vcc, 0, v6, vcc
	v_mov_b32_e32 v7, s1
	v_add_co_u32_e32 v45, vcc, s0, v2
	v_addc_co_u32_e32 v46, vcc, 0, v7, vcc
	v_add_co_u32_e32 v47, vcc, s30, v2
	v_addc_co_u32_e32 v48, vcc, 0, v3, vcc
	v_add_co_u32_e32 v49, vcc, s28, v0
	v_lshlrev_b32_e32 v2, 3, v49
	v_addc_co_u32_e64 v50, s[26:27], 0, 0, vcc
	v_mov_b32_e32 v3, s17
	v_add_co_u32_e32 v51, vcc, s16, v2
	v_addc_co_u32_e32 v52, vcc, 0, v3, vcc
	v_mov_b32_e32 v3, s15
	v_add_co_u32_e32 v53, vcc, s14, v2
	v_addc_co_u32_e32 v54, vcc, 0, v3, vcc
	v_mov_b32_e32 v3, s1
	v_add_co_u32_e32 v55, vcc, s0, v2
	s_mul_i32 s31, s28, 3
	v_addc_co_u32_e32 v56, vcc, 0, v3, vcc
	v_add_co_u32_e32 v57, vcc, s31, v0
	v_addc_co_u32_e64 v58, s[0:1], 0, 0, vcc
	v_add_co_u32_e32 v59, vcc, s29, v0
	s_mov_b64 s[14:15], 0
	v_addc_co_u32_e64 v60, s[0:1], 0, 0, vcc
	s_branch .LBB69_4
.LBB69_3:                               ;   in Loop: Header=BB69_4 Depth=1
	s_or_b64 exec, exec, s[0:1]
	v_mad_u64_u32 v[7:8], s[0:1], v23, s2, v[13:14]
	v_mul_lo_u32 v2, v23, s3
	v_mul_lo_u32 v11, v24, s2
	v_mad_u64_u32 v[5:6], s[0:1], v15, s2, v[5:6]
	v_mul_lo_u32 v15, v15, s3
	v_add3_u32 v8, v11, v8, v2
	v_mad_u64_u32 v[2:3], s[0:1], v17, s2, v[3:4]
	v_mul_lo_u32 v4, v17, s3
	v_mul_lo_u32 v17, v18, s2
	;; [unrolled: 1-line block ×3, first 2 shown]
	v_mov_b32_e32 v13, s9
	v_add_co_u32_e32 v11, vcc, s8, v41
	v_mad_u64_u32 v[9:10], s[0:1], v21, s2, v[9:10]
	v_mul_lo_u32 v14, v21, s3
	v_mul_lo_u32 v19, v22, s2
	v_addc_co_u32_e32 v12, vcc, v42, v13, vcc
	v_add3_u32 v3, v17, v3, v4
	global_store_dwordx2 v[11:12], v[2:3], off
	v_add_co_u32_e32 v2, vcc, s8, v47
	v_add3_u32 v6, v16, v6, v15
	v_addc_co_u32_e32 v3, vcc, v48, v13, vcc
	global_store_dwordx2 v[2:3], v[5:6], off
	v_add_co_u32_e32 v2, vcc, s8, v35
	v_add3_u32 v10, v19, v10, v14
	v_addc_co_u32_e32 v3, vcc, v36, v13, vcc
	global_store_dwordx2 v[2:3], v[9:10], off
	v_add_co_u32_e32 v2, vcc, s8, v29
	v_addc_co_u32_e32 v3, vcc, v30, v13, vcc
	v_add_co_u32_e32 v41, vcc, s25, v41
	v_addc_co_u32_e32 v42, vcc, 0, v42, vcc
	;; [unrolled: 2-line block ×12, first 2 shown]
	global_store_dwordx2 v[2:3], v[7:8], off
	s_add_u32 s14, s14, s24
	v_add_co_u32_e32 v53, vcc, s25, v53
	v_mov_b32_e32 v2, s10
	s_addc_u32 s15, s15, 0
	v_addc_co_u32_e32 v54, vcc, 0, v54, vcc
	v_mov_b32_e32 v3, s11
	v_cmp_lt_i64_e32 vcc, s[14:15], v[2:3]
	v_add_co_u32_e64 v55, s[0:1], s25, v55
	v_addc_co_u32_e64 v56, s[0:1], 0, v56, s[0:1]
	s_cbranch_vccz .LBB69_34
.LBB69_4:                               ; =>This Inner Loop Header: Depth=1
	v_mov_b32_e32 v3, s15
	v_add_co_u32_e32 v2, vcc, s14, v0
	v_addc_co_u32_e32 v3, vcc, 0, v3, vcc
	v_cmp_gt_u64_e32 vcc, s[12:13], v[2:3]
	v_mov_b32_e32 v11, 0
	v_mov_b32_e32 v7, 0
	;; [unrolled: 1-line block ×6, first 2 shown]
	s_and_saveexec_b64 s[16:17], vcc
	s_cbranch_execz .LBB69_6
; %bb.5:                                ;   in Loop: Header=BB69_4 Depth=1
	v_mov_b32_e32 v2, s9
	v_add_co_u32_e64 v5, s[0:1], s8, v41
	v_addc_co_u32_e64 v6, s[0:1], v42, v2, s[0:1]
	v_add_co_u32_e64 v9, s[0:1], s8, v43
	v_addc_co_u32_e64 v10, s[0:1], v44, v2, s[0:1]
	global_load_dwordx2 v[3:4], v[5:6], off
	global_load_dwordx2 v[7:8], v[9:10], off
.LBB69_6:                               ;   in Loop: Header=BB69_4 Depth=1
	s_or_b64 exec, exec, s[16:17]
	s_and_saveexec_b64 s[0:1], vcc
	s_cbranch_execz .LBB69_8
; %bb.7:                                ;   in Loop: Header=BB69_4 Depth=1
	v_mov_b32_e32 v2, s9
	v_add_co_u32_e32 v5, vcc, s8, v45
	v_addc_co_u32_e32 v6, vcc, v46, v2, vcc
	global_load_dwordx2 v[11:12], v[5:6], off
.LBB69_8:                               ;   in Loop: Header=BB69_4 Depth=1
	s_or_b64 exec, exec, s[0:1]
	v_mov_b32_e32 v2, s15
	v_add_co_u32_e32 v5, vcc, s14, v49
	v_addc_co_u32_e32 v6, vcc, v50, v2, vcc
	v_cmp_gt_u64_e32 vcc, s[12:13], v[5:6]
	v_mov_b32_e32 v27, 0
	v_mov_b32_e32 v21, 0
	;; [unrolled: 1-line block ×6, first 2 shown]
	s_and_saveexec_b64 s[16:17], vcc
	s_cbranch_execz .LBB69_10
; %bb.9:                                ;   in Loop: Header=BB69_4 Depth=1
	v_mov_b32_e32 v2, s9
	v_add_co_u32_e64 v9, s[0:1], s8, v51
	v_addc_co_u32_e64 v10, s[0:1], v52, v2, s[0:1]
	v_add_co_u32_e64 v13, s[0:1], s8, v53
	v_addc_co_u32_e64 v14, s[0:1], v54, v2, s[0:1]
	global_load_dwordx2 v[5:6], v[9:10], off
	global_load_dwordx2 v[21:22], v[13:14], off
.LBB69_10:                              ;   in Loop: Header=BB69_4 Depth=1
	s_or_b64 exec, exec, s[16:17]
	s_and_saveexec_b64 s[0:1], vcc
	s_cbranch_execz .LBB69_12
; %bb.11:                               ;   in Loop: Header=BB69_4 Depth=1
	v_mov_b32_e32 v2, s9
	v_add_co_u32_e32 v9, vcc, s8, v55
	v_addc_co_u32_e32 v10, vcc, v56, v2, vcc
	global_load_dwordx2 v[27:28], v[9:10], off
.LBB69_12:                              ;   in Loop: Header=BB69_4 Depth=1
	s_or_b64 exec, exec, s[0:1]
	v_mov_b32_e32 v2, s15
	v_add_co_u32_e32 v9, vcc, s14, v59
	v_addc_co_u32_e32 v10, vcc, v60, v2, vcc
	v_cmp_gt_u64_e32 vcc, s[12:13], v[9:10]
	v_mov_b32_e32 v25, 0
	v_mov_b32_e32 v23, 0
	;; [unrolled: 1-line block ×6, first 2 shown]
	s_and_saveexec_b64 s[16:17], vcc
	s_cbranch_execz .LBB69_14
; %bb.13:                               ;   in Loop: Header=BB69_4 Depth=1
	v_mov_b32_e32 v2, s9
	v_add_co_u32_e64 v13, s[0:1], s8, v35
	v_addc_co_u32_e64 v14, s[0:1], v36, v2, s[0:1]
	v_add_co_u32_e64 v15, s[0:1], s8, v37
	v_addc_co_u32_e64 v16, s[0:1], v38, v2, s[0:1]
	global_load_dwordx2 v[9:10], v[13:14], off
	global_load_dwordx2 v[23:24], v[15:16], off
.LBB69_14:                              ;   in Loop: Header=BB69_4 Depth=1
	s_or_b64 exec, exec, s[16:17]
	s_and_saveexec_b64 s[0:1], vcc
	s_cbranch_execz .LBB69_16
; %bb.15:                               ;   in Loop: Header=BB69_4 Depth=1
	v_mov_b32_e32 v2, s9
	v_add_co_u32_e32 v13, vcc, s8, v39
	v_addc_co_u32_e32 v14, vcc, v40, v2, vcc
	global_load_dwordx2 v[25:26], v[13:14], off
.LBB69_16:                              ;   in Loop: Header=BB69_4 Depth=1
	s_or_b64 exec, exec, s[0:1]
	v_mov_b32_e32 v2, s15
	v_add_co_u32_e32 v13, vcc, s14, v57
	v_addc_co_u32_e32 v14, vcc, v58, v2, vcc
	v_cmp_gt_u64_e32 vcc, s[12:13], v[13:14]
	v_mov_b32_e32 v17, 0
	v_mov_b32_e32 v13, 0
	;; [unrolled: 1-line block ×4, first 2 shown]
	s_and_saveexec_b64 s[0:1], vcc
	s_cbranch_execz .LBB69_18
; %bb.17:                               ;   in Loop: Header=BB69_4 Depth=1
	v_mov_b32_e32 v2, s9
	v_add_co_u32_e32 v15, vcc, s8, v29
	v_addc_co_u32_e32 v16, vcc, v30, v2, vcc
	v_add_co_u32_e32 v19, vcc, s8, v31
	v_addc_co_u32_e32 v20, vcc, v32, v2, vcc
	global_load_dwordx2 v[13:14], v[15:16], off
	global_load_dwordx2 v[17:18], v[19:20], off
.LBB69_18:                              ;   in Loop: Header=BB69_4 Depth=1
	s_or_b64 exec, exec, s[0:1]
	v_mov_b32_e32 v2, s9
	v_add_co_u32_e32 v15, vcc, s8, v33
	v_addc_co_u32_e32 v16, vcc, v34, v2, vcc
	global_load_dwordx2 v[19:20], v[15:16], off
	s_waitcnt vmcnt(1)
	v_or_b32_e32 v2, v22, v28
	v_cmp_ne_u64_e32 vcc, 0, v[1:2]
                                        ; implicit-def: $vgpr15_vgpr16
	s_and_saveexec_b64 s[0:1], vcc
	s_xor_b64 s[16:17], exec, s[0:1]
	s_cbranch_execz .LBB69_20
; %bb.19:                               ;   in Loop: Header=BB69_4 Depth=1
	v_ashrrev_i32_e32 v2, 31, v28
	v_add_co_u32_e32 v15, vcc, v27, v2
	v_addc_co_u32_e32 v16, vcc, v28, v2, vcc
	v_xor_b32_e32 v63, v16, v2
	v_xor_b32_e32 v64, v15, v2
	v_cvt_f32_u32_e32 v15, v64
	v_cvt_f32_u32_e32 v16, v63
	v_sub_co_u32_e32 v61, vcc, 0, v64
	v_subb_co_u32_e32 v66, vcc, 0, v63, vcc
	v_mac_f32_e32 v15, 0x4f800000, v16
	v_rcp_f32_e32 v15, v15
	v_mul_f32_e32 v15, 0x5f7ffffc, v15
	v_mul_f32_e32 v16, 0x2f800000, v15
	v_trunc_f32_e32 v16, v16
	v_mac_f32_e32 v15, 0xcf800000, v16
	v_cvt_u32_f32_e32 v62, v15
	v_cvt_u32_f32_e32 v65, v16
	v_mul_lo_u32 v27, v66, v62
	v_mul_lo_u32 v28, v61, v65
	v_mad_u64_u32 v[15:16], s[0:1], v61, v62, 0
	v_add3_u32 v67, v16, v28, v27
	v_mul_hi_u32 v16, v62, v15
	v_mad_u64_u32 v[27:28], s[0:1], v62, v67, 0
	v_add_co_u32_e32 v68, vcc, v16, v27
	v_mad_u64_u32 v[15:16], s[0:1], v65, v15, 0
	v_addc_co_u32_e32 v69, vcc, 0, v28, vcc
	v_mad_u64_u32 v[27:28], s[0:1], v65, v67, 0
	v_add_co_u32_e32 v15, vcc, v68, v15
	v_addc_co_u32_e32 v15, vcc, v69, v16, vcc
	v_addc_co_u32_e32 v16, vcc, 0, v28, vcc
	v_add_co_u32_e32 v15, vcc, v15, v27
	v_addc_co_u32_e32 v16, vcc, 0, v16, vcc
	v_add_co_u32_e32 v67, vcc, v62, v15
	v_addc_co_u32_e32 v65, vcc, v65, v16, vcc
	v_mul_lo_u32 v27, v61, v65
	v_mul_lo_u32 v28, v66, v67
	v_mad_u64_u32 v[15:16], s[0:1], v61, v67, 0
	v_add3_u32 v16, v16, v27, v28
	v_mad_u64_u32 v[61:62], s[0:1], v67, v16, 0
	v_mul_hi_u32 v66, v67, v15
	v_mad_u64_u32 v[27:28], s[0:1], v65, v16, 0
	v_mad_u64_u32 v[15:16], s[0:1], v65, v15, 0
	v_add_co_u32_e32 v61, vcc, v66, v61
	v_addc_co_u32_e32 v62, vcc, 0, v62, vcc
	v_add_co_u32_e32 v15, vcc, v61, v15
	v_addc_co_u32_e32 v15, vcc, v62, v16, vcc
	v_addc_co_u32_e32 v16, vcc, 0, v28, vcc
	v_add_co_u32_e32 v15, vcc, v15, v27
	v_addc_co_u32_e32 v16, vcc, 0, v16, vcc
	v_add_co_u32_e32 v27, vcc, v67, v15
	v_addc_co_u32_e32 v28, vcc, v65, v16, vcc
	v_ashrrev_i32_e32 v61, 31, v22
	v_add_co_u32_e32 v15, vcc, v21, v61
	v_xor_b32_e32 v62, v15, v61
	v_mad_u64_u32 v[15:16], s[0:1], v62, v28, 0
	v_mul_hi_u32 v21, v62, v27
	v_addc_co_u32_e32 v22, vcc, v22, v61, vcc
	v_xor_b32_e32 v65, v22, v61
	v_add_co_u32_e32 v66, vcc, v21, v15
	v_addc_co_u32_e32 v67, vcc, 0, v16, vcc
	v_mad_u64_u32 v[15:16], s[0:1], v65, v27, 0
	v_mad_u64_u32 v[21:22], s[0:1], v65, v28, 0
	v_add_co_u32_e32 v15, vcc, v66, v15
	v_addc_co_u32_e32 v15, vcc, v67, v16, vcc
	v_addc_co_u32_e32 v16, vcc, 0, v22, vcc
	v_add_co_u32_e32 v21, vcc, v15, v21
	v_addc_co_u32_e32 v22, vcc, 0, v16, vcc
	v_mul_lo_u32 v27, v63, v21
	v_mul_lo_u32 v28, v64, v22
	v_mad_u64_u32 v[15:16], s[0:1], v64, v21, 0
	v_xor_b32_e32 v2, v61, v2
	v_add3_u32 v16, v16, v28, v27
	v_sub_u32_e32 v27, v65, v16
	v_sub_co_u32_e32 v15, vcc, v62, v15
	v_subb_co_u32_e64 v27, s[0:1], v27, v63, vcc
	v_sub_co_u32_e64 v28, s[0:1], v15, v64
	v_subbrev_co_u32_e64 v27, s[0:1], 0, v27, s[0:1]
	v_cmp_ge_u32_e64 s[0:1], v27, v63
	v_cndmask_b32_e64 v62, 0, -1, s[0:1]
	v_cmp_ge_u32_e64 s[0:1], v28, v64
	v_cndmask_b32_e64 v28, 0, -1, s[0:1]
	v_cmp_eq_u32_e64 s[0:1], v27, v63
	v_cndmask_b32_e64 v27, v62, v28, s[0:1]
	v_add_co_u32_e64 v28, s[0:1], 2, v21
	v_addc_co_u32_e64 v62, s[0:1], 0, v22, s[0:1]
	v_add_co_u32_e64 v66, s[0:1], 1, v21
	v_addc_co_u32_e64 v67, s[0:1], 0, v22, s[0:1]
	v_subb_co_u32_e32 v16, vcc, v65, v16, vcc
	v_cmp_ne_u32_e64 s[0:1], 0, v27
	v_cmp_ge_u32_e32 vcc, v16, v63
	v_cndmask_b32_e64 v27, v67, v62, s[0:1]
	v_cndmask_b32_e64 v62, 0, -1, vcc
	v_cmp_ge_u32_e32 vcc, v15, v64
	v_cndmask_b32_e64 v15, 0, -1, vcc
	v_cmp_eq_u32_e32 vcc, v16, v63
	v_cndmask_b32_e32 v15, v62, v15, vcc
	v_cmp_ne_u32_e32 vcc, 0, v15
	v_cndmask_b32_e64 v16, v66, v28, s[0:1]
	v_cndmask_b32_e32 v15, v22, v27, vcc
	v_cndmask_b32_e32 v16, v21, v16, vcc
	v_xor_b32_e32 v21, v15, v2
	v_xor_b32_e32 v15, v16, v2
	v_sub_co_u32_e32 v15, vcc, v15, v2
	v_subb_co_u32_e32 v16, vcc, v21, v2, vcc
                                        ; implicit-def: $vgpr27_vgpr28
                                        ; implicit-def: $vgpr21_vgpr22
.LBB69_20:                              ;   in Loop: Header=BB69_4 Depth=1
	s_andn2_saveexec_b64 s[0:1], s[16:17]
	s_cbranch_execz .LBB69_22
; %bb.21:                               ;   in Loop: Header=BB69_4 Depth=1
	v_cvt_f32_u32_e32 v2, v27
	v_sub_u32_e32 v15, 0, v27
	v_rcp_iflag_f32_e32 v2, v2
	v_mul_f32_e32 v2, 0x4f7ffffe, v2
	v_cvt_u32_f32_e32 v2, v2
	v_mul_lo_u32 v15, v15, v2
	v_mul_hi_u32 v15, v2, v15
	v_add_u32_e32 v2, v2, v15
	v_mul_hi_u32 v2, v21, v2
	v_mul_lo_u32 v15, v2, v27
	v_add_u32_e32 v16, 1, v2
	v_sub_u32_e32 v15, v21, v15
	v_sub_u32_e32 v21, v15, v27
	v_cmp_ge_u32_e32 vcc, v15, v27
	v_cndmask_b32_e32 v15, v15, v21, vcc
	v_cndmask_b32_e32 v2, v2, v16, vcc
	v_add_u32_e32 v16, 1, v2
	v_cmp_ge_u32_e32 vcc, v15, v27
	v_cndmask_b32_e32 v15, v2, v16, vcc
	v_mov_b32_e32 v16, v1
.LBB69_22:                              ;   in Loop: Header=BB69_4 Depth=1
	s_or_b64 exec, exec, s[0:1]
	v_or_b32_e32 v2, v24, v26
	v_cmp_ne_u64_e32 vcc, 0, v[1:2]
                                        ; implicit-def: $vgpr21_vgpr22
	s_and_saveexec_b64 s[0:1], vcc
	s_xor_b64 s[16:17], exec, s[0:1]
	s_cbranch_execz .LBB69_24
; %bb.23:                               ;   in Loop: Header=BB69_4 Depth=1
	v_ashrrev_i32_e32 v2, 31, v26
	v_add_co_u32_e32 v21, vcc, v25, v2
	v_addc_co_u32_e32 v22, vcc, v26, v2, vcc
	v_xor_b32_e32 v61, v22, v2
	v_xor_b32_e32 v62, v21, v2
	v_cvt_f32_u32_e32 v21, v62
	v_cvt_f32_u32_e32 v22, v61
	v_sub_co_u32_e32 v28, vcc, 0, v62
	v_subb_co_u32_e32 v63, vcc, 0, v61, vcc
	v_mac_f32_e32 v21, 0x4f800000, v22
	v_rcp_f32_e32 v21, v21
	v_mul_f32_e32 v21, 0x5f7ffffc, v21
	v_mul_f32_e32 v22, 0x2f800000, v21
	v_trunc_f32_e32 v22, v22
	v_mac_f32_e32 v21, 0xcf800000, v22
	v_cvt_u32_f32_e32 v27, v21
	v_cvt_u32_f32_e32 v64, v22
	v_mul_lo_u32 v25, v63, v27
	v_mad_u64_u32 v[21:22], s[0:1], v28, v27, 0
	v_mul_lo_u32 v26, v28, v64
	v_add3_u32 v65, v22, v26, v25
	v_mad_u64_u32 v[25:26], s[0:1], v27, v65, 0
	v_mul_hi_u32 v22, v27, v21
	v_add_co_u32_e32 v66, vcc, v22, v25
	v_mad_u64_u32 v[21:22], s[0:1], v64, v21, 0
	v_addc_co_u32_e32 v67, vcc, 0, v26, vcc
	v_mad_u64_u32 v[25:26], s[0:1], v64, v65, 0
	v_add_co_u32_e32 v21, vcc, v66, v21
	v_addc_co_u32_e32 v21, vcc, v67, v22, vcc
	v_addc_co_u32_e32 v22, vcc, 0, v26, vcc
	v_add_co_u32_e32 v21, vcc, v21, v25
	v_addc_co_u32_e32 v22, vcc, 0, v22, vcc
	v_add_co_u32_e32 v65, vcc, v27, v21
	v_addc_co_u32_e32 v64, vcc, v64, v22, vcc
	v_mul_lo_u32 v25, v28, v64
	v_mul_lo_u32 v26, v63, v65
	v_mad_u64_u32 v[21:22], s[0:1], v28, v65, 0
	v_add3_u32 v22, v22, v25, v26
	v_mad_u64_u32 v[27:28], s[0:1], v65, v22, 0
	v_mul_hi_u32 v63, v65, v21
	v_mad_u64_u32 v[25:26], s[0:1], v64, v22, 0
	v_mad_u64_u32 v[21:22], s[0:1], v64, v21, 0
	v_add_co_u32_e32 v27, vcc, v63, v27
	v_addc_co_u32_e32 v28, vcc, 0, v28, vcc
	v_add_co_u32_e32 v21, vcc, v27, v21
	v_addc_co_u32_e32 v21, vcc, v28, v22, vcc
	v_addc_co_u32_e32 v22, vcc, 0, v26, vcc
	v_add_co_u32_e32 v21, vcc, v21, v25
	v_addc_co_u32_e32 v22, vcc, 0, v22, vcc
	v_add_co_u32_e32 v25, vcc, v65, v21
	v_addc_co_u32_e32 v26, vcc, v64, v22, vcc
	v_ashrrev_i32_e32 v27, 31, v24
	v_add_co_u32_e32 v21, vcc, v23, v27
	v_xor_b32_e32 v28, v21, v27
	v_addc_co_u32_e32 v23, vcc, v24, v27, vcc
	v_mad_u64_u32 v[21:22], s[0:1], v28, v26, 0
	v_mul_hi_u32 v24, v28, v25
	v_xor_b32_e32 v63, v23, v27
	v_xor_b32_e32 v2, v27, v2
	v_add_co_u32_e32 v64, vcc, v24, v21
	v_addc_co_u32_e32 v65, vcc, 0, v22, vcc
	v_mad_u64_u32 v[21:22], s[0:1], v63, v25, 0
	v_mad_u64_u32 v[23:24], s[0:1], v63, v26, 0
	v_add_co_u32_e32 v21, vcc, v64, v21
	v_addc_co_u32_e32 v21, vcc, v65, v22, vcc
	v_addc_co_u32_e32 v22, vcc, 0, v24, vcc
	v_add_co_u32_e32 v23, vcc, v21, v23
	v_addc_co_u32_e32 v24, vcc, 0, v22, vcc
	v_mul_lo_u32 v25, v61, v23
	v_mul_lo_u32 v26, v62, v24
	v_mad_u64_u32 v[21:22], s[0:1], v62, v23, 0
	v_add3_u32 v22, v22, v26, v25
	v_sub_u32_e32 v25, v63, v22
	v_sub_co_u32_e32 v21, vcc, v28, v21
	v_subb_co_u32_e64 v25, s[0:1], v25, v61, vcc
	v_sub_co_u32_e64 v26, s[0:1], v21, v62
	v_subbrev_co_u32_e64 v25, s[0:1], 0, v25, s[0:1]
	v_cmp_ge_u32_e64 s[0:1], v25, v61
	v_cndmask_b32_e64 v28, 0, -1, s[0:1]
	v_cmp_ge_u32_e64 s[0:1], v26, v62
	v_cndmask_b32_e64 v26, 0, -1, s[0:1]
	v_cmp_eq_u32_e64 s[0:1], v25, v61
	v_cndmask_b32_e64 v25, v28, v26, s[0:1]
	v_add_co_u32_e64 v26, s[0:1], 2, v23
	v_addc_co_u32_e64 v28, s[0:1], 0, v24, s[0:1]
	v_add_co_u32_e64 v64, s[0:1], 1, v23
	v_addc_co_u32_e64 v65, s[0:1], 0, v24, s[0:1]
	v_subb_co_u32_e32 v22, vcc, v63, v22, vcc
	v_cmp_ne_u32_e64 s[0:1], 0, v25
	v_cmp_ge_u32_e32 vcc, v22, v61
	v_cndmask_b32_e64 v25, v65, v28, s[0:1]
	v_cndmask_b32_e64 v28, 0, -1, vcc
	v_cmp_ge_u32_e32 vcc, v21, v62
	v_cndmask_b32_e64 v21, 0, -1, vcc
	v_cmp_eq_u32_e32 vcc, v22, v61
	v_cndmask_b32_e32 v21, v28, v21, vcc
	v_cmp_ne_u32_e32 vcc, 0, v21
	v_cndmask_b32_e64 v22, v64, v26, s[0:1]
	v_cndmask_b32_e32 v21, v24, v25, vcc
	v_cndmask_b32_e32 v22, v23, v22, vcc
	v_xor_b32_e32 v23, v21, v2
	v_xor_b32_e32 v21, v22, v2
	v_sub_co_u32_e32 v21, vcc, v21, v2
	v_subb_co_u32_e32 v22, vcc, v23, v2, vcc
                                        ; implicit-def: $vgpr25_vgpr26
                                        ; implicit-def: $vgpr23_vgpr24
.LBB69_24:                              ;   in Loop: Header=BB69_4 Depth=1
	s_andn2_saveexec_b64 s[0:1], s[16:17]
	s_cbranch_execz .LBB69_26
; %bb.25:                               ;   in Loop: Header=BB69_4 Depth=1
	v_cvt_f32_u32_e32 v2, v25
	v_sub_u32_e32 v21, 0, v25
	v_rcp_iflag_f32_e32 v2, v2
	v_mul_f32_e32 v2, 0x4f7ffffe, v2
	v_cvt_u32_f32_e32 v2, v2
	v_mul_lo_u32 v21, v21, v2
	v_mul_hi_u32 v21, v2, v21
	v_add_u32_e32 v2, v2, v21
	v_mul_hi_u32 v2, v23, v2
	v_mul_lo_u32 v21, v2, v25
	v_add_u32_e32 v22, 1, v2
	v_sub_u32_e32 v21, v23, v21
	v_sub_u32_e32 v23, v21, v25
	v_cmp_ge_u32_e32 vcc, v21, v25
	v_cndmask_b32_e32 v21, v21, v23, vcc
	v_cndmask_b32_e32 v2, v2, v22, vcc
	v_add_u32_e32 v22, 1, v2
	v_cmp_ge_u32_e32 vcc, v21, v25
	v_cndmask_b32_e32 v21, v2, v22, vcc
	v_mov_b32_e32 v22, v1
.LBB69_26:                              ;   in Loop: Header=BB69_4 Depth=1
	s_or_b64 exec, exec, s[0:1]
	s_waitcnt vmcnt(0)
	v_or_b32_e32 v2, v18, v20
	v_cmp_ne_u64_e32 vcc, 0, v[1:2]
                                        ; implicit-def: $vgpr23_vgpr24
	s_and_saveexec_b64 s[0:1], vcc
	s_xor_b64 s[16:17], exec, s[0:1]
	s_cbranch_execz .LBB69_28
; %bb.27:                               ;   in Loop: Header=BB69_4 Depth=1
	v_ashrrev_i32_e32 v2, 31, v20
	v_add_co_u32_e32 v19, vcc, v19, v2
	v_addc_co_u32_e32 v20, vcc, v20, v2, vcc
	v_xor_b32_e32 v27, v20, v2
	v_xor_b32_e32 v28, v19, v2
	v_cvt_f32_u32_e32 v19, v28
	v_cvt_f32_u32_e32 v20, v27
	v_sub_co_u32_e32 v26, vcc, 0, v28
	v_subb_co_u32_e32 v61, vcc, 0, v27, vcc
	v_mac_f32_e32 v19, 0x4f800000, v20
	v_rcp_f32_e32 v19, v19
	v_mul_f32_e32 v19, 0x5f7ffffc, v19
	v_mul_f32_e32 v20, 0x2f800000, v19
	v_trunc_f32_e32 v20, v20
	v_mac_f32_e32 v19, 0xcf800000, v20
	v_cvt_u32_f32_e32 v25, v19
	v_cvt_u32_f32_e32 v62, v20
	v_mul_lo_u32 v23, v61, v25
	v_mad_u64_u32 v[19:20], s[0:1], v26, v25, 0
	v_mul_lo_u32 v24, v26, v62
	v_add3_u32 v63, v20, v24, v23
	v_mad_u64_u32 v[23:24], s[0:1], v25, v63, 0
	v_mul_hi_u32 v20, v25, v19
	v_add_co_u32_e32 v64, vcc, v20, v23
	v_mad_u64_u32 v[19:20], s[0:1], v62, v19, 0
	v_addc_co_u32_e32 v65, vcc, 0, v24, vcc
	v_mad_u64_u32 v[23:24], s[0:1], v62, v63, 0
	v_add_co_u32_e32 v19, vcc, v64, v19
	v_addc_co_u32_e32 v19, vcc, v65, v20, vcc
	v_addc_co_u32_e32 v20, vcc, 0, v24, vcc
	v_add_co_u32_e32 v19, vcc, v19, v23
	v_addc_co_u32_e32 v20, vcc, 0, v20, vcc
	v_add_co_u32_e32 v63, vcc, v25, v19
	v_addc_co_u32_e32 v62, vcc, v62, v20, vcc
	v_mul_lo_u32 v23, v26, v62
	v_mul_lo_u32 v24, v61, v63
	v_mad_u64_u32 v[19:20], s[0:1], v26, v63, 0
	v_add3_u32 v20, v20, v23, v24
	v_mad_u64_u32 v[25:26], s[0:1], v63, v20, 0
	v_mul_hi_u32 v61, v63, v19
	v_mad_u64_u32 v[23:24], s[0:1], v62, v20, 0
	v_mad_u64_u32 v[19:20], s[0:1], v62, v19, 0
	v_add_co_u32_e32 v25, vcc, v61, v25
	v_addc_co_u32_e32 v26, vcc, 0, v26, vcc
	v_add_co_u32_e32 v19, vcc, v25, v19
	v_addc_co_u32_e32 v19, vcc, v26, v20, vcc
	v_addc_co_u32_e32 v20, vcc, 0, v24, vcc
	v_add_co_u32_e32 v19, vcc, v19, v23
	v_addc_co_u32_e32 v20, vcc, 0, v20, vcc
	v_add_co_u32_e32 v19, vcc, v63, v19
	v_addc_co_u32_e32 v20, vcc, v62, v20, vcc
	v_ashrrev_i32_e32 v23, 31, v18
	v_add_co_u32_e32 v17, vcc, v17, v23
	v_xor_b32_e32 v25, v17, v23
	v_addc_co_u32_e32 v24, vcc, v18, v23, vcc
	v_mad_u64_u32 v[17:18], s[0:1], v25, v20, 0
	v_mul_hi_u32 v26, v25, v19
	v_xor_b32_e32 v24, v24, v23
	v_xor_b32_e32 v2, v23, v2
	v_add_co_u32_e32 v26, vcc, v26, v17
	v_addc_co_u32_e32 v61, vcc, 0, v18, vcc
	v_mad_u64_u32 v[17:18], s[0:1], v24, v19, 0
	v_mad_u64_u32 v[19:20], s[0:1], v24, v20, 0
	v_add_co_u32_e32 v17, vcc, v26, v17
	v_addc_co_u32_e32 v17, vcc, v61, v18, vcc
	v_addc_co_u32_e32 v18, vcc, 0, v20, vcc
	v_add_co_u32_e32 v19, vcc, v17, v19
	v_addc_co_u32_e32 v20, vcc, 0, v18, vcc
	v_mul_lo_u32 v26, v27, v19
	v_mul_lo_u32 v61, v28, v20
	v_mad_u64_u32 v[17:18], s[0:1], v28, v19, 0
	v_add3_u32 v18, v18, v61, v26
	v_sub_u32_e32 v26, v24, v18
	v_sub_co_u32_e32 v17, vcc, v25, v17
	v_subb_co_u32_e64 v25, s[0:1], v26, v27, vcc
	v_sub_co_u32_e64 v26, s[0:1], v17, v28
	v_subbrev_co_u32_e64 v25, s[0:1], 0, v25, s[0:1]
	v_cmp_ge_u32_e64 s[0:1], v25, v27
	v_cndmask_b32_e64 v61, 0, -1, s[0:1]
	v_cmp_ge_u32_e64 s[0:1], v26, v28
	v_cndmask_b32_e64 v26, 0, -1, s[0:1]
	v_cmp_eq_u32_e64 s[0:1], v25, v27
	v_cndmask_b32_e64 v25, v61, v26, s[0:1]
	v_add_co_u32_e64 v26, s[0:1], 2, v19
	v_subb_co_u32_e32 v18, vcc, v24, v18, vcc
	v_addc_co_u32_e64 v61, s[0:1], 0, v20, s[0:1]
	v_cmp_ge_u32_e32 vcc, v18, v27
	v_add_co_u32_e64 v62, s[0:1], 1, v19
	v_cndmask_b32_e64 v24, 0, -1, vcc
	v_cmp_ge_u32_e32 vcc, v17, v28
	v_addc_co_u32_e64 v63, s[0:1], 0, v20, s[0:1]
	v_cndmask_b32_e64 v17, 0, -1, vcc
	v_cmp_eq_u32_e32 vcc, v18, v27
	v_cmp_ne_u32_e64 s[0:1], 0, v25
	v_cndmask_b32_e32 v17, v24, v17, vcc
	v_cmp_ne_u32_e32 vcc, 0, v17
	v_cndmask_b32_e64 v18, v62, v26, s[0:1]
	v_cndmask_b32_e64 v25, v63, v61, s[0:1]
	v_cndmask_b32_e32 v18, v19, v18, vcc
	v_cndmask_b32_e32 v17, v20, v25, vcc
	v_xor_b32_e32 v18, v18, v2
	v_xor_b32_e32 v17, v17, v2
	v_sub_co_u32_e32 v23, vcc, v18, v2
	v_subb_co_u32_e32 v24, vcc, v17, v2, vcc
                                        ; implicit-def: $vgpr19_vgpr20
                                        ; implicit-def: $vgpr17_vgpr18
.LBB69_28:                              ;   in Loop: Header=BB69_4 Depth=1
	s_andn2_saveexec_b64 s[0:1], s[16:17]
	s_cbranch_execz .LBB69_30
; %bb.29:                               ;   in Loop: Header=BB69_4 Depth=1
	v_cvt_f32_u32_e32 v2, v19
	v_sub_u32_e32 v18, 0, v19
	v_mov_b32_e32 v24, v1
	v_rcp_iflag_f32_e32 v2, v2
	v_mul_f32_e32 v2, 0x4f7ffffe, v2
	v_cvt_u32_f32_e32 v2, v2
	v_mul_lo_u32 v18, v18, v2
	v_mul_hi_u32 v18, v2, v18
	v_add_u32_e32 v2, v2, v18
	v_mul_hi_u32 v2, v17, v2
	v_mul_lo_u32 v18, v2, v19
	v_add_u32_e32 v20, 1, v2
	v_sub_u32_e32 v17, v17, v18
	v_sub_u32_e32 v18, v17, v19
	v_cmp_ge_u32_e32 vcc, v17, v19
	v_cndmask_b32_e32 v17, v17, v18, vcc
	v_cndmask_b32_e32 v2, v2, v20, vcc
	v_add_u32_e32 v18, 1, v2
	v_cmp_ge_u32_e32 vcc, v17, v19
	v_cndmask_b32_e32 v23, v2, v18, vcc
.LBB69_30:                              ;   in Loop: Header=BB69_4 Depth=1
	s_or_b64 exec, exec, s[0:1]
	v_or_b32_e32 v2, v8, v12
	v_cmp_ne_u64_e32 vcc, 0, v[1:2]
                                        ; implicit-def: $vgpr17_vgpr18
	s_and_saveexec_b64 s[0:1], vcc
	s_xor_b64 s[16:17], exec, s[0:1]
	s_cbranch_execz .LBB69_32
; %bb.31:                               ;   in Loop: Header=BB69_4 Depth=1
	v_ashrrev_i32_e32 v2, 31, v12
	v_add_co_u32_e32 v11, vcc, v11, v2
	v_addc_co_u32_e32 v12, vcc, v12, v2, vcc
	v_xor_b32_e32 v25, v12, v2
	v_xor_b32_e32 v26, v11, v2
	v_cvt_f32_u32_e32 v11, v26
	v_cvt_f32_u32_e32 v12, v25
	v_sub_co_u32_e32 v20, vcc, 0, v26
	v_subb_co_u32_e32 v27, vcc, 0, v25, vcc
	v_mac_f32_e32 v11, 0x4f800000, v12
	v_rcp_f32_e32 v11, v11
	v_mul_f32_e32 v11, 0x5f7ffffc, v11
	v_mul_f32_e32 v12, 0x2f800000, v11
	v_trunc_f32_e32 v12, v12
	v_mac_f32_e32 v11, 0xcf800000, v12
	v_cvt_u32_f32_e32 v19, v11
	v_cvt_u32_f32_e32 v28, v12
	v_mul_lo_u32 v17, v27, v19
	v_mad_u64_u32 v[11:12], s[0:1], v20, v19, 0
	v_mul_lo_u32 v18, v20, v28
	v_add3_u32 v61, v12, v18, v17
	v_mad_u64_u32 v[17:18], s[0:1], v19, v61, 0
	v_mul_hi_u32 v12, v19, v11
	v_add_co_u32_e32 v62, vcc, v12, v17
	v_mad_u64_u32 v[11:12], s[0:1], v28, v11, 0
	v_addc_co_u32_e32 v63, vcc, 0, v18, vcc
	v_mad_u64_u32 v[17:18], s[0:1], v28, v61, 0
	v_add_co_u32_e32 v11, vcc, v62, v11
	v_addc_co_u32_e32 v11, vcc, v63, v12, vcc
	v_addc_co_u32_e32 v12, vcc, 0, v18, vcc
	v_add_co_u32_e32 v11, vcc, v11, v17
	v_addc_co_u32_e32 v12, vcc, 0, v12, vcc
	v_add_co_u32_e32 v61, vcc, v19, v11
	v_addc_co_u32_e32 v28, vcc, v28, v12, vcc
	v_mul_lo_u32 v17, v20, v28
	v_mul_lo_u32 v18, v27, v61
	v_mad_u64_u32 v[11:12], s[0:1], v20, v61, 0
	v_add3_u32 v12, v12, v17, v18
	v_mad_u64_u32 v[19:20], s[0:1], v61, v12, 0
	v_mul_hi_u32 v27, v61, v11
	v_mad_u64_u32 v[17:18], s[0:1], v28, v12, 0
	v_mad_u64_u32 v[11:12], s[0:1], v28, v11, 0
	v_add_co_u32_e32 v19, vcc, v27, v19
	v_addc_co_u32_e32 v20, vcc, 0, v20, vcc
	v_add_co_u32_e32 v11, vcc, v19, v11
	v_addc_co_u32_e32 v11, vcc, v20, v12, vcc
	v_addc_co_u32_e32 v12, vcc, 0, v18, vcc
	v_add_co_u32_e32 v11, vcc, v11, v17
	v_addc_co_u32_e32 v12, vcc, 0, v12, vcc
	v_add_co_u32_e32 v11, vcc, v61, v11
	v_addc_co_u32_e32 v12, vcc, v28, v12, vcc
	v_ashrrev_i32_e32 v17, 31, v8
	v_add_co_u32_e32 v7, vcc, v7, v17
	v_xor_b32_e32 v19, v7, v17
	v_addc_co_u32_e32 v18, vcc, v8, v17, vcc
	v_mad_u64_u32 v[7:8], s[0:1], v19, v12, 0
	v_mul_hi_u32 v20, v19, v11
	v_xor_b32_e32 v18, v18, v17
	v_xor_b32_e32 v2, v17, v2
	v_add_co_u32_e32 v20, vcc, v20, v7
	v_addc_co_u32_e32 v27, vcc, 0, v8, vcc
	v_mad_u64_u32 v[7:8], s[0:1], v18, v11, 0
	v_mad_u64_u32 v[11:12], s[0:1], v18, v12, 0
	v_add_co_u32_e32 v7, vcc, v20, v7
	v_addc_co_u32_e32 v7, vcc, v27, v8, vcc
	v_addc_co_u32_e32 v8, vcc, 0, v12, vcc
	v_add_co_u32_e32 v11, vcc, v7, v11
	v_addc_co_u32_e32 v12, vcc, 0, v8, vcc
	v_mul_lo_u32 v20, v25, v11
	v_mul_lo_u32 v27, v26, v12
	v_mad_u64_u32 v[7:8], s[0:1], v26, v11, 0
	v_add3_u32 v8, v8, v27, v20
	v_sub_u32_e32 v20, v18, v8
	v_sub_co_u32_e32 v7, vcc, v19, v7
	v_subb_co_u32_e64 v19, s[0:1], v20, v25, vcc
	v_sub_co_u32_e64 v20, s[0:1], v7, v26
	v_subbrev_co_u32_e64 v19, s[0:1], 0, v19, s[0:1]
	v_cmp_ge_u32_e64 s[0:1], v19, v25
	v_cndmask_b32_e64 v27, 0, -1, s[0:1]
	v_cmp_ge_u32_e64 s[0:1], v20, v26
	v_cndmask_b32_e64 v20, 0, -1, s[0:1]
	v_cmp_eq_u32_e64 s[0:1], v19, v25
	v_cndmask_b32_e64 v19, v27, v20, s[0:1]
	v_add_co_u32_e64 v20, s[0:1], 2, v11
	v_subb_co_u32_e32 v8, vcc, v18, v8, vcc
	v_addc_co_u32_e64 v27, s[0:1], 0, v12, s[0:1]
	v_cmp_ge_u32_e32 vcc, v8, v25
	v_add_co_u32_e64 v28, s[0:1], 1, v11
	v_cndmask_b32_e64 v18, 0, -1, vcc
	v_cmp_ge_u32_e32 vcc, v7, v26
	v_addc_co_u32_e64 v61, s[0:1], 0, v12, s[0:1]
	v_cndmask_b32_e64 v7, 0, -1, vcc
	v_cmp_eq_u32_e32 vcc, v8, v25
	v_cmp_ne_u32_e64 s[0:1], 0, v19
	v_cndmask_b32_e32 v7, v18, v7, vcc
	v_cmp_ne_u32_e32 vcc, 0, v7
	v_cndmask_b32_e64 v8, v28, v20, s[0:1]
	v_cndmask_b32_e64 v19, v61, v27, s[0:1]
	v_cndmask_b32_e32 v8, v11, v8, vcc
	v_cndmask_b32_e32 v7, v12, v19, vcc
	v_xor_b32_e32 v8, v8, v2
	v_xor_b32_e32 v7, v7, v2
	v_sub_co_u32_e32 v17, vcc, v8, v2
	v_subb_co_u32_e32 v18, vcc, v7, v2, vcc
                                        ; implicit-def: $vgpr11_vgpr12
                                        ; implicit-def: $vgpr7_vgpr8
.LBB69_32:                              ;   in Loop: Header=BB69_4 Depth=1
	s_andn2_saveexec_b64 s[0:1], s[16:17]
	s_cbranch_execz .LBB69_3
; %bb.33:                               ;   in Loop: Header=BB69_4 Depth=1
	v_cvt_f32_u32_e32 v2, v11
	v_sub_u32_e32 v8, 0, v11
	v_mov_b32_e32 v18, v1
	v_rcp_iflag_f32_e32 v2, v2
	v_mul_f32_e32 v2, 0x4f7ffffe, v2
	v_cvt_u32_f32_e32 v2, v2
	v_mul_lo_u32 v8, v8, v2
	v_mul_hi_u32 v8, v2, v8
	v_add_u32_e32 v2, v2, v8
	v_mul_hi_u32 v2, v7, v2
	v_mul_lo_u32 v8, v2, v11
	v_add_u32_e32 v12, 1, v2
	v_sub_u32_e32 v7, v7, v8
	v_sub_u32_e32 v8, v7, v11
	v_cmp_ge_u32_e32 vcc, v7, v11
	v_cndmask_b32_e32 v7, v7, v8, vcc
	v_cndmask_b32_e32 v2, v2, v12, vcc
	v_add_u32_e32 v8, 1, v2
	v_cmp_ge_u32_e32 vcc, v7, v11
	v_cndmask_b32_e32 v17, v2, v8, vcc
	s_branch .LBB69_3
.LBB69_34:
	s_mov_b64 s[10:11], 0
.LBB69_35:
	s_andn2_b64 vcc, exec, s[10:11]
	s_cbranch_vccnz .LBB69_55
; %bb.36:
	v_mov_b32_e32 v1, 0x10000
	v_mov_b32_e32 v2, 0
	v_cmp_lt_i64_e32 vcc, s[6:7], v[1:2]
	v_mov_b32_e32 v26, 0
	s_and_b64 s[0:1], vcc, exec
	s_cselect_b32 s7, s7, 0
	s_cselect_b32 s6, s6, 0x10000
	v_lshlrev_b32_e32 v1, 2, v0
	v_mov_b32_e32 v2, v26
	v_cmp_gt_i64_e32 vcc, s[6:7], v[1:2]
	s_and_saveexec_b64 s[0:1], vcc
	s_cbranch_execz .LBB69_55
; %bb.37:
	s_load_dword s0, s[4:5], 0xc64
	v_mov_b32_e32 v1, v26
	v_lshlrev_b32_e32 v32, 5, v0
	s_mov_b64 s[4:5], 0
	s_waitcnt lgkmcnt(0)
	s_and_b32 s10, s0, 0xffff
	s_lshl_b32 s11, s10, 5
	s_branch .LBB69_39
.LBB69_38:                              ;   in Loop: Header=BB69_39 Depth=1
	s_or_b64 exec, exec, s[0:1]
	v_mul_lo_u32 v14, v18, s3
	v_mul_lo_u32 v15, v19, s2
	s_waitcnt vmcnt(0)
	v_mad_u64_u32 v[8:9], s[0:1], v18, s2, v[8:9]
	v_mul_lo_u32 v16, v30, s3
	v_mul_lo_u32 v17, v31, s2
	v_mad_u64_u32 v[6:7], s[0:1], v30, s2, v[6:7]
	v_add_co_u32_e32 v0, vcc, s10, v0
	s_add_u32 s22, s22, s11
	v_add3_u32 v9, v15, v9, v14
	v_add3_u32 v7, v17, v7, v16
	v_addc_co_u32_e32 v1, vcc, 0, v1, vcc
	s_addc_u32 s23, s23, 0
	v_mul_lo_u32 v12, v20, s3
	v_mul_lo_u32 v13, v21, s2
	v_mad_u64_u32 v[2:3], s[0:1], v20, s2, v[2:3]
	v_mul_lo_u32 v18, v10, s3
	v_mul_lo_u32 v11, v11, s2
	v_mad_u64_u32 v[4:5], s[0:1], v10, s2, v[4:5]
	global_store_dwordx4 v[28:29], v[6:9], off
	s_add_u32 s18, s18, s11
	v_lshlrev_b64 v[6:7], 2, v[0:1]
	s_addc_u32 s19, s19, 0
	s_add_u32 s20, s20, s11
	v_cmp_le_i64_e32 vcc, s[6:7], v[6:7]
	s_addc_u32 s21, s21, 0
	v_add3_u32 v3, v13, v3, v12
	v_add3_u32 v5, v11, v5, v18
	s_or_b64 s[4:5], vcc, s[4:5]
	global_store_dwordx4 v[28:29], v[2:5], off offset:16
	s_andn2_b64 exec, exec, s[4:5]
	s_cbranch_execz .LBB69_55
.LBB69_39:                              ; =>This Inner Loop Header: Depth=1
	v_mov_b32_e32 v3, s21
	v_add_co_u32_e32 v2, vcc, s20, v32
	v_addc_co_u32_e32 v3, vcc, 0, v3, vcc
	global_load_dwordx4 v[10:13], v[2:3], off offset:16
	global_load_dwordx4 v[18:21], v[2:3], off
	v_mov_b32_e32 v3, s23
	v_add_co_u32_e32 v2, vcc, s22, v32
	v_addc_co_u32_e32 v3, vcc, 0, v3, vcc
	global_load_dwordx4 v[14:17], v[2:3], off offset:16
	global_load_dwordx4 v[22:25], v[2:3], off
	;; [unrolled: 5-line block ×3, first 2 shown]
                                        ; implicit-def: $vgpr30_vgpr31
	s_waitcnt vmcnt(2)
	v_or_b32_e32 v27, v19, v23
	v_cmp_ne_u64_e32 vcc, 0, v[26:27]
	s_and_saveexec_b64 s[0:1], vcc
	s_xor_b64 s[8:9], exec, s[0:1]
	s_cbranch_execz .LBB69_41
; %bb.40:                               ;   in Loop: Header=BB69_39 Depth=1
	v_ashrrev_i32_e32 v27, 31, v23
	v_add_co_u32_e32 v30, vcc, v22, v27
	v_addc_co_u32_e32 v23, vcc, v23, v27, vcc
	v_xor_b32_e32 v23, v23, v27
	v_xor_b32_e32 v37, v30, v27
	v_cvt_f32_u32_e32 v30, v37
	v_cvt_f32_u32_e32 v31, v23
	v_sub_co_u32_e32 v36, vcc, 0, v37
	v_subb_co_u32_e32 v38, vcc, 0, v23, vcc
	v_mac_f32_e32 v30, 0x4f800000, v31
	v_rcp_f32_e32 v30, v30
	v_mul_f32_e32 v30, 0x5f7ffffc, v30
	v_mul_f32_e32 v31, 0x2f800000, v30
	v_trunc_f32_e32 v31, v31
	v_mac_f32_e32 v30, 0xcf800000, v31
	v_cvt_u32_f32_e32 v35, v30
	v_cvt_u32_f32_e32 v39, v31
	v_mul_lo_u32 v33, v38, v35
	v_mad_u64_u32 v[30:31], s[0:1], v36, v35, 0
	v_mul_lo_u32 v34, v36, v39
	v_add3_u32 v40, v31, v34, v33
	v_mad_u64_u32 v[33:34], s[0:1], v35, v40, 0
	v_mul_hi_u32 v31, v35, v30
	v_add_co_u32_e32 v41, vcc, v31, v33
	v_mad_u64_u32 v[30:31], s[0:1], v39, v30, 0
	v_addc_co_u32_e32 v42, vcc, 0, v34, vcc
	v_mad_u64_u32 v[33:34], s[0:1], v39, v40, 0
	v_add_co_u32_e32 v30, vcc, v41, v30
	v_addc_co_u32_e32 v30, vcc, v42, v31, vcc
	v_addc_co_u32_e32 v31, vcc, 0, v34, vcc
	v_add_co_u32_e32 v30, vcc, v30, v33
	v_addc_co_u32_e32 v31, vcc, 0, v31, vcc
	v_add_co_u32_e32 v40, vcc, v35, v30
	v_addc_co_u32_e32 v39, vcc, v39, v31, vcc
	v_mul_lo_u32 v33, v36, v39
	v_mul_lo_u32 v34, v38, v40
	v_mad_u64_u32 v[30:31], s[0:1], v36, v40, 0
	v_add3_u32 v31, v31, v33, v34
	v_mad_u64_u32 v[35:36], s[0:1], v40, v31, 0
	v_mul_hi_u32 v38, v40, v30
	v_mad_u64_u32 v[33:34], s[0:1], v39, v31, 0
	v_mad_u64_u32 v[30:31], s[0:1], v39, v30, 0
	v_add_co_u32_e32 v35, vcc, v38, v35
	v_addc_co_u32_e32 v36, vcc, 0, v36, vcc
	v_add_co_u32_e32 v30, vcc, v35, v30
	v_addc_co_u32_e32 v30, vcc, v36, v31, vcc
	v_addc_co_u32_e32 v31, vcc, 0, v34, vcc
	v_add_co_u32_e32 v30, vcc, v30, v33
	v_addc_co_u32_e32 v31, vcc, 0, v31, vcc
	v_add_co_u32_e32 v33, vcc, v40, v30
	v_addc_co_u32_e32 v34, vcc, v39, v31, vcc
	v_ashrrev_i32_e32 v35, 31, v19
	v_add_co_u32_e32 v30, vcc, v18, v35
	v_xor_b32_e32 v36, v30, v35
	v_mad_u64_u32 v[30:31], s[0:1], v36, v34, 0
	v_mul_hi_u32 v38, v36, v33
	v_addc_co_u32_e32 v19, vcc, v19, v35, vcc
	v_xor_b32_e32 v19, v19, v35
	v_add_co_u32_e32 v38, vcc, v38, v30
	v_addc_co_u32_e32 v39, vcc, 0, v31, vcc
	v_mad_u64_u32 v[30:31], s[0:1], v19, v33, 0
	v_mad_u64_u32 v[33:34], s[0:1], v19, v34, 0
	v_add_co_u32_e32 v30, vcc, v38, v30
	v_addc_co_u32_e32 v30, vcc, v39, v31, vcc
	v_addc_co_u32_e32 v31, vcc, 0, v34, vcc
	v_add_co_u32_e32 v33, vcc, v30, v33
	v_addc_co_u32_e32 v34, vcc, 0, v31, vcc
	v_mul_lo_u32 v38, v23, v33
	v_mul_lo_u32 v39, v37, v34
	v_mad_u64_u32 v[30:31], s[0:1], v37, v33, 0
	v_xor_b32_e32 v27, v35, v27
	v_add3_u32 v31, v31, v39, v38
	v_sub_u32_e32 v38, v19, v31
	v_sub_co_u32_e32 v30, vcc, v36, v30
	v_subb_co_u32_e64 v36, s[0:1], v38, v23, vcc
	v_sub_co_u32_e64 v38, s[0:1], v30, v37
	v_subbrev_co_u32_e64 v36, s[0:1], 0, v36, s[0:1]
	v_cmp_ge_u32_e64 s[0:1], v36, v23
	v_cndmask_b32_e64 v39, 0, -1, s[0:1]
	v_cmp_ge_u32_e64 s[0:1], v38, v37
	v_cndmask_b32_e64 v38, 0, -1, s[0:1]
	v_cmp_eq_u32_e64 s[0:1], v36, v23
	v_cndmask_b32_e64 v36, v39, v38, s[0:1]
	v_add_co_u32_e64 v38, s[0:1], 2, v33
	v_subb_co_u32_e32 v19, vcc, v19, v31, vcc
	v_addc_co_u32_e64 v39, s[0:1], 0, v34, s[0:1]
	v_cmp_ge_u32_e32 vcc, v19, v23
	v_add_co_u32_e64 v40, s[0:1], 1, v33
	v_cndmask_b32_e64 v31, 0, -1, vcc
	v_cmp_ge_u32_e32 vcc, v30, v37
	v_addc_co_u32_e64 v41, s[0:1], 0, v34, s[0:1]
	v_cndmask_b32_e64 v30, 0, -1, vcc
	v_cmp_eq_u32_e32 vcc, v19, v23
	v_cmp_ne_u32_e64 s[0:1], 0, v36
	v_cndmask_b32_e32 v19, v31, v30, vcc
	v_cmp_ne_u32_e32 vcc, 0, v19
	v_cndmask_b32_e64 v23, v40, v38, s[0:1]
	v_cndmask_b32_e64 v36, v41, v39, s[0:1]
	v_cndmask_b32_e32 v23, v33, v23, vcc
	v_cndmask_b32_e32 v19, v34, v36, vcc
	v_xor_b32_e32 v23, v23, v27
	v_xor_b32_e32 v19, v19, v27
	v_sub_co_u32_e32 v30, vcc, v23, v27
	v_subb_co_u32_e32 v31, vcc, v19, v27, vcc
.LBB69_41:                              ;   in Loop: Header=BB69_39 Depth=1
	s_andn2_saveexec_b64 s[0:1], s[8:9]
	s_cbranch_execz .LBB69_43
; %bb.42:                               ;   in Loop: Header=BB69_39 Depth=1
	v_cvt_f32_u32_e32 v19, v22
	v_sub_u32_e32 v23, 0, v22
	v_mov_b32_e32 v31, v26
	v_rcp_iflag_f32_e32 v19, v19
	v_mul_f32_e32 v19, 0x4f7ffffe, v19
	v_cvt_u32_f32_e32 v19, v19
	v_mul_lo_u32 v23, v23, v19
	v_mul_hi_u32 v23, v19, v23
	v_add_u32_e32 v19, v19, v23
	v_mul_hi_u32 v19, v18, v19
	v_mul_lo_u32 v23, v19, v22
	v_add_u32_e32 v27, 1, v19
	v_sub_u32_e32 v18, v18, v23
	v_sub_u32_e32 v23, v18, v22
	v_cmp_ge_u32_e32 vcc, v18, v22
	v_cndmask_b32_e32 v18, v18, v23, vcc
	v_cndmask_b32_e32 v19, v19, v27, vcc
	v_add_u32_e32 v23, 1, v19
	v_cmp_ge_u32_e32 vcc, v18, v22
	v_cndmask_b32_e32 v30, v19, v23, vcc
.LBB69_43:                              ;   in Loop: Header=BB69_39 Depth=1
	s_or_b64 exec, exec, s[0:1]
	v_or_b32_e32 v27, v21, v25
	v_cmp_ne_u64_e32 vcc, 0, v[26:27]
                                        ; implicit-def: $vgpr18_vgpr19
	s_and_saveexec_b64 s[0:1], vcc
	s_xor_b64 s[8:9], exec, s[0:1]
	s_cbranch_execz .LBB69_45
; %bb.44:                               ;   in Loop: Header=BB69_39 Depth=1
	v_ashrrev_i32_e32 v27, 31, v25
	v_add_co_u32_e32 v18, vcc, v24, v27
	v_addc_co_u32_e32 v19, vcc, v25, v27, vcc
	v_xor_b32_e32 v33, v19, v27
	v_xor_b32_e32 v34, v18, v27
	v_cvt_f32_u32_e32 v18, v34
	v_cvt_f32_u32_e32 v19, v33
	v_sub_co_u32_e32 v25, vcc, 0, v34
	v_subb_co_u32_e32 v35, vcc, 0, v33, vcc
	v_mac_f32_e32 v18, 0x4f800000, v19
	v_rcp_f32_e32 v18, v18
	v_mul_f32_e32 v18, 0x5f7ffffc, v18
	v_mul_f32_e32 v19, 0x2f800000, v18
	v_trunc_f32_e32 v19, v19
	v_mac_f32_e32 v18, 0xcf800000, v19
	v_cvt_u32_f32_e32 v24, v18
	v_cvt_u32_f32_e32 v36, v19
	v_mul_lo_u32 v22, v35, v24
	v_mad_u64_u32 v[18:19], s[0:1], v25, v24, 0
	v_mul_lo_u32 v23, v25, v36
	v_add3_u32 v37, v19, v23, v22
	v_mad_u64_u32 v[22:23], s[0:1], v24, v37, 0
	v_mul_hi_u32 v19, v24, v18
	v_add_co_u32_e32 v38, vcc, v19, v22
	v_mad_u64_u32 v[18:19], s[0:1], v36, v18, 0
	v_addc_co_u32_e32 v39, vcc, 0, v23, vcc
	v_mad_u64_u32 v[22:23], s[0:1], v36, v37, 0
	v_add_co_u32_e32 v18, vcc, v38, v18
	v_addc_co_u32_e32 v18, vcc, v39, v19, vcc
	v_addc_co_u32_e32 v19, vcc, 0, v23, vcc
	v_add_co_u32_e32 v18, vcc, v18, v22
	v_addc_co_u32_e32 v19, vcc, 0, v19, vcc
	v_add_co_u32_e32 v37, vcc, v24, v18
	v_addc_co_u32_e32 v36, vcc, v36, v19, vcc
	v_mul_lo_u32 v22, v25, v36
	v_mul_lo_u32 v23, v35, v37
	v_mad_u64_u32 v[18:19], s[0:1], v25, v37, 0
	v_add3_u32 v19, v19, v22, v23
	v_mad_u64_u32 v[24:25], s[0:1], v37, v19, 0
	v_mul_hi_u32 v35, v37, v18
	v_mad_u64_u32 v[22:23], s[0:1], v36, v19, 0
	v_mad_u64_u32 v[18:19], s[0:1], v36, v18, 0
	v_add_co_u32_e32 v24, vcc, v35, v24
	v_addc_co_u32_e32 v25, vcc, 0, v25, vcc
	v_add_co_u32_e32 v18, vcc, v24, v18
	v_addc_co_u32_e32 v18, vcc, v25, v19, vcc
	v_addc_co_u32_e32 v19, vcc, 0, v23, vcc
	v_add_co_u32_e32 v18, vcc, v18, v22
	v_addc_co_u32_e32 v19, vcc, 0, v19, vcc
	v_add_co_u32_e32 v22, vcc, v37, v18
	v_addc_co_u32_e32 v23, vcc, v36, v19, vcc
	v_ashrrev_i32_e32 v24, 31, v21
	v_add_co_u32_e32 v18, vcc, v20, v24
	v_xor_b32_e32 v25, v18, v24
	v_addc_co_u32_e32 v20, vcc, v21, v24, vcc
	v_mad_u64_u32 v[18:19], s[0:1], v25, v23, 0
	v_mul_hi_u32 v21, v25, v22
	v_xor_b32_e32 v35, v20, v24
	v_add_co_u32_e32 v36, vcc, v21, v18
	v_addc_co_u32_e32 v37, vcc, 0, v19, vcc
	v_mad_u64_u32 v[18:19], s[0:1], v35, v22, 0
	v_mad_u64_u32 v[20:21], s[0:1], v35, v23, 0
	v_add_co_u32_e32 v18, vcc, v36, v18
	v_addc_co_u32_e32 v18, vcc, v37, v19, vcc
	v_addc_co_u32_e32 v19, vcc, 0, v21, vcc
	v_add_co_u32_e32 v20, vcc, v18, v20
	v_addc_co_u32_e32 v21, vcc, 0, v19, vcc
	v_mul_lo_u32 v22, v33, v20
	v_mul_lo_u32 v23, v34, v21
	v_mad_u64_u32 v[18:19], s[0:1], v34, v20, 0
	v_add3_u32 v19, v19, v23, v22
	v_sub_u32_e32 v22, v35, v19
	v_sub_co_u32_e32 v18, vcc, v25, v18
	v_subb_co_u32_e64 v22, s[0:1], v22, v33, vcc
	v_sub_co_u32_e64 v23, s[0:1], v18, v34
	v_subbrev_co_u32_e64 v22, s[0:1], 0, v22, s[0:1]
	v_cmp_ge_u32_e64 s[0:1], v22, v33
	v_cndmask_b32_e64 v25, 0, -1, s[0:1]
	v_cmp_ge_u32_e64 s[0:1], v23, v34
	v_cndmask_b32_e64 v23, 0, -1, s[0:1]
	v_cmp_eq_u32_e64 s[0:1], v22, v33
	v_cndmask_b32_e64 v22, v25, v23, s[0:1]
	v_add_co_u32_e64 v23, s[0:1], 2, v20
	v_addc_co_u32_e64 v25, s[0:1], 0, v21, s[0:1]
	v_add_co_u32_e64 v36, s[0:1], 1, v20
	v_addc_co_u32_e64 v37, s[0:1], 0, v21, s[0:1]
	v_subb_co_u32_e32 v19, vcc, v35, v19, vcc
	v_cmp_ne_u32_e64 s[0:1], 0, v22
	v_cmp_ge_u32_e32 vcc, v19, v33
	v_cndmask_b32_e64 v22, v37, v25, s[0:1]
	v_cndmask_b32_e64 v25, 0, -1, vcc
	v_cmp_ge_u32_e32 vcc, v18, v34
	v_cndmask_b32_e64 v18, 0, -1, vcc
	v_cmp_eq_u32_e32 vcc, v19, v33
	v_cndmask_b32_e32 v18, v25, v18, vcc
	v_cmp_ne_u32_e32 vcc, 0, v18
	v_cndmask_b32_e64 v19, v36, v23, s[0:1]
	v_cndmask_b32_e32 v18, v21, v22, vcc
	v_cndmask_b32_e32 v19, v20, v19, vcc
	v_xor_b32_e32 v20, v24, v27
	v_xor_b32_e32 v21, v18, v20
	;; [unrolled: 1-line block ×3, first 2 shown]
	v_sub_co_u32_e32 v18, vcc, v18, v20
	v_subb_co_u32_e32 v19, vcc, v21, v20, vcc
                                        ; implicit-def: $vgpr24_vgpr25
                                        ; implicit-def: $vgpr20_vgpr21
.LBB69_45:                              ;   in Loop: Header=BB69_39 Depth=1
	s_andn2_saveexec_b64 s[0:1], s[8:9]
	s_cbranch_execz .LBB69_47
; %bb.46:                               ;   in Loop: Header=BB69_39 Depth=1
	v_cvt_f32_u32_e32 v18, v24
	v_sub_u32_e32 v19, 0, v24
	v_rcp_iflag_f32_e32 v18, v18
	v_mul_f32_e32 v18, 0x4f7ffffe, v18
	v_cvt_u32_f32_e32 v18, v18
	v_mul_lo_u32 v19, v19, v18
	v_mul_hi_u32 v19, v18, v19
	v_add_u32_e32 v18, v18, v19
	v_mul_hi_u32 v18, v20, v18
	v_mul_lo_u32 v19, v18, v24
	v_add_u32_e32 v21, 1, v18
	v_sub_u32_e32 v19, v20, v19
	v_sub_u32_e32 v20, v19, v24
	v_cmp_ge_u32_e32 vcc, v19, v24
	v_cndmask_b32_e32 v19, v19, v20, vcc
	v_cndmask_b32_e32 v18, v18, v21, vcc
	v_add_u32_e32 v20, 1, v18
	v_cmp_ge_u32_e32 vcc, v19, v24
	v_cndmask_b32_e32 v18, v18, v20, vcc
	v_mov_b32_e32 v19, v26
.LBB69_47:                              ;   in Loop: Header=BB69_39 Depth=1
	s_or_b64 exec, exec, s[0:1]
	v_or_b32_e32 v27, v11, v15
	v_cmp_ne_u64_e32 vcc, 0, v[26:27]
                                        ; implicit-def: $vgpr20_vgpr21
	s_and_saveexec_b64 s[0:1], vcc
	s_xor_b64 s[8:9], exec, s[0:1]
	s_cbranch_execz .LBB69_49
; %bb.48:                               ;   in Loop: Header=BB69_39 Depth=1
	v_ashrrev_i32_e32 v25, 31, v15
	v_add_co_u32_e32 v20, vcc, v14, v25
	v_addc_co_u32_e32 v15, vcc, v15, v25, vcc
	v_xor_b32_e32 v15, v15, v25
	v_xor_b32_e32 v27, v20, v25
	v_cvt_f32_u32_e32 v20, v27
	v_cvt_f32_u32_e32 v21, v15
	v_sub_co_u32_e32 v33, vcc, 0, v27
	v_subb_co_u32_e32 v34, vcc, 0, v15, vcc
	v_mac_f32_e32 v20, 0x4f800000, v21
	v_rcp_f32_e32 v20, v20
	v_mul_f32_e32 v20, 0x5f7ffffc, v20
	v_mul_f32_e32 v21, 0x2f800000, v20
	v_trunc_f32_e32 v21, v21
	v_mac_f32_e32 v20, 0xcf800000, v21
	v_cvt_u32_f32_e32 v24, v20
	v_cvt_u32_f32_e32 v35, v21
	v_mul_lo_u32 v22, v34, v24
	v_mad_u64_u32 v[20:21], s[0:1], v33, v24, 0
	v_mul_lo_u32 v23, v33, v35
	v_mul_hi_u32 v36, v24, v20
	v_add3_u32 v23, v21, v23, v22
	v_mad_u64_u32 v[21:22], s[0:1], v24, v23, 0
	v_add_co_u32_e32 v36, vcc, v36, v21
	v_mad_u64_u32 v[20:21], s[0:1], v35, v20, 0
	v_addc_co_u32_e32 v37, vcc, 0, v22, vcc
	v_mad_u64_u32 v[22:23], s[0:1], v35, v23, 0
	v_add_co_u32_e32 v20, vcc, v36, v20
	v_addc_co_u32_e32 v20, vcc, v37, v21, vcc
	v_addc_co_u32_e32 v21, vcc, 0, v23, vcc
	v_add_co_u32_e32 v20, vcc, v20, v22
	v_addc_co_u32_e32 v21, vcc, 0, v21, vcc
	v_add_co_u32_e32 v36, vcc, v24, v20
	v_addc_co_u32_e32 v35, vcc, v35, v21, vcc
	v_mul_lo_u32 v22, v33, v35
	v_mul_lo_u32 v23, v34, v36
	v_mad_u64_u32 v[20:21], s[0:1], v33, v36, 0
	v_add3_u32 v23, v21, v22, v23
	v_mad_u64_u32 v[21:22], s[0:1], v35, v23, 0
	v_mad_u64_u32 v[23:24], s[0:1], v36, v23, 0
	v_mul_hi_u32 v37, v36, v20
	v_mad_u64_u32 v[33:34], s[0:1], v35, v20, 0
	v_add_co_u32_e32 v20, vcc, v37, v23
	v_addc_co_u32_e32 v23, vcc, 0, v24, vcc
	v_add_co_u32_e32 v20, vcc, v20, v33
	v_addc_co_u32_e32 v20, vcc, v23, v34, vcc
	v_addc_co_u32_e32 v22, vcc, 0, v22, vcc
	v_add_co_u32_e32 v20, vcc, v20, v21
	v_addc_co_u32_e32 v21, vcc, 0, v22, vcc
	v_add_co_u32_e32 v22, vcc, v36, v20
	v_addc_co_u32_e32 v23, vcc, v35, v21, vcc
	v_ashrrev_i32_e32 v24, 31, v11
	v_add_co_u32_e32 v20, vcc, v10, v24
	v_xor_b32_e32 v33, v20, v24
	v_mad_u64_u32 v[20:21], s[0:1], v33, v23, 0
	v_mul_hi_u32 v34, v33, v22
	v_addc_co_u32_e32 v11, vcc, v11, v24, vcc
	v_xor_b32_e32 v11, v11, v24
	v_add_co_u32_e32 v34, vcc, v34, v20
	v_addc_co_u32_e32 v35, vcc, 0, v21, vcc
	v_mad_u64_u32 v[20:21], s[0:1], v11, v22, 0
	v_mad_u64_u32 v[22:23], s[0:1], v11, v23, 0
	v_add_co_u32_e32 v20, vcc, v34, v20
	v_addc_co_u32_e32 v20, vcc, v35, v21, vcc
	v_addc_co_u32_e32 v21, vcc, 0, v23, vcc
	v_add_co_u32_e32 v22, vcc, v20, v22
	v_addc_co_u32_e32 v23, vcc, 0, v21, vcc
	v_mul_lo_u32 v34, v15, v22
	v_mul_lo_u32 v35, v27, v23
	v_mad_u64_u32 v[20:21], s[0:1], v27, v22, 0
	v_add3_u32 v21, v21, v35, v34
	v_sub_u32_e32 v34, v11, v21
	v_sub_co_u32_e32 v20, vcc, v33, v20
	v_subb_co_u32_e64 v33, s[0:1], v34, v15, vcc
	v_sub_co_u32_e64 v34, s[0:1], v20, v27
	v_subbrev_co_u32_e64 v33, s[0:1], 0, v33, s[0:1]
	v_cmp_ge_u32_e64 s[0:1], v33, v15
	v_cndmask_b32_e64 v35, 0, -1, s[0:1]
	v_cmp_ge_u32_e64 s[0:1], v34, v27
	v_cndmask_b32_e64 v34, 0, -1, s[0:1]
	v_cmp_eq_u32_e64 s[0:1], v33, v15
	v_cndmask_b32_e64 v33, v35, v34, s[0:1]
	v_add_co_u32_e64 v34, s[0:1], 2, v22
	v_subb_co_u32_e32 v11, vcc, v11, v21, vcc
	v_addc_co_u32_e64 v35, s[0:1], 0, v23, s[0:1]
	v_cmp_ge_u32_e32 vcc, v11, v15
	v_add_co_u32_e64 v36, s[0:1], 1, v22
	v_cndmask_b32_e64 v21, 0, -1, vcc
	v_cmp_ge_u32_e32 vcc, v20, v27
	v_addc_co_u32_e64 v37, s[0:1], 0, v23, s[0:1]
	v_cndmask_b32_e64 v20, 0, -1, vcc
	v_cmp_eq_u32_e32 vcc, v11, v15
	v_cmp_ne_u32_e64 s[0:1], 0, v33
	v_cndmask_b32_e32 v11, v21, v20, vcc
	v_cmp_ne_u32_e32 vcc, 0, v11
	v_cndmask_b32_e64 v15, v36, v34, s[0:1]
	v_cndmask_b32_e64 v33, v37, v35, s[0:1]
	v_cndmask_b32_e32 v15, v22, v15, vcc
	v_xor_b32_e32 v21, v24, v25
	v_cndmask_b32_e32 v11, v23, v33, vcc
	v_xor_b32_e32 v15, v15, v21
	v_xor_b32_e32 v11, v11, v21
	v_sub_co_u32_e32 v20, vcc, v15, v21
	v_subb_co_u32_e32 v21, vcc, v11, v21, vcc
.LBB69_49:                              ;   in Loop: Header=BB69_39 Depth=1
	s_andn2_saveexec_b64 s[0:1], s[8:9]
	s_cbranch_execz .LBB69_51
; %bb.50:                               ;   in Loop: Header=BB69_39 Depth=1
	v_cvt_f32_u32_e32 v11, v14
	v_sub_u32_e32 v15, 0, v14
	v_mov_b32_e32 v21, v26
	v_rcp_iflag_f32_e32 v11, v11
	v_mul_f32_e32 v11, 0x4f7ffffe, v11
	v_cvt_u32_f32_e32 v11, v11
	v_mul_lo_u32 v15, v15, v11
	v_mul_hi_u32 v15, v11, v15
	v_add_u32_e32 v11, v11, v15
	v_mul_hi_u32 v11, v10, v11
	v_mul_lo_u32 v15, v11, v14
	v_add_u32_e32 v20, 1, v11
	v_sub_u32_e32 v10, v10, v15
	v_sub_u32_e32 v15, v10, v14
	v_cmp_ge_u32_e32 vcc, v10, v14
	v_cndmask_b32_e32 v10, v10, v15, vcc
	v_cndmask_b32_e32 v11, v11, v20, vcc
	v_add_u32_e32 v15, 1, v11
	v_cmp_ge_u32_e32 vcc, v10, v14
	v_cndmask_b32_e32 v20, v11, v15, vcc
.LBB69_51:                              ;   in Loop: Header=BB69_39 Depth=1
	s_or_b64 exec, exec, s[0:1]
	v_or_b32_e32 v27, v13, v17
	v_cmp_ne_u64_e32 vcc, 0, v[26:27]
                                        ; implicit-def: $vgpr10_vgpr11
	s_and_saveexec_b64 s[0:1], vcc
	s_xor_b64 s[8:9], exec, s[0:1]
	s_cbranch_execz .LBB69_53
; %bb.52:                               ;   in Loop: Header=BB69_39 Depth=1
	v_ashrrev_i32_e32 v22, 31, v17
	v_add_co_u32_e32 v10, vcc, v16, v22
	v_addc_co_u32_e32 v11, vcc, v17, v22, vcc
	v_xor_b32_e32 v23, v11, v22
	v_xor_b32_e32 v24, v10, v22
	v_cvt_f32_u32_e32 v10, v24
	v_cvt_f32_u32_e32 v11, v23
	v_sub_co_u32_e32 v17, vcc, 0, v24
	v_subb_co_u32_e32 v25, vcc, 0, v23, vcc
	v_mac_f32_e32 v10, 0x4f800000, v11
	v_rcp_f32_e32 v10, v10
	v_mul_f32_e32 v10, 0x5f7ffffc, v10
	v_mul_f32_e32 v11, 0x2f800000, v10
	v_trunc_f32_e32 v11, v11
	v_mac_f32_e32 v10, 0xcf800000, v11
	v_cvt_u32_f32_e32 v16, v10
	v_cvt_u32_f32_e32 v27, v11
	v_mul_lo_u32 v14, v25, v16
	v_mad_u64_u32 v[10:11], s[0:1], v17, v16, 0
	v_mul_lo_u32 v15, v17, v27
	v_add3_u32 v33, v11, v15, v14
	v_mad_u64_u32 v[14:15], s[0:1], v16, v33, 0
	v_mul_hi_u32 v11, v16, v10
	v_add_co_u32_e32 v34, vcc, v11, v14
	v_mad_u64_u32 v[10:11], s[0:1], v27, v10, 0
	v_addc_co_u32_e32 v35, vcc, 0, v15, vcc
	v_mad_u64_u32 v[14:15], s[0:1], v27, v33, 0
	v_add_co_u32_e32 v10, vcc, v34, v10
	v_addc_co_u32_e32 v10, vcc, v35, v11, vcc
	v_addc_co_u32_e32 v11, vcc, 0, v15, vcc
	v_add_co_u32_e32 v10, vcc, v10, v14
	v_addc_co_u32_e32 v11, vcc, 0, v11, vcc
	v_add_co_u32_e32 v33, vcc, v16, v10
	v_addc_co_u32_e32 v27, vcc, v27, v11, vcc
	v_mul_lo_u32 v14, v17, v27
	v_mul_lo_u32 v15, v25, v33
	v_mad_u64_u32 v[10:11], s[0:1], v17, v33, 0
	v_add3_u32 v11, v11, v14, v15
	v_mad_u64_u32 v[16:17], s[0:1], v33, v11, 0
	v_mul_hi_u32 v25, v33, v10
	v_mad_u64_u32 v[14:15], s[0:1], v27, v11, 0
	v_mad_u64_u32 v[10:11], s[0:1], v27, v10, 0
	v_add_co_u32_e32 v16, vcc, v25, v16
	v_addc_co_u32_e32 v17, vcc, 0, v17, vcc
	v_add_co_u32_e32 v10, vcc, v16, v10
	v_addc_co_u32_e32 v10, vcc, v17, v11, vcc
	v_addc_co_u32_e32 v11, vcc, 0, v15, vcc
	v_add_co_u32_e32 v10, vcc, v10, v14
	v_addc_co_u32_e32 v11, vcc, 0, v11, vcc
	v_add_co_u32_e32 v14, vcc, v33, v10
	v_addc_co_u32_e32 v15, vcc, v27, v11, vcc
	v_ashrrev_i32_e32 v16, 31, v13
	v_add_co_u32_e32 v10, vcc, v12, v16
	v_xor_b32_e32 v17, v10, v16
	v_addc_co_u32_e32 v12, vcc, v13, v16, vcc
	v_mad_u64_u32 v[10:11], s[0:1], v17, v15, 0
	v_mul_hi_u32 v13, v17, v14
	v_xor_b32_e32 v25, v12, v16
	v_add_co_u32_e32 v27, vcc, v13, v10
	v_addc_co_u32_e32 v33, vcc, 0, v11, vcc
	v_mad_u64_u32 v[10:11], s[0:1], v25, v14, 0
	v_mad_u64_u32 v[12:13], s[0:1], v25, v15, 0
	v_add_co_u32_e32 v10, vcc, v27, v10
	v_addc_co_u32_e32 v10, vcc, v33, v11, vcc
	v_addc_co_u32_e32 v11, vcc, 0, v13, vcc
	v_add_co_u32_e32 v12, vcc, v10, v12
	v_addc_co_u32_e32 v13, vcc, 0, v11, vcc
	v_mul_lo_u32 v14, v23, v12
	v_mul_lo_u32 v15, v24, v13
	v_mad_u64_u32 v[10:11], s[0:1], v24, v12, 0
	v_add3_u32 v11, v11, v15, v14
	v_sub_u32_e32 v14, v25, v11
	v_sub_co_u32_e32 v10, vcc, v17, v10
	v_subb_co_u32_e64 v14, s[0:1], v14, v23, vcc
	v_sub_co_u32_e64 v15, s[0:1], v10, v24
	v_subbrev_co_u32_e64 v14, s[0:1], 0, v14, s[0:1]
	v_cmp_ge_u32_e64 s[0:1], v14, v23
	v_cndmask_b32_e64 v17, 0, -1, s[0:1]
	v_cmp_ge_u32_e64 s[0:1], v15, v24
	v_cndmask_b32_e64 v15, 0, -1, s[0:1]
	v_cmp_eq_u32_e64 s[0:1], v14, v23
	v_cndmask_b32_e64 v14, v17, v15, s[0:1]
	v_add_co_u32_e64 v15, s[0:1], 2, v12
	v_addc_co_u32_e64 v17, s[0:1], 0, v13, s[0:1]
	v_add_co_u32_e64 v27, s[0:1], 1, v12
	v_addc_co_u32_e64 v33, s[0:1], 0, v13, s[0:1]
	v_subb_co_u32_e32 v11, vcc, v25, v11, vcc
	v_cmp_ne_u32_e64 s[0:1], 0, v14
	v_cmp_ge_u32_e32 vcc, v11, v23
	v_cndmask_b32_e64 v14, v33, v17, s[0:1]
	v_cndmask_b32_e64 v17, 0, -1, vcc
	v_cmp_ge_u32_e32 vcc, v10, v24
	v_cndmask_b32_e64 v10, 0, -1, vcc
	v_cmp_eq_u32_e32 vcc, v11, v23
	v_cndmask_b32_e32 v10, v17, v10, vcc
	v_cmp_ne_u32_e32 vcc, 0, v10
	v_cndmask_b32_e64 v11, v27, v15, s[0:1]
	v_cndmask_b32_e32 v10, v13, v14, vcc
	v_cndmask_b32_e32 v11, v12, v11, vcc
	v_xor_b32_e32 v12, v16, v22
	v_xor_b32_e32 v13, v10, v12
	;; [unrolled: 1-line block ×3, first 2 shown]
	v_sub_co_u32_e32 v10, vcc, v10, v12
	v_subb_co_u32_e32 v11, vcc, v13, v12, vcc
                                        ; implicit-def: $vgpr16_vgpr17
                                        ; implicit-def: $vgpr12_vgpr13
.LBB69_53:                              ;   in Loop: Header=BB69_39 Depth=1
	s_andn2_saveexec_b64 s[0:1], s[8:9]
	s_cbranch_execz .LBB69_38
; %bb.54:                               ;   in Loop: Header=BB69_39 Depth=1
	v_cvt_f32_u32_e32 v10, v16
	v_sub_u32_e32 v11, 0, v16
	v_rcp_iflag_f32_e32 v10, v10
	v_mul_f32_e32 v10, 0x4f7ffffe, v10
	v_cvt_u32_f32_e32 v10, v10
	v_mul_lo_u32 v11, v11, v10
	v_mul_hi_u32 v11, v10, v11
	v_add_u32_e32 v10, v10, v11
	v_mul_hi_u32 v10, v12, v10
	v_mul_lo_u32 v11, v10, v16
	v_add_u32_e32 v13, 1, v10
	v_sub_u32_e32 v11, v12, v11
	v_sub_u32_e32 v12, v11, v16
	v_cmp_ge_u32_e32 vcc, v11, v16
	v_cndmask_b32_e32 v11, v11, v12, vcc
	v_cndmask_b32_e32 v10, v10, v13, vcc
	v_add_u32_e32 v12, 1, v10
	v_cmp_ge_u32_e32 vcc, v11, v16
	v_cndmask_b32_e32 v10, v10, v12, vcc
	v_mov_b32_e32 v11, v26
	s_branch .LBB69_38
.LBB69_55:
	s_endpgm
	.section	.rodata,"a",@progbits
	.p2align	6, 0x0
	.amdhsa_kernel _ZN2at6native12_GLOBAL__N_125multi_tensor_apply_kernelINS1_18TensorListMetadataILi3EEENS1_24PointwiseOpScalarFunctorIlLi3ELi3ELi0EEEJSt7dividesIlElEEEvT_T0_DpT1_
		.amdhsa_group_segment_fixed_size 0
		.amdhsa_private_segment_fixed_size 0
		.amdhsa_kernarg_size 3416
		.amdhsa_user_sgpr_count 6
		.amdhsa_user_sgpr_private_segment_buffer 1
		.amdhsa_user_sgpr_dispatch_ptr 0
		.amdhsa_user_sgpr_queue_ptr 0
		.amdhsa_user_sgpr_kernarg_segment_ptr 1
		.amdhsa_user_sgpr_dispatch_id 0
		.amdhsa_user_sgpr_flat_scratch_init 0
		.amdhsa_user_sgpr_private_segment_size 0
		.amdhsa_uses_dynamic_stack 0
		.amdhsa_system_sgpr_private_segment_wavefront_offset 0
		.amdhsa_system_sgpr_workgroup_id_x 1
		.amdhsa_system_sgpr_workgroup_id_y 0
		.amdhsa_system_sgpr_workgroup_id_z 0
		.amdhsa_system_sgpr_workgroup_info 0
		.amdhsa_system_vgpr_workitem_id 0
		.amdhsa_next_free_vgpr 70
		.amdhsa_next_free_sgpr 32
		.amdhsa_reserve_vcc 1
		.amdhsa_reserve_flat_scratch 0
		.amdhsa_float_round_mode_32 0
		.amdhsa_float_round_mode_16_64 0
		.amdhsa_float_denorm_mode_32 3
		.amdhsa_float_denorm_mode_16_64 3
		.amdhsa_dx10_clamp 1
		.amdhsa_ieee_mode 1
		.amdhsa_fp16_overflow 0
		.amdhsa_exception_fp_ieee_invalid_op 0
		.amdhsa_exception_fp_denorm_src 0
		.amdhsa_exception_fp_ieee_div_zero 0
		.amdhsa_exception_fp_ieee_overflow 0
		.amdhsa_exception_fp_ieee_underflow 0
		.amdhsa_exception_fp_ieee_inexact 0
		.amdhsa_exception_int_div_zero 0
	.end_amdhsa_kernel
	.section	.text._ZN2at6native12_GLOBAL__N_125multi_tensor_apply_kernelINS1_18TensorListMetadataILi3EEENS1_24PointwiseOpScalarFunctorIlLi3ELi3ELi0EEEJSt7dividesIlElEEEvT_T0_DpT1_,"axG",@progbits,_ZN2at6native12_GLOBAL__N_125multi_tensor_apply_kernelINS1_18TensorListMetadataILi3EEENS1_24PointwiseOpScalarFunctorIlLi3ELi3ELi0EEEJSt7dividesIlElEEEvT_T0_DpT1_,comdat
.Lfunc_end69:
	.size	_ZN2at6native12_GLOBAL__N_125multi_tensor_apply_kernelINS1_18TensorListMetadataILi3EEENS1_24PointwiseOpScalarFunctorIlLi3ELi3ELi0EEEJSt7dividesIlElEEEvT_T0_DpT1_, .Lfunc_end69-_ZN2at6native12_GLOBAL__N_125multi_tensor_apply_kernelINS1_18TensorListMetadataILi3EEENS1_24PointwiseOpScalarFunctorIlLi3ELi3ELi0EEEJSt7dividesIlElEEEvT_T0_DpT1_
                                        ; -- End function
	.set _ZN2at6native12_GLOBAL__N_125multi_tensor_apply_kernelINS1_18TensorListMetadataILi3EEENS1_24PointwiseOpScalarFunctorIlLi3ELi3ELi0EEEJSt7dividesIlElEEEvT_T0_DpT1_.num_vgpr, 70
	.set _ZN2at6native12_GLOBAL__N_125multi_tensor_apply_kernelINS1_18TensorListMetadataILi3EEENS1_24PointwiseOpScalarFunctorIlLi3ELi3ELi0EEEJSt7dividesIlElEEEvT_T0_DpT1_.num_agpr, 0
	.set _ZN2at6native12_GLOBAL__N_125multi_tensor_apply_kernelINS1_18TensorListMetadataILi3EEENS1_24PointwiseOpScalarFunctorIlLi3ELi3ELi0EEEJSt7dividesIlElEEEvT_T0_DpT1_.numbered_sgpr, 32
	.set _ZN2at6native12_GLOBAL__N_125multi_tensor_apply_kernelINS1_18TensorListMetadataILi3EEENS1_24PointwiseOpScalarFunctorIlLi3ELi3ELi0EEEJSt7dividesIlElEEEvT_T0_DpT1_.num_named_barrier, 0
	.set _ZN2at6native12_GLOBAL__N_125multi_tensor_apply_kernelINS1_18TensorListMetadataILi3EEENS1_24PointwiseOpScalarFunctorIlLi3ELi3ELi0EEEJSt7dividesIlElEEEvT_T0_DpT1_.private_seg_size, 0
	.set _ZN2at6native12_GLOBAL__N_125multi_tensor_apply_kernelINS1_18TensorListMetadataILi3EEENS1_24PointwiseOpScalarFunctorIlLi3ELi3ELi0EEEJSt7dividesIlElEEEvT_T0_DpT1_.uses_vcc, 1
	.set _ZN2at6native12_GLOBAL__N_125multi_tensor_apply_kernelINS1_18TensorListMetadataILi3EEENS1_24PointwiseOpScalarFunctorIlLi3ELi3ELi0EEEJSt7dividesIlElEEEvT_T0_DpT1_.uses_flat_scratch, 0
	.set _ZN2at6native12_GLOBAL__N_125multi_tensor_apply_kernelINS1_18TensorListMetadataILi3EEENS1_24PointwiseOpScalarFunctorIlLi3ELi3ELi0EEEJSt7dividesIlElEEEvT_T0_DpT1_.has_dyn_sized_stack, 0
	.set _ZN2at6native12_GLOBAL__N_125multi_tensor_apply_kernelINS1_18TensorListMetadataILi3EEENS1_24PointwiseOpScalarFunctorIlLi3ELi3ELi0EEEJSt7dividesIlElEEEvT_T0_DpT1_.has_recursion, 0
	.set _ZN2at6native12_GLOBAL__N_125multi_tensor_apply_kernelINS1_18TensorListMetadataILi3EEENS1_24PointwiseOpScalarFunctorIlLi3ELi3ELi0EEEJSt7dividesIlElEEEvT_T0_DpT1_.has_indirect_call, 0
	.section	.AMDGPU.csdata,"",@progbits
; Kernel info:
; codeLenInByte = 7680
; TotalNumSgprs: 36
; NumVgprs: 70
; ScratchSize: 0
; MemoryBound: 1
; FloatMode: 240
; IeeeMode: 1
; LDSByteSize: 0 bytes/workgroup (compile time only)
; SGPRBlocks: 4
; VGPRBlocks: 17
; NumSGPRsForWavesPerEU: 36
; NumVGPRsForWavesPerEU: 70
; Occupancy: 3
; WaveLimiterHint : 0
; COMPUTE_PGM_RSRC2:SCRATCH_EN: 0
; COMPUTE_PGM_RSRC2:USER_SGPR: 6
; COMPUTE_PGM_RSRC2:TRAP_HANDLER: 0
; COMPUTE_PGM_RSRC2:TGID_X_EN: 1
; COMPUTE_PGM_RSRC2:TGID_Y_EN: 0
; COMPUTE_PGM_RSRC2:TGID_Z_EN: 0
; COMPUTE_PGM_RSRC2:TIDIG_COMP_CNT: 0
	.section	.text._ZN2at6native12_GLOBAL__N_125multi_tensor_apply_kernelINS1_18TensorListMetadataILi3EEENS1_24PointwiseOpScalarFunctorIsLi3ELi3ELi0EEEJSt7dividesIsEsEEEvT_T0_DpT1_,"axG",@progbits,_ZN2at6native12_GLOBAL__N_125multi_tensor_apply_kernelINS1_18TensorListMetadataILi3EEENS1_24PointwiseOpScalarFunctorIsLi3ELi3ELi0EEEJSt7dividesIsEsEEEvT_T0_DpT1_,comdat
	.globl	_ZN2at6native12_GLOBAL__N_125multi_tensor_apply_kernelINS1_18TensorListMetadataILi3EEENS1_24PointwiseOpScalarFunctorIsLi3ELi3ELi0EEEJSt7dividesIsEsEEEvT_T0_DpT1_ ; -- Begin function _ZN2at6native12_GLOBAL__N_125multi_tensor_apply_kernelINS1_18TensorListMetadataILi3EEENS1_24PointwiseOpScalarFunctorIsLi3ELi3ELi0EEEJSt7dividesIsEsEEEvT_T0_DpT1_
	.p2align	8
	.type	_ZN2at6native12_GLOBAL__N_125multi_tensor_apply_kernelINS1_18TensorListMetadataILi3EEENS1_24PointwiseOpScalarFunctorIsLi3ELi3ELi0EEEJSt7dividesIsEsEEEvT_T0_DpT1_,@function
_ZN2at6native12_GLOBAL__N_125multi_tensor_apply_kernelINS1_18TensorListMetadataILi3EEENS1_24PointwiseOpScalarFunctorIsLi3ELi3ELi0EEEJSt7dividesIsEsEEEvT_T0_DpT1_: ; @_ZN2at6native12_GLOBAL__N_125multi_tensor_apply_kernelINS1_18TensorListMetadataILi3EEENS1_24PointwiseOpScalarFunctorIsLi3ELi3ELi0EEEJSt7dividesIsEsEEEvT_T0_DpT1_
; %bb.0:
	v_mov_b32_e32 v1, s6
	global_load_ubyte v1, v1, s[4:5] offset:1536
	s_load_dword s0, s[4:5], 0xc48
	s_mul_i32 s7, s6, 3
	s_mul_hi_u32 s2, s6, 3
	s_mov_b32 s1, 0
	s_mov_b32 s3, s1
	s_waitcnt lgkmcnt(0)
	s_lshr_b32 s33, s0, 16
	s_add_u32 s0, s4, s6
	s_addc_u32 s8, s5, 0
	s_add_u32 s6, s0, s7
	s_addc_u32 s7, s8, s2
	s_load_dword s6, s[6:7], 0x740
	s_waitcnt lgkmcnt(0)
	s_ashr_i32 s7, s6, 31
	s_lshl_b64 s[20:21], s[6:7], 17
	s_waitcnt vmcnt(0)
	v_readfirstlane_b32 s0, v1
	s_lshl_b32 s0, s0, 3
	s_load_dwordx2 s[8:9], s[4:5], s0 offset:0x480
	s_load_dwordx2 s[14:15], s[4:5], s0 offset:0x0
	;; [unrolled: 1-line block ×4, first 2 shown]
	s_waitcnt lgkmcnt(0)
	s_and_b32 s0, s14, 7
	s_add_u32 s2, s16, s20
	s_or_b32 s2, s18, s2
	s_and_b32 s2, s2, 7
	s_cmp_eq_u32 s2, 0
	s_cselect_b64 s[10:11], -1, 0
	s_lshl_b64 s[6:7], s[6:7], 16
	s_sub_u32 s22, s8, s6
	s_subb_u32 s23, s9, s7
	s_and_b32 s2, s8, 3
	s_or_b64 s[0:1], s[0:1], s[2:3]
	s_cmp_eq_u64 s[0:1], 0
	s_cselect_b64 s[0:1], -1, 0
	s_and_b64 s[2:3], s[10:11], s[0:1]
	s_mov_b64 s[0:1], -1
	s_and_b64 vcc, exec, s[2:3]
	s_cbranch_vccnz .LBB70_45
; %bb.1:
	v_cmp_lt_i64_e64 s[0:1], s[22:23], 1
	s_and_b64 vcc, exec, s[0:1]
	s_cbranch_vccnz .LBB70_44
; %bb.2:
	v_mov_b32_e32 v1, 0x10000
	s_load_dword s2, s[4:5], 0xc5c
	v_mov_b32_e32 v2, 0
	v_cmp_lt_i64_e32 vcc, s[22:23], v[1:2]
	v_mov_b32_e32 v18, 0
	s_and_b64 s[0:1], vcc, exec
	v_cmp_lt_u64_e32 vcc, s[22:23], v[1:2]
	s_cselect_b32 s25, s23, 0
	s_cselect_b32 s24, s22, 0x10000
	s_waitcnt lgkmcnt(0)
	s_and_b32 s2, s2, 0xffff
	s_and_b64 s[0:1], vcc, exec
	s_cselect_b32 s27, s23, 0
	s_cselect_b32 s26, s22, 0x10000
	s_lshl_b32 s3, s2, 1
	s_and_b32 s0, 0xffff, s33
	v_lshlrev_b32_e32 v17, 1, v0
	s_cmp_lg_u32 s0, 1
	v_mad_u64_u32 v[5:6], s[0:1], s2, 6, v[17:18]
	v_mov_b32_e32 v2, s15
	v_mov_b32_e32 v4, s17
	v_add_co_u32_e32 v1, vcc, s14, v5
	v_addc_co_u32_e32 v2, vcc, v2, v6, vcc
	v_add_co_u32_e32 v3, vcc, s16, v5
	v_addc_co_u32_e32 v4, vcc, v4, v6, vcc
	v_mov_b32_e32 v7, s19
	v_add_co_u32_e32 v5, vcc, s18, v5
	s_cselect_b64 s[28:29], -1, 0
	s_lshl_b32 s34, s2, 2
	v_addc_co_u32_e32 v6, vcc, v7, v6, vcc
	v_add_co_u32_e32 v11, vcc, s34, v17
	v_addc_co_u32_e64 v12, s[0:1], 0, 0, vcc
	v_mov_b32_e32 v8, s15
	v_add_co_u32_e32 v7, vcc, s14, v11
	v_addc_co_u32_e32 v8, vcc, v8, v12, vcc
	v_mov_b32_e32 v10, s17
	v_add_co_u32_e32 v9, vcc, s16, v11
	v_addc_co_u32_e32 v10, vcc, v10, v12, vcc
	v_mov_b32_e32 v13, s19
	v_add_co_u32_e32 v11, vcc, s18, v11
	v_addc_co_u32_e32 v12, vcc, v13, v12, vcc
	v_mov_b32_e32 v14, s15
	v_add_co_u32_e32 v13, vcc, s14, v17
	v_addc_co_u32_e32 v14, vcc, 0, v14, vcc
	v_mov_b32_e32 v16, s17
	v_add_co_u32_e32 v15, vcc, s16, v17
	v_addc_co_u32_e32 v16, vcc, 0, v16, vcc
	v_mov_b32_e32 v18, s19
	v_add_co_u32_e32 v17, vcc, s18, v17
	v_addc_co_u32_e32 v18, vcc, 0, v18, vcc
	v_add_co_u32_e32 v19, vcc, s2, v0
	v_lshlrev_b32_e32 v25, 1, v19
	v_addc_co_u32_e64 v20, s[0:1], 0, 0, vcc
	v_mov_b32_e32 v22, s15
	v_add_co_u32_e32 v21, vcc, s14, v25
	v_addc_co_u32_e32 v22, vcc, 0, v22, vcc
	v_mov_b32_e32 v24, s17
	v_add_co_u32_e32 v23, vcc, s16, v25
	v_addc_co_u32_e32 v24, vcc, 0, v24, vcc
	v_mov_b32_e32 v26, s19
	v_add_co_u32_e32 v25, vcc, s18, v25
	s_mul_i32 s6, s2, 3
	v_addc_co_u32_e32 v26, vcc, 0, v26, vcc
	v_add_co_u32_e32 v27, vcc, s6, v0
	v_addc_co_u32_e64 v28, s[0:1], 0, 0, vcc
	v_add_co_u32_e32 v29, vcc, s3, v0
	s_lshl_b32 s35, s2, 3
	s_mov_b64 s[30:31], 0
	v_addc_co_u32_e64 v30, s[0:1], 0, 0, vcc
	s_branch .LBB70_4
.LBB70_3:                               ;   in Loop: Header=BB70_4 Depth=1
	s_or_b64 exec, exec, s[0:1]
	v_add_co_u32_e32 v13, vcc, s35, v13
	v_addc_co_u32_e32 v14, vcc, 0, v14, vcc
	v_add_co_u32_e32 v15, vcc, s35, v15
	v_addc_co_u32_e32 v16, vcc, 0, v16, vcc
	;; [unrolled: 2-line block ×10, first 2 shown]
	s_add_u32 s30, s30, s34
	v_add_co_u32_e32 v23, vcc, s35, v23
	v_mov_b32_e32 v32, s25
	s_addc_u32 s31, s31, 0
	v_addc_co_u32_e32 v24, vcc, 0, v24, vcc
	v_mov_b32_e32 v31, s24
	v_cmp_ge_i64_e32 vcc, s[30:31], v[31:32]
	v_add_co_u32_e64 v25, s[0:1], s35, v25
	v_addc_co_u32_e64 v26, s[0:1], 0, v26, s[0:1]
	s_cbranch_vccnz .LBB70_44
.LBB70_4:                               ; =>This Inner Loop Header: Depth=1
	v_mov_b32_e32 v32, s31
	v_add_co_u32_e32 v31, vcc, s30, v0
	v_addc_co_u32_e32 v32, vcc, 0, v32, vcc
	v_cmp_gt_u64_e64 s[0:1], s[26:27], v[31:32]
	v_mov_b32_e32 v35, 0
	v_mov_b32_e32 v38, 0
	;; [unrolled: 1-line block ×3, first 2 shown]
	s_and_saveexec_b64 s[2:3], s[0:1]
	s_cbranch_execz .LBB70_6
; %bb.5:                                ;   in Loop: Header=BB70_4 Depth=1
	v_mov_b32_e32 v31, s21
	v_add_co_u32_e32 v33, vcc, s20, v13
	v_addc_co_u32_e32 v34, vcc, v14, v31, vcc
	v_add_co_u32_e32 v36, vcc, s20, v15
	v_addc_co_u32_e32 v37, vcc, v16, v31, vcc
	global_load_ushort v32, v[33:34], off
	global_load_sshort v38, v[36:37], off
.LBB70_6:                               ;   in Loop: Header=BB70_4 Depth=1
	s_or_b64 exec, exec, s[2:3]
	s_and_saveexec_b64 s[2:3], s[0:1]
	s_cbranch_execz .LBB70_8
; %bb.7:                                ;   in Loop: Header=BB70_4 Depth=1
	v_mov_b32_e32 v31, s21
	v_add_co_u32_e32 v33, vcc, s20, v17
	v_addc_co_u32_e32 v34, vcc, v18, v31, vcc
	global_load_sshort v35, v[33:34], off
.LBB70_8:                               ;   in Loop: Header=BB70_4 Depth=1
	s_or_b64 exec, exec, s[2:3]
	v_mov_b32_e32 v31, s31
	v_add_co_u32_e32 v33, vcc, s30, v19
	v_addc_co_u32_e32 v34, vcc, v20, v31, vcc
	v_cmp_gt_u64_e64 s[2:3], s[26:27], v[33:34]
	v_mov_b32_e32 v31, 0
	v_mov_b32_e32 v36, 0
	;; [unrolled: 1-line block ×3, first 2 shown]
	s_and_saveexec_b64 s[6:7], s[2:3]
	s_cbranch_execz .LBB70_10
; %bb.9:                                ;   in Loop: Header=BB70_4 Depth=1
	v_mov_b32_e32 v31, s21
	v_add_co_u32_e32 v33, vcc, s20, v23
	v_addc_co_u32_e32 v34, vcc, v24, v31, vcc
	v_add_co_u32_e32 v40, vcc, s20, v21
	v_addc_co_u32_e32 v41, vcc, v22, v31, vcc
	global_load_ushort v31, v[40:41], off
	global_load_sshort v39, v[33:34], off
.LBB70_10:                              ;   in Loop: Header=BB70_4 Depth=1
	s_or_b64 exec, exec, s[6:7]
	s_and_saveexec_b64 s[6:7], s[2:3]
	s_cbranch_execz .LBB70_12
; %bb.11:                               ;   in Loop: Header=BB70_4 Depth=1
	v_mov_b32_e32 v34, s21
	v_add_co_u32_e32 v33, vcc, s20, v25
	v_addc_co_u32_e32 v34, vcc, v26, v34, vcc
	global_load_sshort v36, v[33:34], off
.LBB70_12:                              ;   in Loop: Header=BB70_4 Depth=1
	s_or_b64 exec, exec, s[6:7]
	v_mov_b32_e32 v34, s31
	v_add_co_u32_e32 v33, vcc, s30, v29
	v_addc_co_u32_e32 v34, vcc, v30, v34, vcc
	v_cmp_gt_u64_e64 s[6:7], s[26:27], v[33:34]
	v_mov_b32_e32 v33, 0
	v_mov_b32_e32 v37, 0
	;; [unrolled: 1-line block ×3, first 2 shown]
	s_and_saveexec_b64 s[8:9], s[6:7]
	s_cbranch_execz .LBB70_14
; %bb.13:                               ;   in Loop: Header=BB70_4 Depth=1
	v_mov_b32_e32 v33, s21
	v_add_co_u32_e32 v41, vcc, s20, v9
	v_addc_co_u32_e32 v42, vcc, v10, v33, vcc
	v_add_co_u32_e32 v43, vcc, s20, v7
	v_addc_co_u32_e32 v44, vcc, v8, v33, vcc
	global_load_ushort v33, v[43:44], off
	global_load_sshort v40, v[41:42], off
.LBB70_14:                              ;   in Loop: Header=BB70_4 Depth=1
	s_or_b64 exec, exec, s[8:9]
	s_and_saveexec_b64 s[8:9], s[6:7]
	s_cbranch_execz .LBB70_16
; %bb.15:                               ;   in Loop: Header=BB70_4 Depth=1
	v_mov_b32_e32 v34, s21
	v_add_co_u32_e32 v41, vcc, s20, v11
	v_addc_co_u32_e32 v42, vcc, v12, v34, vcc
	global_load_sshort v37, v[41:42], off
.LBB70_16:                              ;   in Loop: Header=BB70_4 Depth=1
	s_or_b64 exec, exec, s[8:9]
	v_mov_b32_e32 v34, s31
	v_add_co_u32_e32 v41, vcc, s30, v27
	v_addc_co_u32_e32 v42, vcc, v28, v34, vcc
	v_cmp_gt_u64_e64 s[8:9], s[26:27], v[41:42]
	v_mov_b32_e32 v34, 0
	v_mov_b32_e32 v41, 0
	v_mov_b32_e32 v42, 0
	s_and_saveexec_b64 s[10:11], s[8:9]
	s_cbranch_execz .LBB70_18
; %bb.17:                               ;   in Loop: Header=BB70_4 Depth=1
	v_mov_b32_e32 v34, s21
	v_add_co_u32_e32 v43, vcc, s20, v3
	v_addc_co_u32_e32 v44, vcc, v4, v34, vcc
	v_add_co_u32_e32 v45, vcc, s20, v1
	v_addc_co_u32_e32 v46, vcc, v2, v34, vcc
	global_load_ushort v34, v[45:46], off
	global_load_sshort v42, v[43:44], off
.LBB70_18:                              ;   in Loop: Header=BB70_4 Depth=1
	s_or_b64 exec, exec, s[10:11]
	s_and_saveexec_b64 s[10:11], s[8:9]
	s_cbranch_execz .LBB70_20
; %bb.19:                               ;   in Loop: Header=BB70_4 Depth=1
	v_mov_b32_e32 v41, s21
	v_add_co_u32_e32 v43, vcc, s20, v5
	v_addc_co_u32_e32 v44, vcc, v6, v41, vcc
	global_load_sshort v41, v[43:44], off
.LBB70_20:                              ;   in Loop: Header=BB70_4 Depth=1
	s_or_b64 exec, exec, s[10:11]
	s_waitcnt vmcnt(0)
	v_cvt_f32_i32_e32 v43, v35
	v_xor_b32_e32 v44, v38, v35
	v_cvt_f32_i32_e32 v38, v38
	v_ashrrev_i32_e32 v44, 30, v44
	v_rcp_iflag_f32_e32 v45, v43
	v_or_b32_e32 v44, 1, v44
	s_mov_b64 s[12:13], -1
	s_and_b64 vcc, exec, s[28:29]
	v_mul_f32_e32 v45, v38, v45
	v_trunc_f32_e32 v45, v45
	v_cvt_i32_f32_e32 v46, v45
	v_mad_f32 v38, -v45, v43, v38
	v_cmp_ge_f32_e64 s[10:11], |v38|, |v43|
	v_cndmask_b32_e64 v38, 0, v44, s[10:11]
	v_add_u32_e32 v38, v46, v38
                                        ; implicit-def: $vgpr35
	s_cbranch_vccz .LBB70_22
; %bb.21:                               ;   in Loop: Header=BB70_4 Depth=1
	v_mad_legacy_u16 v35, s33, v38, v32
	s_mov_b64 s[12:13], 0
.LBB70_22:                              ;   in Loop: Header=BB70_4 Depth=1
	s_andn2_b64 vcc, exec, s[12:13]
	s_cbranch_vccnz .LBB70_24
; %bb.23:                               ;   in Loop: Header=BB70_4 Depth=1
	v_add_u16_e32 v35, v32, v38
.LBB70_24:                              ;   in Loop: Header=BB70_4 Depth=1
	v_cvt_f32_i32_e32 v32, v36
	v_cvt_f32_i32_e32 v38, v39
	v_xor_b32_e32 v36, v39, v36
	v_cndmask_b32_e64 v39, 0, 1, s[28:29]
	v_rcp_iflag_f32_e32 v43, v32
	v_cmp_ne_u32_e64 s[10:11], 1, v39
	v_ashrrev_i32_e32 v36, 30, v36
	v_or_b32_e32 v36, 1, v36
	v_mul_f32_e32 v39, v38, v43
	v_trunc_f32_e32 v39, v39
	v_cvt_i32_f32_e32 v43, v39
	v_mad_f32 v38, -v39, v32, v38
	v_cmp_ge_f32_e64 vcc, |v38|, |v32|
	v_cndmask_b32_e32 v32, 0, v36, vcc
	v_add_u32_e32 v36, v43, v32
	s_andn2_b64 vcc, exec, s[28:29]
	s_mov_b64 s[12:13], -1
                                        ; implicit-def: $vgpr32
	s_cbranch_vccnz .LBB70_26
; %bb.25:                               ;   in Loop: Header=BB70_4 Depth=1
	v_mad_legacy_u16 v32, s33, v36, v31
	s_mov_b64 s[12:13], 0
.LBB70_26:                              ;   in Loop: Header=BB70_4 Depth=1
	s_andn2_b64 vcc, exec, s[12:13]
	s_cbranch_vccnz .LBB70_28
; %bb.27:                               ;   in Loop: Header=BB70_4 Depth=1
	v_add_u16_e32 v32, v31, v36
.LBB70_28:                              ;   in Loop: Header=BB70_4 Depth=1
	v_cvt_f32_i32_e32 v31, v37
	v_xor_b32_e32 v36, v40, v37
	v_cvt_f32_i32_e32 v37, v40
	v_ashrrev_i32_e32 v36, 30, v36
	v_rcp_iflag_f32_e32 v38, v31
	v_or_b32_e32 v36, 1, v36
	s_and_b64 vcc, exec, s[10:11]
	v_mul_f32_e32 v38, v37, v38
	v_trunc_f32_e32 v38, v38
	v_cvt_i32_f32_e32 v39, v38
	v_mad_f32 v37, -v38, v31, v37
	v_cmp_ge_f32_e64 s[12:13], |v37|, |v31|
	v_cndmask_b32_e64 v31, 0, v36, s[12:13]
	v_add_u32_e32 v36, v39, v31
	s_mov_b64 s[12:13], -1
                                        ; implicit-def: $vgpr31
	s_cbranch_vccnz .LBB70_30
; %bb.29:                               ;   in Loop: Header=BB70_4 Depth=1
	v_mad_legacy_u16 v31, s33, v36, v33
	s_mov_b64 s[12:13], 0
.LBB70_30:                              ;   in Loop: Header=BB70_4 Depth=1
	s_andn2_b64 vcc, exec, s[12:13]
	s_cbranch_vccnz .LBB70_32
; %bb.31:                               ;   in Loop: Header=BB70_4 Depth=1
	v_add_u16_e32 v31, v33, v36
.LBB70_32:                              ;   in Loop: Header=BB70_4 Depth=1
	v_cvt_f32_i32_e32 v33, v41
	v_cvt_f32_i32_e32 v37, v42
	v_xor_b32_e32 v36, v42, v41
	v_ashrrev_i32_e32 v36, 30, v36
	v_rcp_iflag_f32_e32 v38, v33
	s_and_b64 vcc, exec, s[10:11]
	v_or_b32_e32 v36, 1, v36
	v_mul_f32_e32 v38, v37, v38
	v_trunc_f32_e32 v38, v38
	v_cvt_i32_f32_e32 v39, v38
	v_mad_f32 v37, -v38, v33, v37
	v_cmp_ge_f32_e64 s[10:11], |v37|, |v33|
	v_cndmask_b32_e64 v33, 0, v36, s[10:11]
	v_add_u32_e32 v36, v39, v33
	s_mov_b64 s[10:11], -1
                                        ; implicit-def: $vgpr33
	s_cbranch_vccz .LBB70_38
; %bb.33:                               ;   in Loop: Header=BB70_4 Depth=1
	s_andn2_b64 vcc, exec, s[10:11]
	s_cbranch_vccz .LBB70_39
.LBB70_34:                              ;   in Loop: Header=BB70_4 Depth=1
	s_and_saveexec_b64 s[10:11], s[0:1]
	s_xor_b64 s[0:1], exec, s[10:11]
	s_cbranch_execnz .LBB70_40
.LBB70_35:                              ;   in Loop: Header=BB70_4 Depth=1
	s_or_b64 exec, exec, s[0:1]
	s_and_saveexec_b64 s[0:1], s[2:3]
	s_cbranch_execnz .LBB70_41
.LBB70_36:                              ;   in Loop: Header=BB70_4 Depth=1
	s_or_b64 exec, exec, s[0:1]
	s_and_saveexec_b64 s[0:1], s[6:7]
	s_cbranch_execnz .LBB70_42
.LBB70_37:                              ;   in Loop: Header=BB70_4 Depth=1
	s_or_b64 exec, exec, s[0:1]
	s_and_saveexec_b64 s[0:1], s[8:9]
	s_cbranch_execz .LBB70_3
	s_branch .LBB70_43
.LBB70_38:                              ;   in Loop: Header=BB70_4 Depth=1
	v_mad_legacy_u16 v33, s33, v36, v34
	s_cbranch_execnz .LBB70_34
.LBB70_39:                              ;   in Loop: Header=BB70_4 Depth=1
	v_add_u16_e32 v33, v34, v36
	s_and_saveexec_b64 s[10:11], s[0:1]
	s_xor_b64 s[0:1], exec, s[10:11]
	s_cbranch_execz .LBB70_35
.LBB70_40:                              ;   in Loop: Header=BB70_4 Depth=1
	v_mov_b32_e32 v34, s21
	v_add_co_u32_e32 v36, vcc, s20, v13
	v_addc_co_u32_e32 v37, vcc, v14, v34, vcc
	global_store_short v[36:37], v35, off
	s_or_b64 exec, exec, s[0:1]
	s_and_saveexec_b64 s[0:1], s[2:3]
	s_cbranch_execz .LBB70_36
.LBB70_41:                              ;   in Loop: Header=BB70_4 Depth=1
	v_mov_b32_e32 v35, s21
	v_add_co_u32_e32 v34, vcc, s20, v21
	v_addc_co_u32_e32 v35, vcc, v22, v35, vcc
	global_store_short v[34:35], v32, off
	s_or_b64 exec, exec, s[0:1]
	s_and_saveexec_b64 s[0:1], s[6:7]
	s_cbranch_execz .LBB70_37
.LBB70_42:                              ;   in Loop: Header=BB70_4 Depth=1
	v_mov_b32_e32 v32, s21
	v_add_co_u32_e32 v34, vcc, s20, v7
	v_addc_co_u32_e32 v35, vcc, v8, v32, vcc
	global_store_short v[34:35], v31, off
	s_or_b64 exec, exec, s[0:1]
	s_and_saveexec_b64 s[0:1], s[8:9]
	s_cbranch_execz .LBB70_3
.LBB70_43:                              ;   in Loop: Header=BB70_4 Depth=1
	v_mov_b32_e32 v32, s21
	v_add_co_u32_e32 v31, vcc, s20, v1
	v_addc_co_u32_e32 v32, vcc, v2, v32, vcc
	global_store_short v[31:32], v33, off
	s_branch .LBB70_3
.LBB70_44:
	s_mov_b64 s[0:1], 0
.LBB70_45:
	s_andn2_b64 vcc, exec, s[0:1]
	s_cbranch_vccnz .LBB70_49
; %bb.46:
	v_mov_b32_e32 v1, 0x10000
	v_mov_b32_e32 v2, 0
	v_cmp_lt_i64_e32 vcc, s[22:23], v[1:2]
	v_mov_b32_e32 v2, 0
	s_and_b64 s[0:1], vcc, exec
	s_cselect_b32 s1, s23, 0
	s_cselect_b32 s0, s22, 0x10000
	v_lshlrev_b32_e32 v1, 2, v0
	v_cmp_gt_i64_e32 vcc, s[0:1], v[1:2]
	s_and_saveexec_b64 s[2:3], vcc
	s_cbranch_execz .LBB70_49
; %bb.47:
	s_load_dword s2, s[4:5], 0xc5c
	v_mov_b32_e32 v1, v2
	v_lshlrev_b32_e32 v2, 3, v0
	v_mov_b32_e32 v3, s21
	v_add_co_u32_e32 v2, vcc, s20, v2
	s_waitcnt lgkmcnt(0)
	s_and_b32 s4, s2, 0xffff
	v_addc_co_u32_e32 v3, vcc, 0, v3, vcc
	s_lshl_b32 s5, s4, 3
	s_mov_b64 s[2:3], 0
	v_mov_b32_e32 v4, s15
	v_mov_b32_e32 v5, s17
	;; [unrolled: 1-line block ×3, first 2 shown]
.LBB70_48:                              ; =>This Inner Loop Header: Depth=1
	v_add_co_u32_e32 v7, vcc, s14, v2
	v_addc_co_u32_e32 v8, vcc, v4, v3, vcc
	v_add_co_u32_e32 v9, vcc, s16, v2
	v_addc_co_u32_e32 v10, vcc, v5, v3, vcc
	;; [unrolled: 2-line block ×3, first 2 shown]
	global_load_dwordx2 v[13:14], v[9:10], off
	global_load_dwordx2 v[15:16], v[11:12], off
	;; [unrolled: 1-line block ×3, first 2 shown]
	v_add_co_u32_e32 v0, vcc, s4, v0
	v_addc_co_u32_e32 v1, vcc, 0, v1, vcc
	v_add_co_u32_e32 v2, vcc, s5, v2
	v_lshlrev_b64 v[9:10], 2, v[0:1]
	v_addc_co_u32_e32 v3, vcc, 0, v3, vcc
	v_cmp_le_i64_e32 vcc, s[0:1], v[9:10]
	s_or_b64 s[2:3], vcc, s[2:3]
	s_waitcnt vmcnt(2)
	v_cvt_f32_i32_sdwa v10, sext(v13) dst_sel:DWORD dst_unused:UNUSED_PAD src0_sel:WORD_0
	s_waitcnt vmcnt(1)
	v_cvt_f32_i32_sdwa v11, sext(v15) dst_sel:DWORD dst_unused:UNUSED_PAD src0_sel:WORD_0
	v_cvt_f32_i32_sdwa v22, sext(v15) dst_sel:DWORD dst_unused:UNUSED_PAD src0_sel:WORD_1
	v_xor_b32_sdwa v9, sext(v13), sext(v15) dst_sel:DWORD dst_unused:UNUSED_PAD src0_sel:WORD_0 src1_sel:WORD_0
	v_xor_b32_sdwa v20, sext(v13), sext(v15) dst_sel:DWORD dst_unused:UNUSED_PAD src0_sel:WORD_1 src1_sel:WORD_1
	v_cvt_f32_i32_sdwa v21, sext(v13) dst_sel:DWORD dst_unused:UNUSED_PAD src0_sel:WORD_1
	v_alignbit_b32 v13, v14, v13, 16
	v_alignbit_b32 v15, v16, v15, 16
	v_xor_b32_sdwa v23, sext(v14), sext(v16) dst_sel:DWORD dst_unused:UNUSED_PAD src0_sel:WORD_1 src1_sel:WORD_1
	v_cvt_f32_i32_sdwa v16, sext(v16) dst_sel:DWORD dst_unused:UNUSED_PAD src0_sel:WORD_1
	v_xor_b32_sdwa v24, sext(v13), sext(v15) dst_sel:DWORD dst_unused:UNUSED_PAD src0_sel:WORD_1 src1_sel:WORD_1
	v_cvt_f32_i32_sdwa v15, sext(v15) dst_sel:DWORD dst_unused:UNUSED_PAD src0_sel:WORD_1
	v_rcp_iflag_f32_e32 v25, v11
	v_rcp_iflag_f32_e32 v26, v22
	v_cvt_f32_i32_sdwa v14, sext(v14) dst_sel:DWORD dst_unused:UNUSED_PAD src0_sel:WORD_1
	v_rcp_iflag_f32_e32 v27, v16
	v_cvt_f32_i32_sdwa v13, sext(v13) dst_sel:DWORD dst_unused:UNUSED_PAD src0_sel:WORD_1
	v_rcp_iflag_f32_e32 v28, v15
	v_mul_f32_e32 v25, v10, v25
	v_mul_f32_e32 v26, v21, v26
	v_mul_f32_e32 v27, v14, v27
	v_trunc_f32_e32 v25, v25
	v_trunc_f32_e32 v26, v26
	v_ashrrev_i32_e32 v9, 30, v9
	v_mul_f32_e32 v28, v13, v28
	v_trunc_f32_e32 v27, v27
	v_mad_f32 v10, -v25, v11, v10
	v_cvt_i32_f32_e32 v25, v25
	v_mad_f32 v21, -v26, v22, v21
	v_cvt_i32_f32_e32 v26, v26
	v_ashrrev_i32_e32 v20, 30, v20
	v_or_b32_e32 v9, 1, v9
	v_trunc_f32_e32 v28, v28
	v_mad_f32 v14, -v27, v16, v14
	v_cvt_i32_f32_e32 v27, v27
	v_cmp_ge_f32_e64 vcc, |v10|, |v11|
	v_ashrrev_i32_e32 v23, 30, v23
	v_or_b32_e32 v20, 1, v20
	v_cndmask_b32_e32 v9, 0, v9, vcc
	v_cmp_ge_f32_e64 vcc, |v21|, |v22|
	v_mad_f32 v11, -v28, v15, v13
	v_cvt_i32_f32_e32 v13, v28
	v_ashrrev_i32_e32 v24, 30, v24
	v_or_b32_e32 v23, 1, v23
	v_cndmask_b32_e32 v10, 0, v20, vcc
	v_cmp_ge_f32_e64 vcc, |v14|, |v16|
	s_waitcnt vmcnt(0)
	v_lshrrev_b32_e32 v12, 16, v17
	v_or_b32_e32 v24, 1, v24
	v_cndmask_b32_e32 v14, 0, v23, vcc
	v_cmp_ge_f32_e64 vcc, |v11|, |v15|
	v_add_u32_e32 v9, v25, v9
	v_add_u32_e32 v10, v26, v10
	v_lshrrev_b32_e32 v19, 16, v18
	v_cndmask_b32_e32 v11, 0, v24, vcc
	v_add_u32_e32 v14, v27, v14
	v_mul_lo_u16_e32 v9, s33, v9
	v_mad_legacy_u16 v10, s33, v10, v12
	v_add_u32_e32 v11, v13, v11
	v_mad_legacy_u16 v12, s33, v14, v19
	v_add_u16_e32 v9, v9, v17
	v_lshlrev_b32_e32 v10, 16, v10
	v_mad_legacy_u16 v11, s33, v11, v18
	v_lshlrev_b32_e32 v12, 16, v12
	v_or_b32_e32 v9, v10, v9
	v_or3_b32 v10, v11, 0, v12
	v_or3_b32 v9, 0, v9, 0
	global_store_dwordx2 v[7:8], v[9:10], off
	s_andn2_b64 exec, exec, s[2:3]
	s_cbranch_execnz .LBB70_48
.LBB70_49:
	s_endpgm
	.section	.rodata,"a",@progbits
	.p2align	6, 0x0
	.amdhsa_kernel _ZN2at6native12_GLOBAL__N_125multi_tensor_apply_kernelINS1_18TensorListMetadataILi3EEENS1_24PointwiseOpScalarFunctorIsLi3ELi3ELi0EEEJSt7dividesIsEsEEEvT_T0_DpT1_
		.amdhsa_group_segment_fixed_size 0
		.amdhsa_private_segment_fixed_size 0
		.amdhsa_kernarg_size 3408
		.amdhsa_user_sgpr_count 6
		.amdhsa_user_sgpr_private_segment_buffer 1
		.amdhsa_user_sgpr_dispatch_ptr 0
		.amdhsa_user_sgpr_queue_ptr 0
		.amdhsa_user_sgpr_kernarg_segment_ptr 1
		.amdhsa_user_sgpr_dispatch_id 0
		.amdhsa_user_sgpr_flat_scratch_init 0
		.amdhsa_user_sgpr_private_segment_size 0
		.amdhsa_uses_dynamic_stack 0
		.amdhsa_system_sgpr_private_segment_wavefront_offset 0
		.amdhsa_system_sgpr_workgroup_id_x 1
		.amdhsa_system_sgpr_workgroup_id_y 0
		.amdhsa_system_sgpr_workgroup_id_z 0
		.amdhsa_system_sgpr_workgroup_info 0
		.amdhsa_system_vgpr_workitem_id 0
		.amdhsa_next_free_vgpr 47
		.amdhsa_next_free_sgpr 36
		.amdhsa_reserve_vcc 1
		.amdhsa_reserve_flat_scratch 0
		.amdhsa_float_round_mode_32 0
		.amdhsa_float_round_mode_16_64 0
		.amdhsa_float_denorm_mode_32 3
		.amdhsa_float_denorm_mode_16_64 3
		.amdhsa_dx10_clamp 1
		.amdhsa_ieee_mode 1
		.amdhsa_fp16_overflow 0
		.amdhsa_exception_fp_ieee_invalid_op 0
		.amdhsa_exception_fp_denorm_src 0
		.amdhsa_exception_fp_ieee_div_zero 0
		.amdhsa_exception_fp_ieee_overflow 0
		.amdhsa_exception_fp_ieee_underflow 0
		.amdhsa_exception_fp_ieee_inexact 0
		.amdhsa_exception_int_div_zero 0
	.end_amdhsa_kernel
	.section	.text._ZN2at6native12_GLOBAL__N_125multi_tensor_apply_kernelINS1_18TensorListMetadataILi3EEENS1_24PointwiseOpScalarFunctorIsLi3ELi3ELi0EEEJSt7dividesIsEsEEEvT_T0_DpT1_,"axG",@progbits,_ZN2at6native12_GLOBAL__N_125multi_tensor_apply_kernelINS1_18TensorListMetadataILi3EEENS1_24PointwiseOpScalarFunctorIsLi3ELi3ELi0EEEJSt7dividesIsEsEEEvT_T0_DpT1_,comdat
.Lfunc_end70:
	.size	_ZN2at6native12_GLOBAL__N_125multi_tensor_apply_kernelINS1_18TensorListMetadataILi3EEENS1_24PointwiseOpScalarFunctorIsLi3ELi3ELi0EEEJSt7dividesIsEsEEEvT_T0_DpT1_, .Lfunc_end70-_ZN2at6native12_GLOBAL__N_125multi_tensor_apply_kernelINS1_18TensorListMetadataILi3EEENS1_24PointwiseOpScalarFunctorIsLi3ELi3ELi0EEEJSt7dividesIsEsEEEvT_T0_DpT1_
                                        ; -- End function
	.set _ZN2at6native12_GLOBAL__N_125multi_tensor_apply_kernelINS1_18TensorListMetadataILi3EEENS1_24PointwiseOpScalarFunctorIsLi3ELi3ELi0EEEJSt7dividesIsEsEEEvT_T0_DpT1_.num_vgpr, 47
	.set _ZN2at6native12_GLOBAL__N_125multi_tensor_apply_kernelINS1_18TensorListMetadataILi3EEENS1_24PointwiseOpScalarFunctorIsLi3ELi3ELi0EEEJSt7dividesIsEsEEEvT_T0_DpT1_.num_agpr, 0
	.set _ZN2at6native12_GLOBAL__N_125multi_tensor_apply_kernelINS1_18TensorListMetadataILi3EEENS1_24PointwiseOpScalarFunctorIsLi3ELi3ELi0EEEJSt7dividesIsEsEEEvT_T0_DpT1_.numbered_sgpr, 36
	.set _ZN2at6native12_GLOBAL__N_125multi_tensor_apply_kernelINS1_18TensorListMetadataILi3EEENS1_24PointwiseOpScalarFunctorIsLi3ELi3ELi0EEEJSt7dividesIsEsEEEvT_T0_DpT1_.num_named_barrier, 0
	.set _ZN2at6native12_GLOBAL__N_125multi_tensor_apply_kernelINS1_18TensorListMetadataILi3EEENS1_24PointwiseOpScalarFunctorIsLi3ELi3ELi0EEEJSt7dividesIsEsEEEvT_T0_DpT1_.private_seg_size, 0
	.set _ZN2at6native12_GLOBAL__N_125multi_tensor_apply_kernelINS1_18TensorListMetadataILi3EEENS1_24PointwiseOpScalarFunctorIsLi3ELi3ELi0EEEJSt7dividesIsEsEEEvT_T0_DpT1_.uses_vcc, 1
	.set _ZN2at6native12_GLOBAL__N_125multi_tensor_apply_kernelINS1_18TensorListMetadataILi3EEENS1_24PointwiseOpScalarFunctorIsLi3ELi3ELi0EEEJSt7dividesIsEsEEEvT_T0_DpT1_.uses_flat_scratch, 0
	.set _ZN2at6native12_GLOBAL__N_125multi_tensor_apply_kernelINS1_18TensorListMetadataILi3EEENS1_24PointwiseOpScalarFunctorIsLi3ELi3ELi0EEEJSt7dividesIsEsEEEvT_T0_DpT1_.has_dyn_sized_stack, 0
	.set _ZN2at6native12_GLOBAL__N_125multi_tensor_apply_kernelINS1_18TensorListMetadataILi3EEENS1_24PointwiseOpScalarFunctorIsLi3ELi3ELi0EEEJSt7dividesIsEsEEEvT_T0_DpT1_.has_recursion, 0
	.set _ZN2at6native12_GLOBAL__N_125multi_tensor_apply_kernelINS1_18TensorListMetadataILi3EEENS1_24PointwiseOpScalarFunctorIsLi3ELi3ELi0EEEJSt7dividesIsEsEEEvT_T0_DpT1_.has_indirect_call, 0
	.section	.AMDGPU.csdata,"",@progbits
; Kernel info:
; codeLenInByte = 2324
; TotalNumSgprs: 40
; NumVgprs: 47
; ScratchSize: 0
; MemoryBound: 0
; FloatMode: 240
; IeeeMode: 1
; LDSByteSize: 0 bytes/workgroup (compile time only)
; SGPRBlocks: 4
; VGPRBlocks: 11
; NumSGPRsForWavesPerEU: 40
; NumVGPRsForWavesPerEU: 47
; Occupancy: 5
; WaveLimiterHint : 0
; COMPUTE_PGM_RSRC2:SCRATCH_EN: 0
; COMPUTE_PGM_RSRC2:USER_SGPR: 6
; COMPUTE_PGM_RSRC2:TRAP_HANDLER: 0
; COMPUTE_PGM_RSRC2:TGID_X_EN: 1
; COMPUTE_PGM_RSRC2:TGID_Y_EN: 0
; COMPUTE_PGM_RSRC2:TGID_Z_EN: 0
; COMPUTE_PGM_RSRC2:TIDIG_COMP_CNT: 0
	.section	.text._ZN2at6native12_GLOBAL__N_125multi_tensor_apply_kernelINS1_18TensorListMetadataILi3EEENS1_24PointwiseOpScalarFunctorIdLi3ELi3ELi0EEEJSt7dividesIdEdEEEvT_T0_DpT1_,"axG",@progbits,_ZN2at6native12_GLOBAL__N_125multi_tensor_apply_kernelINS1_18TensorListMetadataILi3EEENS1_24PointwiseOpScalarFunctorIdLi3ELi3ELi0EEEJSt7dividesIdEdEEEvT_T0_DpT1_,comdat
	.globl	_ZN2at6native12_GLOBAL__N_125multi_tensor_apply_kernelINS1_18TensorListMetadataILi3EEENS1_24PointwiseOpScalarFunctorIdLi3ELi3ELi0EEEJSt7dividesIdEdEEEvT_T0_DpT1_ ; -- Begin function _ZN2at6native12_GLOBAL__N_125multi_tensor_apply_kernelINS1_18TensorListMetadataILi3EEENS1_24PointwiseOpScalarFunctorIdLi3ELi3ELi0EEEJSt7dividesIdEdEEEvT_T0_DpT1_
	.p2align	8
	.type	_ZN2at6native12_GLOBAL__N_125multi_tensor_apply_kernelINS1_18TensorListMetadataILi3EEENS1_24PointwiseOpScalarFunctorIdLi3ELi3ELi0EEEJSt7dividesIdEdEEEvT_T0_DpT1_,@function
_ZN2at6native12_GLOBAL__N_125multi_tensor_apply_kernelINS1_18TensorListMetadataILi3EEENS1_24PointwiseOpScalarFunctorIdLi3ELi3ELi0EEEJSt7dividesIdEdEEEvT_T0_DpT1_: ; @_ZN2at6native12_GLOBAL__N_125multi_tensor_apply_kernelINS1_18TensorListMetadataILi3EEENS1_24PointwiseOpScalarFunctorIdLi3ELi3ELi0EEEJSt7dividesIdEdEEEvT_T0_DpT1_
; %bb.0:
	v_mov_b32_e32 v1, s6
	global_load_ubyte v1, v1, s[4:5] offset:1536
	s_add_u32 s0, s4, s6
	s_mul_hi_u32 s1, s6, 3
	s_mul_i32 s6, s6, 3
	s_addc_u32 s2, s5, 0
	s_add_u32 s0, s0, s6
	s_addc_u32 s1, s2, s1
	s_load_dword s10, s[0:1], 0x740
	s_load_dwordx2 s[12:13], s[4:5], 0xc50
	s_mov_b32 s1, 0
	s_mov_b32 s19, s1
	s_waitcnt lgkmcnt(0)
	s_ashr_i32 s11, s10, 31
	s_lshl_b64 s[16:17], s[10:11], 19
	s_waitcnt vmcnt(0)
	v_readfirstlane_b32 s0, v1
	s_lshl_b32 s0, s0, 3
	s_load_dwordx2 s[8:9], s[4:5], s0 offset:0x0
	s_load_dwordx2 s[20:21], s[4:5], s0 offset:0x480
	;; [unrolled: 1-line block ×4, first 2 shown]
	s_waitcnt lgkmcnt(0)
	s_add_u32 s26, s8, s16
	s_addc_u32 s27, s9, s17
	s_and_b32 s0, s26, 31
	s_add_u32 s28, s6, s16
	s_addc_u32 s29, s7, s17
	s_add_u32 s30, s2, s16
	s_addc_u32 s31, s3, s17
	s_or_b32 s14, s30, s28
	s_and_b32 s14, s14, 31
	s_cmp_eq_u32 s14, 0
	s_cselect_b64 s[22:23], -1, 0
	s_lshl_b64 s[10:11], s[10:11], 16
	s_sub_u32 s14, s20, s10
	s_subb_u32 s15, s21, s11
	s_and_b32 s18, s20, 3
	s_or_b64 s[0:1], s[0:1], s[18:19]
	s_cmp_eq_u64 s[0:1], 0
	s_cselect_b64 s[0:1], -1, 0
	s_and_b64 s[10:11], s[22:23], s[0:1]
	s_mov_b64 s[0:1], -1
	s_and_b64 vcc, exec, s[10:11]
	s_cbranch_vccnz .LBB71_29
; %bb.1:
	v_cmp_lt_i64_e64 s[0:1], s[14:15], 1
	s_and_b64 vcc, exec, s[0:1]
	s_cbranch_vccnz .LBB71_28
; %bb.2:
	v_mov_b32_e32 v1, 0x10000
	s_load_dword s10, s[4:5], 0xc64
	v_mov_b32_e32 v2, 0
	v_cmp_lt_i64_e32 vcc, s[14:15], v[1:2]
	v_mov_b32_e32 v3, 0
	s_and_b64 s[0:1], vcc, exec
	s_cselect_b32 s19, s15, 0
	s_cselect_b32 s18, s14, 0x10000
	v_cmp_lt_u64_e32 vcc, s[14:15], v[1:2]
	s_waitcnt lgkmcnt(0)
	s_and_b32 s10, s10, 0xffff
	v_lshlrev_b32_e32 v2, 3, v0
	v_mad_u64_u32 v[3:4], s[0:1], s10, 24, v[2:3]
	s_and_b64 s[0:1], vcc, exec
	v_mov_b32_e32 v7, s9
	v_add_co_u32_e32 v25, vcc, s8, v3
	v_addc_co_u32_e32 v26, vcc, v7, v4, vcc
	v_mov_b32_e32 v7, s7
	v_add_co_u32_e32 v27, vcc, s6, v3
	v_addc_co_u32_e32 v28, vcc, v7, v4, vcc
	v_mov_b32_e32 v7, s3
	v_add_co_u32_e32 v29, vcc, s2, v3
	s_cselect_b32 s21, s15, 0
	s_cselect_b32 s20, s14, 0x10000
	v_addc_co_u32_e32 v30, vcc, v7, v4, vcc
	s_lshl_b32 s0, s10, 4
	v_add_co_u32_e32 v3, vcc, s0, v2
	v_addc_co_u32_e64 v4, s[0:1], 0, 0, vcc
	v_mov_b32_e32 v7, s9
	v_add_co_u32_e32 v31, vcc, s8, v3
	v_addc_co_u32_e32 v32, vcc, v7, v4, vcc
	v_mov_b32_e32 v7, s7
	v_add_co_u32_e32 v33, vcc, s6, v3
	v_addc_co_u32_e32 v34, vcc, v7, v4, vcc
	;; [unrolled: 3-line block ×6, first 2 shown]
	v_add_co_u32_e32 v43, vcc, s10, v0
	v_lshlrev_b32_e32 v1, 3, v43
	s_lshl_b32 s24, s10, 1
	s_mul_i32 s25, s10, 3
	s_lshl_b32 s33, s10, 2
	s_lshl_b32 s34, s10, 5
	v_addc_co_u32_e64 v44, s[10:11], 0, 0, vcc
	v_mov_b32_e32 v2, s9
	v_add_co_u32_e32 v45, vcc, s8, v1
	v_cmp_eq_f64_e64 s[0:1], s[12:13], 1.0
	v_addc_co_u32_e32 v46, vcc, 0, v2, vcc
	v_mov_b32_e32 v2, s7
	v_add_co_u32_e32 v47, vcc, s6, v1
	v_addc_co_u32_e32 v48, vcc, 0, v2, vcc
	v_mov_b32_e32 v2, s3
	v_add_co_u32_e32 v49, vcc, s2, v1
	v_addc_co_u32_e32 v50, vcc, 0, v2, vcc
	v_add_co_u32_e32 v51, vcc, s25, v0
	v_addc_co_u32_e64 v52, s[2:3], 0, 0, vcc
	v_add_co_u32_e32 v53, vcc, s24, v0
	s_mov_b64 s[22:23], 0
	v_addc_co_u32_e64 v54, s[2:3], 0, 0, vcc
	s_branch .LBB71_4
.LBB71_3:                               ;   in Loop: Header=BB71_4 Depth=1
	s_or_b64 exec, exec, s[2:3]
	v_add_co_u32_e32 v37, vcc, s34, v37
	v_addc_co_u32_e32 v38, vcc, 0, v38, vcc
	v_add_co_u32_e32 v39, vcc, s34, v39
	v_addc_co_u32_e32 v40, vcc, 0, v40, vcc
	;; [unrolled: 2-line block ×10, first 2 shown]
	s_add_u32 s22, s22, s33
	v_add_co_u32_e32 v47, vcc, s34, v47
	s_waitcnt vmcnt(0)
	v_mov_b32_e32 v1, s18
	s_addc_u32 s23, s23, 0
	v_addc_co_u32_e32 v48, vcc, 0, v48, vcc
	v_mov_b32_e32 v2, s19
	v_cmp_lt_i64_e32 vcc, s[22:23], v[1:2]
	v_add_co_u32_e64 v49, s[2:3], s34, v49
	v_addc_co_u32_e64 v50, s[2:3], 0, v50, s[2:3]
	s_cbranch_vccz .LBB71_28
.LBB71_4:                               ; =>This Inner Loop Header: Depth=1
	v_mov_b32_e32 v2, s23
	v_add_co_u32_e32 v1, vcc, s22, v0
	v_addc_co_u32_e32 v2, vcc, 0, v2, vcc
	v_cmp_gt_u64_e32 vcc, s[20:21], v[1:2]
	v_mov_b32_e32 v1, 0
	v_mov_b32_e32 v5, 0
	;; [unrolled: 1-line block ×6, first 2 shown]
	s_and_saveexec_b64 s[6:7], vcc
	s_cbranch_execz .LBB71_6
; %bb.5:                                ;   in Loop: Header=BB71_4 Depth=1
	v_mov_b32_e32 v3, s17
	v_add_co_u32_e64 v7, s[2:3], s16, v37
	v_addc_co_u32_e64 v8, s[2:3], v38, v3, s[2:3]
	v_add_co_u32_e64 v9, s[2:3], s16, v39
	v_addc_co_u32_e64 v10, s[2:3], v40, v3, s[2:3]
	global_load_dwordx2 v[3:4], v[7:8], off
	global_load_dwordx2 v[5:6], v[9:10], off
.LBB71_6:                               ;   in Loop: Header=BB71_4 Depth=1
	s_or_b64 exec, exec, s[6:7]
	s_and_saveexec_b64 s[6:7], vcc
	s_cbranch_execz .LBB71_8
; %bb.7:                                ;   in Loop: Header=BB71_4 Depth=1
	v_mov_b32_e32 v2, s17
	v_add_co_u32_e64 v1, s[2:3], s16, v41
	v_addc_co_u32_e64 v2, s[2:3], v42, v2, s[2:3]
	global_load_dwordx2 v[1:2], v[1:2], off
.LBB71_8:                               ;   in Loop: Header=BB71_4 Depth=1
	s_or_b64 exec, exec, s[6:7]
	v_mov_b32_e32 v8, s23
	v_add_co_u32_e64 v7, s[2:3], s22, v43
	v_addc_co_u32_e64 v8, s[2:3], v44, v8, s[2:3]
	v_cmp_gt_u64_e64 s[2:3], s[20:21], v[7:8]
	v_mov_b32_e32 v7, 0
	v_mov_b32_e32 v11, 0
	;; [unrolled: 1-line block ×6, first 2 shown]
	s_and_saveexec_b64 s[8:9], s[2:3]
	s_cbranch_execz .LBB71_10
; %bb.9:                                ;   in Loop: Header=BB71_4 Depth=1
	v_mov_b32_e32 v9, s17
	v_add_co_u32_e64 v13, s[6:7], s16, v45
	v_addc_co_u32_e64 v14, s[6:7], v46, v9, s[6:7]
	v_add_co_u32_e64 v15, s[6:7], s16, v47
	v_addc_co_u32_e64 v16, s[6:7], v48, v9, s[6:7]
	global_load_dwordx2 v[9:10], v[13:14], off
	global_load_dwordx2 v[11:12], v[15:16], off
.LBB71_10:                              ;   in Loop: Header=BB71_4 Depth=1
	s_or_b64 exec, exec, s[8:9]
	s_and_saveexec_b64 s[8:9], s[2:3]
	s_cbranch_execz .LBB71_12
; %bb.11:                               ;   in Loop: Header=BB71_4 Depth=1
	v_mov_b32_e32 v8, s17
	v_add_co_u32_e64 v7, s[6:7], s16, v49
	v_addc_co_u32_e64 v8, s[6:7], v50, v8, s[6:7]
	global_load_dwordx2 v[7:8], v[7:8], off
.LBB71_12:                              ;   in Loop: Header=BB71_4 Depth=1
	s_or_b64 exec, exec, s[8:9]
	v_mov_b32_e32 v14, s23
	v_add_co_u32_e64 v13, s[6:7], s22, v53
	v_addc_co_u32_e64 v14, s[6:7], v54, v14, s[6:7]
	v_cmp_gt_u64_e64 s[6:7], s[20:21], v[13:14]
	v_mov_b32_e32 v13, 0
	v_mov_b32_e32 v17, 0
	;; [unrolled: 1-line block ×6, first 2 shown]
	s_and_saveexec_b64 s[10:11], s[6:7]
	s_cbranch_execz .LBB71_14
; %bb.13:                               ;   in Loop: Header=BB71_4 Depth=1
	v_mov_b32_e32 v15, s17
	v_add_co_u32_e64 v19, s[8:9], s16, v31
	v_addc_co_u32_e64 v20, s[8:9], v32, v15, s[8:9]
	v_add_co_u32_e64 v21, s[8:9], s16, v33
	v_addc_co_u32_e64 v22, s[8:9], v34, v15, s[8:9]
	global_load_dwordx2 v[15:16], v[19:20], off
	global_load_dwordx2 v[17:18], v[21:22], off
.LBB71_14:                              ;   in Loop: Header=BB71_4 Depth=1
	s_or_b64 exec, exec, s[10:11]
	s_and_saveexec_b64 s[10:11], s[6:7]
	s_cbranch_execz .LBB71_16
; %bb.15:                               ;   in Loop: Header=BB71_4 Depth=1
	v_mov_b32_e32 v14, s17
	v_add_co_u32_e64 v13, s[8:9], s16, v35
	v_addc_co_u32_e64 v14, s[8:9], v36, v14, s[8:9]
	global_load_dwordx2 v[13:14], v[13:14], off
.LBB71_16:                              ;   in Loop: Header=BB71_4 Depth=1
	s_or_b64 exec, exec, s[10:11]
	v_mov_b32_e32 v20, s23
	v_add_co_u32_e64 v19, s[8:9], s22, v51
	v_addc_co_u32_e64 v20, s[8:9], v52, v20, s[8:9]
	v_cmp_gt_u64_e64 s[8:9], s[20:21], v[19:20]
	v_mov_b32_e32 v19, 0
	v_mov_b32_e32 v23, 0
	;; [unrolled: 1-line block ×6, first 2 shown]
	s_and_saveexec_b64 s[24:25], s[8:9]
	s_cbranch_execnz .LBB71_22
; %bb.17:                               ;   in Loop: Header=BB71_4 Depth=1
	s_or_b64 exec, exec, s[24:25]
	s_and_saveexec_b64 s[24:25], s[8:9]
	s_cbranch_execnz .LBB71_23
.LBB71_18:                              ;   in Loop: Header=BB71_4 Depth=1
	s_or_b64 exec, exec, s[24:25]
	s_and_saveexec_b64 s[10:11], vcc
	s_cbranch_execnz .LBB71_24
.LBB71_19:                              ;   in Loop: Header=BB71_4 Depth=1
	s_or_b64 exec, exec, s[10:11]
	s_and_saveexec_b64 s[10:11], s[2:3]
	s_cbranch_execnz .LBB71_25
.LBB71_20:                              ;   in Loop: Header=BB71_4 Depth=1
	s_or_b64 exec, exec, s[10:11]
	s_and_saveexec_b64 s[2:3], s[6:7]
	s_cbranch_execnz .LBB71_26
.LBB71_21:                              ;   in Loop: Header=BB71_4 Depth=1
	s_or_b64 exec, exec, s[2:3]
	s_and_saveexec_b64 s[2:3], s[8:9]
	s_cbranch_execz .LBB71_3
	s_branch .LBB71_27
.LBB71_22:                              ;   in Loop: Header=BB71_4 Depth=1
	v_mov_b32_e32 v21, s17
	v_add_co_u32_e64 v55, s[10:11], s16, v25
	v_addc_co_u32_e64 v56, s[10:11], v26, v21, s[10:11]
	v_add_co_u32_e64 v57, s[10:11], s16, v27
	v_addc_co_u32_e64 v58, s[10:11], v28, v21, s[10:11]
	global_load_dwordx2 v[21:22], v[55:56], off
	global_load_dwordx2 v[23:24], v[57:58], off
	s_or_b64 exec, exec, s[24:25]
	s_and_saveexec_b64 s[24:25], s[8:9]
	s_cbranch_execz .LBB71_18
.LBB71_23:                              ;   in Loop: Header=BB71_4 Depth=1
	v_mov_b32_e32 v20, s17
	v_add_co_u32_e64 v19, s[10:11], s16, v29
	v_addc_co_u32_e64 v20, s[10:11], v30, v20, s[10:11]
	global_load_dwordx2 v[19:20], v[19:20], off
	s_or_b64 exec, exec, s[24:25]
	s_and_saveexec_b64 s[10:11], vcc
	s_cbranch_execz .LBB71_19
.LBB71_24:                              ;   in Loop: Header=BB71_4 Depth=1
	s_waitcnt vmcnt(0)
	v_div_scale_f64 v[55:56], s[24:25], v[1:2], v[1:2], v[5:6]
	v_rcp_f64_e32 v[57:58], v[55:56]
	v_fma_f64 v[59:60], -v[55:56], v[57:58], 1.0
	v_fma_f64 v[57:58], v[57:58], v[59:60], v[57:58]
	v_div_scale_f64 v[59:60], vcc, v[5:6], v[1:2], v[5:6]
	v_fma_f64 v[61:62], -v[55:56], v[57:58], 1.0
	v_fma_f64 v[57:58], v[57:58], v[61:62], v[57:58]
	v_mul_f64 v[61:62], v[59:60], v[57:58]
	v_fma_f64 v[55:56], -v[55:56], v[61:62], v[59:60]
	v_div_fmas_f64 v[55:56], v[55:56], v[57:58], v[61:62]
	v_div_fixup_f64 v[1:2], v[55:56], v[1:2], v[5:6]
	v_add_f64 v[5:6], v[3:4], v[1:2]
	v_fma_f64 v[1:2], s[12:13], v[1:2], v[3:4]
	v_mov_b32_e32 v4, s17
	v_add_co_u32_e32 v3, vcc, s16, v37
	v_addc_co_u32_e32 v4, vcc, v38, v4, vcc
	v_cndmask_b32_e64 v2, v2, v6, s[0:1]
	v_cndmask_b32_e64 v1, v1, v5, s[0:1]
	global_store_dwordx2 v[3:4], v[1:2], off
	s_or_b64 exec, exec, s[10:11]
	s_and_saveexec_b64 s[10:11], s[2:3]
	s_cbranch_execz .LBB71_20
.LBB71_25:                              ;   in Loop: Header=BB71_4 Depth=1
	s_waitcnt vmcnt(0)
	v_div_scale_f64 v[1:2], s[2:3], v[7:8], v[7:8], v[11:12]
	v_rcp_f64_e32 v[3:4], v[1:2]
	v_fma_f64 v[5:6], -v[1:2], v[3:4], 1.0
	v_fma_f64 v[3:4], v[3:4], v[5:6], v[3:4]
	v_div_scale_f64 v[5:6], vcc, v[11:12], v[7:8], v[11:12]
	v_fma_f64 v[55:56], -v[1:2], v[3:4], 1.0
	v_fma_f64 v[3:4], v[3:4], v[55:56], v[3:4]
	v_mul_f64 v[55:56], v[5:6], v[3:4]
	v_fma_f64 v[1:2], -v[1:2], v[55:56], v[5:6]
	v_mov_b32_e32 v5, s17
	v_div_fmas_f64 v[1:2], v[1:2], v[3:4], v[55:56]
	v_div_fixup_f64 v[1:2], v[1:2], v[7:8], v[11:12]
	v_add_f64 v[3:4], v[9:10], v[1:2]
	v_fma_f64 v[1:2], s[12:13], v[1:2], v[9:10]
	v_cndmask_b32_e64 v1, v1, v3, s[0:1]
	v_add_co_u32_e32 v3, vcc, s16, v45
	v_cndmask_b32_e64 v2, v2, v4, s[0:1]
	v_addc_co_u32_e32 v4, vcc, v46, v5, vcc
	global_store_dwordx2 v[3:4], v[1:2], off
	s_or_b64 exec, exec, s[10:11]
	s_and_saveexec_b64 s[2:3], s[6:7]
	s_cbranch_execz .LBB71_21
.LBB71_26:                              ;   in Loop: Header=BB71_4 Depth=1
	s_waitcnt vmcnt(0)
	v_div_scale_f64 v[1:2], s[6:7], v[13:14], v[13:14], v[17:18]
	v_rcp_f64_e32 v[3:4], v[1:2]
	v_fma_f64 v[5:6], -v[1:2], v[3:4], 1.0
	v_fma_f64 v[3:4], v[3:4], v[5:6], v[3:4]
	v_div_scale_f64 v[5:6], vcc, v[17:18], v[13:14], v[17:18]
	v_fma_f64 v[7:8], -v[1:2], v[3:4], 1.0
	v_fma_f64 v[3:4], v[3:4], v[7:8], v[3:4]
	v_mul_f64 v[7:8], v[5:6], v[3:4]
	v_fma_f64 v[1:2], -v[1:2], v[7:8], v[5:6]
	v_mov_b32_e32 v5, s17
	v_div_fmas_f64 v[1:2], v[1:2], v[3:4], v[7:8]
	v_div_fixup_f64 v[1:2], v[1:2], v[13:14], v[17:18]
	v_add_f64 v[3:4], v[15:16], v[1:2]
	v_fma_f64 v[1:2], s[12:13], v[1:2], v[15:16]
	v_cndmask_b32_e64 v1, v1, v3, s[0:1]
	v_add_co_u32_e32 v3, vcc, s16, v31
	v_cndmask_b32_e64 v2, v2, v4, s[0:1]
	v_addc_co_u32_e32 v4, vcc, v32, v5, vcc
	global_store_dwordx2 v[3:4], v[1:2], off
	s_or_b64 exec, exec, s[2:3]
	s_and_saveexec_b64 s[2:3], s[8:9]
	s_cbranch_execz .LBB71_3
.LBB71_27:                              ;   in Loop: Header=BB71_4 Depth=1
	s_waitcnt vmcnt(0)
	v_div_scale_f64 v[1:2], s[6:7], v[19:20], v[19:20], v[23:24]
	v_rcp_f64_e32 v[3:4], v[1:2]
	v_fma_f64 v[5:6], -v[1:2], v[3:4], 1.0
	v_fma_f64 v[3:4], v[3:4], v[5:6], v[3:4]
	v_div_scale_f64 v[5:6], vcc, v[23:24], v[19:20], v[23:24]
	v_fma_f64 v[7:8], -v[1:2], v[3:4], 1.0
	v_fma_f64 v[3:4], v[3:4], v[7:8], v[3:4]
	v_mul_f64 v[7:8], v[5:6], v[3:4]
	v_fma_f64 v[1:2], -v[1:2], v[7:8], v[5:6]
	v_mov_b32_e32 v5, s17
	v_div_fmas_f64 v[1:2], v[1:2], v[3:4], v[7:8]
	v_div_fixup_f64 v[1:2], v[1:2], v[19:20], v[23:24]
	v_add_f64 v[3:4], v[21:22], v[1:2]
	v_fma_f64 v[1:2], s[12:13], v[1:2], v[21:22]
	v_cndmask_b32_e64 v1, v1, v3, s[0:1]
	v_add_co_u32_e32 v3, vcc, s16, v25
	v_cndmask_b32_e64 v2, v2, v4, s[0:1]
	v_addc_co_u32_e32 v4, vcc, v26, v5, vcc
	global_store_dwordx2 v[3:4], v[1:2], off
	s_branch .LBB71_3
.LBB71_28:
	s_mov_b64 s[0:1], 0
.LBB71_29:
	s_andn2_b64 vcc, exec, s[0:1]
	s_cbranch_vccnz .LBB71_33
; %bb.30:
	v_mov_b32_e32 v1, 0x10000
	v_mov_b32_e32 v2, 0
	v_cmp_lt_i64_e32 vcc, s[14:15], v[1:2]
	v_mov_b32_e32 v2, 0
	s_and_b64 s[0:1], vcc, exec
	s_cselect_b32 s9, s15, 0
	s_cselect_b32 s8, s14, 0x10000
	v_lshlrev_b32_e32 v1, 2, v0
	v_cmp_gt_i64_e32 vcc, s[8:9], v[1:2]
	s_and_saveexec_b64 s[0:1], vcc
	s_cbranch_execz .LBB71_33
; %bb.31:
	v_cmp_eq_f64_e64 s[0:1], s[12:13], 1.0
	s_load_dword s2, s[4:5], 0xc64
	v_mov_b32_e32 v1, v2
	v_lshlrev_b32_e32 v2, 5, v0
	s_mov_b64 s[10:11], 0
	s_waitcnt lgkmcnt(0)
	s_and_b32 s14, s2, 0xffff
	s_lshl_b32 s15, s14, 5
.LBB71_32:                              ; =>This Inner Loop Header: Depth=1
	v_mov_b32_e32 v4, s31
	v_add_co_u32_e32 v19, vcc, s30, v2
	v_mov_b32_e32 v3, s29
	v_add_co_u32_e64 v21, s[2:3], s28, v2
	v_addc_co_u32_e32 v20, vcc, 0, v4, vcc
	v_addc_co_u32_e64 v22, s[2:3], 0, v3, s[2:3]
	global_load_dwordx4 v[3:6], v[19:20], off
	global_load_dwordx4 v[7:10], v[21:22], off
	global_load_dwordx4 v[11:14], v[21:22], off offset:16
	global_load_dwordx4 v[15:18], v[19:20], off offset:16
	v_add_co_u32_e32 v0, vcc, s14, v0
	v_addc_co_u32_e32 v1, vcc, 0, v1, vcc
	v_mov_b32_e32 v19, s27
	v_add_co_u32_e32 v27, vcc, s26, v2
	v_addc_co_u32_e32 v28, vcc, 0, v19, vcc
	global_load_dwordx4 v[19:22], v[27:28], off
	global_load_dwordx4 v[23:26], v[27:28], off offset:16
	s_add_u32 s30, s30, s15
	s_addc_u32 s31, s31, 0
	v_lshlrev_b64 v[37:38], 2, v[0:1]
	s_add_u32 s26, s26, s15
	s_addc_u32 s27, s27, 0
	s_add_u32 s28, s28, s15
	s_addc_u32 s29, s29, 0
	s_waitcnt vmcnt(4)
	v_div_scale_f64 v[29:30], s[2:3], v[3:4], v[3:4], v[7:8]
	v_div_scale_f64 v[31:32], s[2:3], v[5:6], v[5:6], v[9:10]
	s_waitcnt vmcnt(2)
	v_div_scale_f64 v[33:34], s[2:3], v[15:16], v[15:16], v[11:12]
	v_div_scale_f64 v[35:36], s[2:3], v[17:18], v[17:18], v[13:14]
	v_div_scale_f64 v[39:40], vcc, v[7:8], v[3:4], v[7:8]
	v_div_scale_f64 v[49:50], s[2:3], v[9:10], v[5:6], v[9:10]
	v_div_scale_f64 v[51:52], s[4:5], v[11:12], v[15:16], v[11:12]
	v_div_scale_f64 v[53:54], s[6:7], v[13:14], v[17:18], v[13:14]
	v_rcp_f64_e32 v[41:42], v[29:30]
	v_rcp_f64_e32 v[43:44], v[31:32]
	;; [unrolled: 1-line block ×4, first 2 shown]
	v_fma_f64 v[55:56], -v[29:30], v[41:42], 1.0
	v_fma_f64 v[57:58], -v[31:32], v[43:44], 1.0
	;; [unrolled: 1-line block ×4, first 2 shown]
	v_fma_f64 v[41:42], v[41:42], v[55:56], v[41:42]
	v_fma_f64 v[43:44], v[43:44], v[57:58], v[43:44]
	;; [unrolled: 1-line block ×4, first 2 shown]
	v_fma_f64 v[55:56], -v[29:30], v[41:42], 1.0
	v_fma_f64 v[57:58], -v[31:32], v[43:44], 1.0
	;; [unrolled: 1-line block ×4, first 2 shown]
	v_fma_f64 v[41:42], v[41:42], v[55:56], v[41:42]
	v_fma_f64 v[43:44], v[43:44], v[57:58], v[43:44]
	;; [unrolled: 1-line block ×4, first 2 shown]
	v_mul_f64 v[55:56], v[39:40], v[41:42]
	v_mul_f64 v[57:58], v[49:50], v[43:44]
	;; [unrolled: 1-line block ×4, first 2 shown]
	v_fma_f64 v[29:30], -v[29:30], v[55:56], v[39:40]
	v_fma_f64 v[31:32], -v[31:32], v[57:58], v[49:50]
	;; [unrolled: 1-line block ×4, first 2 shown]
	v_div_fmas_f64 v[29:30], v[29:30], v[41:42], v[55:56]
	s_mov_b64 vcc, s[2:3]
	v_div_fmas_f64 v[31:32], v[31:32], v[43:44], v[57:58]
	s_mov_b64 vcc, s[4:5]
	;; [unrolled: 2-line block ×3, first 2 shown]
	v_div_fmas_f64 v[35:36], v[35:36], v[47:48], v[61:62]
	v_cmp_le_i64_e32 vcc, s[8:9], v[37:38]
	s_or_b64 s[10:11], vcc, s[10:11]
	v_div_fixup_f64 v[3:4], v[29:30], v[3:4], v[7:8]
	v_div_fixup_f64 v[5:6], v[31:32], v[5:6], v[9:10]
	;; [unrolled: 1-line block ×4, first 2 shown]
	s_waitcnt vmcnt(1)
	v_add_f64 v[11:12], v[19:20], v[3:4]
	v_fma_f64 v[3:4], s[12:13], v[3:4], v[19:20]
	v_add_f64 v[13:14], v[21:22], v[5:6]
	v_fma_f64 v[5:6], s[12:13], v[5:6], v[21:22]
	s_waitcnt vmcnt(0)
	v_add_f64 v[15:16], v[23:24], v[7:8]
	v_fma_f64 v[7:8], s[12:13], v[7:8], v[23:24]
	v_add_f64 v[17:18], v[25:26], v[9:10]
	v_fma_f64 v[9:10], s[12:13], v[9:10], v[25:26]
	v_cndmask_b32_e64 v4, v4, v12, s[0:1]
	v_cndmask_b32_e64 v3, v3, v11, s[0:1]
	;; [unrolled: 1-line block ×8, first 2 shown]
	global_store_dwordx4 v[27:28], v[3:6], off
	global_store_dwordx4 v[27:28], v[7:10], off offset:16
	s_andn2_b64 exec, exec, s[10:11]
	s_cbranch_execnz .LBB71_32
.LBB71_33:
	s_endpgm
	.section	.rodata,"a",@progbits
	.p2align	6, 0x0
	.amdhsa_kernel _ZN2at6native12_GLOBAL__N_125multi_tensor_apply_kernelINS1_18TensorListMetadataILi3EEENS1_24PointwiseOpScalarFunctorIdLi3ELi3ELi0EEEJSt7dividesIdEdEEEvT_T0_DpT1_
		.amdhsa_group_segment_fixed_size 0
		.amdhsa_private_segment_fixed_size 0
		.amdhsa_kernarg_size 3416
		.amdhsa_user_sgpr_count 6
		.amdhsa_user_sgpr_private_segment_buffer 1
		.amdhsa_user_sgpr_dispatch_ptr 0
		.amdhsa_user_sgpr_queue_ptr 0
		.amdhsa_user_sgpr_kernarg_segment_ptr 1
		.amdhsa_user_sgpr_dispatch_id 0
		.amdhsa_user_sgpr_flat_scratch_init 0
		.amdhsa_user_sgpr_private_segment_size 0
		.amdhsa_uses_dynamic_stack 0
		.amdhsa_system_sgpr_private_segment_wavefront_offset 0
		.amdhsa_system_sgpr_workgroup_id_x 1
		.amdhsa_system_sgpr_workgroup_id_y 0
		.amdhsa_system_sgpr_workgroup_id_z 0
		.amdhsa_system_sgpr_workgroup_info 0
		.amdhsa_system_vgpr_workitem_id 0
		.amdhsa_next_free_vgpr 63
		.amdhsa_next_free_sgpr 35
		.amdhsa_reserve_vcc 1
		.amdhsa_reserve_flat_scratch 0
		.amdhsa_float_round_mode_32 0
		.amdhsa_float_round_mode_16_64 0
		.amdhsa_float_denorm_mode_32 3
		.amdhsa_float_denorm_mode_16_64 3
		.amdhsa_dx10_clamp 1
		.amdhsa_ieee_mode 1
		.amdhsa_fp16_overflow 0
		.amdhsa_exception_fp_ieee_invalid_op 0
		.amdhsa_exception_fp_denorm_src 0
		.amdhsa_exception_fp_ieee_div_zero 0
		.amdhsa_exception_fp_ieee_overflow 0
		.amdhsa_exception_fp_ieee_underflow 0
		.amdhsa_exception_fp_ieee_inexact 0
		.amdhsa_exception_int_div_zero 0
	.end_amdhsa_kernel
	.section	.text._ZN2at6native12_GLOBAL__N_125multi_tensor_apply_kernelINS1_18TensorListMetadataILi3EEENS1_24PointwiseOpScalarFunctorIdLi3ELi3ELi0EEEJSt7dividesIdEdEEEvT_T0_DpT1_,"axG",@progbits,_ZN2at6native12_GLOBAL__N_125multi_tensor_apply_kernelINS1_18TensorListMetadataILi3EEENS1_24PointwiseOpScalarFunctorIdLi3ELi3ELi0EEEJSt7dividesIdEdEEEvT_T0_DpT1_,comdat
.Lfunc_end71:
	.size	_ZN2at6native12_GLOBAL__N_125multi_tensor_apply_kernelINS1_18TensorListMetadataILi3EEENS1_24PointwiseOpScalarFunctorIdLi3ELi3ELi0EEEJSt7dividesIdEdEEEvT_T0_DpT1_, .Lfunc_end71-_ZN2at6native12_GLOBAL__N_125multi_tensor_apply_kernelINS1_18TensorListMetadataILi3EEENS1_24PointwiseOpScalarFunctorIdLi3ELi3ELi0EEEJSt7dividesIdEdEEEvT_T0_DpT1_
                                        ; -- End function
	.set _ZN2at6native12_GLOBAL__N_125multi_tensor_apply_kernelINS1_18TensorListMetadataILi3EEENS1_24PointwiseOpScalarFunctorIdLi3ELi3ELi0EEEJSt7dividesIdEdEEEvT_T0_DpT1_.num_vgpr, 63
	.set _ZN2at6native12_GLOBAL__N_125multi_tensor_apply_kernelINS1_18TensorListMetadataILi3EEENS1_24PointwiseOpScalarFunctorIdLi3ELi3ELi0EEEJSt7dividesIdEdEEEvT_T0_DpT1_.num_agpr, 0
	.set _ZN2at6native12_GLOBAL__N_125multi_tensor_apply_kernelINS1_18TensorListMetadataILi3EEENS1_24PointwiseOpScalarFunctorIdLi3ELi3ELi0EEEJSt7dividesIdEdEEEvT_T0_DpT1_.numbered_sgpr, 35
	.set _ZN2at6native12_GLOBAL__N_125multi_tensor_apply_kernelINS1_18TensorListMetadataILi3EEENS1_24PointwiseOpScalarFunctorIdLi3ELi3ELi0EEEJSt7dividesIdEdEEEvT_T0_DpT1_.num_named_barrier, 0
	.set _ZN2at6native12_GLOBAL__N_125multi_tensor_apply_kernelINS1_18TensorListMetadataILi3EEENS1_24PointwiseOpScalarFunctorIdLi3ELi3ELi0EEEJSt7dividesIdEdEEEvT_T0_DpT1_.private_seg_size, 0
	.set _ZN2at6native12_GLOBAL__N_125multi_tensor_apply_kernelINS1_18TensorListMetadataILi3EEENS1_24PointwiseOpScalarFunctorIdLi3ELi3ELi0EEEJSt7dividesIdEdEEEvT_T0_DpT1_.uses_vcc, 1
	.set _ZN2at6native12_GLOBAL__N_125multi_tensor_apply_kernelINS1_18TensorListMetadataILi3EEENS1_24PointwiseOpScalarFunctorIdLi3ELi3ELi0EEEJSt7dividesIdEdEEEvT_T0_DpT1_.uses_flat_scratch, 0
	.set _ZN2at6native12_GLOBAL__N_125multi_tensor_apply_kernelINS1_18TensorListMetadataILi3EEENS1_24PointwiseOpScalarFunctorIdLi3ELi3ELi0EEEJSt7dividesIdEdEEEvT_T0_DpT1_.has_dyn_sized_stack, 0
	.set _ZN2at6native12_GLOBAL__N_125multi_tensor_apply_kernelINS1_18TensorListMetadataILi3EEENS1_24PointwiseOpScalarFunctorIdLi3ELi3ELi0EEEJSt7dividesIdEdEEEvT_T0_DpT1_.has_recursion, 0
	.set _ZN2at6native12_GLOBAL__N_125multi_tensor_apply_kernelINS1_18TensorListMetadataILi3EEENS1_24PointwiseOpScalarFunctorIdLi3ELi3ELi0EEEJSt7dividesIdEdEEEvT_T0_DpT1_.has_indirect_call, 0
	.section	.AMDGPU.csdata,"",@progbits
; Kernel info:
; codeLenInByte = 2732
; TotalNumSgprs: 39
; NumVgprs: 63
; ScratchSize: 0
; MemoryBound: 0
; FloatMode: 240
; IeeeMode: 1
; LDSByteSize: 0 bytes/workgroup (compile time only)
; SGPRBlocks: 4
; VGPRBlocks: 15
; NumSGPRsForWavesPerEU: 39
; NumVGPRsForWavesPerEU: 63
; Occupancy: 4
; WaveLimiterHint : 0
; COMPUTE_PGM_RSRC2:SCRATCH_EN: 0
; COMPUTE_PGM_RSRC2:USER_SGPR: 6
; COMPUTE_PGM_RSRC2:TRAP_HANDLER: 0
; COMPUTE_PGM_RSRC2:TGID_X_EN: 1
; COMPUTE_PGM_RSRC2:TGID_Y_EN: 0
; COMPUTE_PGM_RSRC2:TGID_Z_EN: 0
; COMPUTE_PGM_RSRC2:TIDIG_COMP_CNT: 0
	.section	.text._ZN2at6native12_GLOBAL__N_125multi_tensor_apply_kernelINS1_18TensorListMetadataILi3EEENS1_24PointwiseOpScalarFunctorIfLi3ELi3ELi0EEEJSt7dividesIfEfEEEvT_T0_DpT1_,"axG",@progbits,_ZN2at6native12_GLOBAL__N_125multi_tensor_apply_kernelINS1_18TensorListMetadataILi3EEENS1_24PointwiseOpScalarFunctorIfLi3ELi3ELi0EEEJSt7dividesIfEfEEEvT_T0_DpT1_,comdat
	.globl	_ZN2at6native12_GLOBAL__N_125multi_tensor_apply_kernelINS1_18TensorListMetadataILi3EEENS1_24PointwiseOpScalarFunctorIfLi3ELi3ELi0EEEJSt7dividesIfEfEEEvT_T0_DpT1_ ; -- Begin function _ZN2at6native12_GLOBAL__N_125multi_tensor_apply_kernelINS1_18TensorListMetadataILi3EEENS1_24PointwiseOpScalarFunctorIfLi3ELi3ELi0EEEJSt7dividesIfEfEEEvT_T0_DpT1_
	.p2align	8
	.type	_ZN2at6native12_GLOBAL__N_125multi_tensor_apply_kernelINS1_18TensorListMetadataILi3EEENS1_24PointwiseOpScalarFunctorIfLi3ELi3ELi0EEEJSt7dividesIfEfEEEvT_T0_DpT1_,@function
_ZN2at6native12_GLOBAL__N_125multi_tensor_apply_kernelINS1_18TensorListMetadataILi3EEENS1_24PointwiseOpScalarFunctorIfLi3ELi3ELi0EEEJSt7dividesIfEfEEEvT_T0_DpT1_: ; @_ZN2at6native12_GLOBAL__N_125multi_tensor_apply_kernelINS1_18TensorListMetadataILi3EEENS1_24PointwiseOpScalarFunctorIfLi3ELi3ELi0EEEJSt7dividesIfEfEEEvT_T0_DpT1_
; %bb.0:
	v_mov_b32_e32 v1, s6
	global_load_ubyte v1, v1, s[4:5] offset:1536
	s_add_u32 s0, s4, s6
	s_mul_hi_u32 s1, s6, 3
	s_mul_i32 s6, s6, 3
	s_addc_u32 s2, s5, 0
	s_add_u32 s0, s0, s6
	s_addc_u32 s1, s2, s1
	s_load_dword s10, s[0:1], 0x740
	s_load_dword s24, s[4:5], 0xc4c
	s_mov_b32 s1, 0
	s_mov_b32 s17, s1
	s_waitcnt lgkmcnt(0)
	s_ashr_i32 s11, s10, 31
	s_lshl_b64 s[14:15], s[10:11], 18
	s_waitcnt vmcnt(0)
	v_readfirstlane_b32 s0, v1
	s_lshl_b32 s0, s0, 3
	s_load_dwordx2 s[8:9], s[4:5], s0 offset:0x0
	s_load_dwordx2 s[18:19], s[4:5], s0 offset:0x480
	;; [unrolled: 1-line block ×4, first 2 shown]
	s_waitcnt lgkmcnt(0)
	s_add_u32 s25, s8, s14
	s_addc_u32 s26, s9, s15
	s_and_b32 s0, s25, 15
	s_add_u32 s27, s6, s14
	s_addc_u32 s28, s7, s15
	s_add_u32 s29, s2, s14
	s_addc_u32 s30, s3, s15
	s_or_b32 s12, s29, s27
	s_and_b32 s12, s12, 15
	s_cmp_eq_u32 s12, 0
	s_cselect_b64 s[20:21], -1, 0
	s_lshl_b64 s[10:11], s[10:11], 16
	s_sub_u32 s12, s18, s10
	s_subb_u32 s13, s19, s11
	s_and_b32 s16, s18, 3
	s_or_b64 s[0:1], s[0:1], s[16:17]
	s_cmp_eq_u64 s[0:1], 0
	s_cselect_b64 s[0:1], -1, 0
	s_and_b64 s[10:11], s[20:21], s[0:1]
	s_mov_b64 s[0:1], -1
	s_and_b64 vcc, exec, s[10:11]
	s_cbranch_vccnz .LBB72_29
; %bb.1:
	v_cmp_lt_i64_e64 s[0:1], s[12:13], 1
	s_and_b64 vcc, exec, s[0:1]
	s_cbranch_vccnz .LBB72_28
; %bb.2:
	v_mov_b32_e32 v1, 0x10000
	s_load_dword s10, s[4:5], 0xc5c
	v_mov_b32_e32 v2, 0
	v_cmp_lt_i64_e32 vcc, s[12:13], v[1:2]
	v_mov_b32_e32 v18, 0
	s_and_b64 s[0:1], vcc, exec
	s_cselect_b32 s17, s13, 0
	s_cselect_b32 s16, s12, 0x10000
	s_waitcnt lgkmcnt(0)
	s_and_b32 s10, s10, 0xffff
	v_lshlrev_b32_e32 v17, 2, v0
	v_mad_u64_u32 v[5:6], s[0:1], s10, 12, v[17:18]
	v_cmp_lt_u64_e32 vcc, s[12:13], v[1:2]
	v_mov_b32_e32 v2, s9
	s_and_b64 s[0:1], vcc, exec
	v_add_co_u32_e32 v1, vcc, s8, v5
	v_addc_co_u32_e32 v2, vcc, v2, v6, vcc
	v_mov_b32_e32 v4, s7
	v_add_co_u32_e32 v3, vcc, s6, v5
	v_addc_co_u32_e32 v4, vcc, v4, v6, vcc
	v_mov_b32_e32 v7, s3
	v_add_co_u32_e32 v5, vcc, s2, v5
	s_cselect_b32 s19, s13, 0
	s_cselect_b32 s18, s12, 0x10000
	v_addc_co_u32_e32 v6, vcc, v7, v6, vcc
	s_lshl_b32 s0, s10, 3
	v_add_co_u32_e32 v11, vcc, s0, v17
	v_addc_co_u32_e64 v12, s[0:1], 0, 0, vcc
	v_mov_b32_e32 v8, s9
	v_add_co_u32_e32 v7, vcc, s8, v11
	v_addc_co_u32_e32 v8, vcc, v8, v12, vcc
	v_mov_b32_e32 v10, s7
	v_add_co_u32_e32 v9, vcc, s6, v11
	v_addc_co_u32_e32 v10, vcc, v10, v12, vcc
	v_mov_b32_e32 v13, s3
	v_add_co_u32_e32 v11, vcc, s2, v11
	v_addc_co_u32_e32 v12, vcc, v13, v12, vcc
	v_mov_b32_e32 v14, s9
	v_add_co_u32_e32 v13, vcc, s8, v17
	v_addc_co_u32_e32 v14, vcc, 0, v14, vcc
	v_mov_b32_e32 v16, s7
	v_add_co_u32_e32 v15, vcc, s6, v17
	v_addc_co_u32_e32 v16, vcc, 0, v16, vcc
	v_mov_b32_e32 v18, s3
	v_add_co_u32_e32 v17, vcc, s2, v17
	v_addc_co_u32_e32 v18, vcc, 0, v18, vcc
	v_add_co_u32_e32 v19, vcc, s10, v0
	v_lshlrev_b32_e32 v25, 2, v19
	s_lshl_b32 s22, s10, 1
	s_mul_i32 s23, s10, 3
	s_lshl_b32 s31, s10, 2
	s_lshl_b32 s33, s10, 4
	v_addc_co_u32_e64 v20, s[10:11], 0, 0, vcc
	v_mov_b32_e32 v22, s9
	v_add_co_u32_e32 v21, vcc, s8, v25
	v_addc_co_u32_e32 v22, vcc, 0, v22, vcc
	v_mov_b32_e32 v24, s7
	v_add_co_u32_e32 v23, vcc, s6, v25
	v_addc_co_u32_e32 v24, vcc, 0, v24, vcc
	;; [unrolled: 3-line block ×3, first 2 shown]
	v_add_co_u32_e32 v27, vcc, s23, v0
	v_addc_co_u32_e64 v28, s[2:3], 0, 0, vcc
	v_add_co_u32_e32 v29, vcc, s22, v0
	v_cmp_eq_f32_e64 s[0:1], s24, 1.0
	s_mov_b64 s[20:21], 0
	v_addc_co_u32_e64 v30, s[2:3], 0, 0, vcc
	s_branch .LBB72_4
.LBB72_3:                               ;   in Loop: Header=BB72_4 Depth=1
	s_or_b64 exec, exec, s[2:3]
	v_add_co_u32_e32 v13, vcc, s33, v13
	v_addc_co_u32_e32 v14, vcc, 0, v14, vcc
	v_add_co_u32_e32 v15, vcc, s33, v15
	v_addc_co_u32_e32 v16, vcc, 0, v16, vcc
	;; [unrolled: 2-line block ×10, first 2 shown]
	s_add_u32 s20, s20, s31
	v_add_co_u32_e32 v23, vcc, s33, v23
	s_waitcnt vmcnt(0)
	v_mov_b32_e32 v32, s17
	s_addc_u32 s21, s21, 0
	v_addc_co_u32_e32 v24, vcc, 0, v24, vcc
	v_mov_b32_e32 v31, s16
	v_cmp_lt_i64_e32 vcc, s[20:21], v[31:32]
	v_add_co_u32_e64 v25, s[2:3], s33, v25
	v_addc_co_u32_e64 v26, s[2:3], 0, v26, s[2:3]
	s_cbranch_vccz .LBB72_28
.LBB72_4:                               ; =>This Inner Loop Header: Depth=1
	v_mov_b32_e32 v32, s21
	v_add_co_u32_e32 v31, vcc, s20, v0
	v_addc_co_u32_e32 v32, vcc, 0, v32, vcc
	v_cmp_gt_u64_e32 vcc, s[18:19], v[31:32]
	v_mov_b32_e32 v33, 0
	v_mov_b32_e32 v32, 0
	s_and_saveexec_b64 s[6:7], vcc
	s_cbranch_execz .LBB72_6
; %bb.5:                                ;   in Loop: Header=BB72_4 Depth=1
	v_mov_b32_e32 v31, s15
	v_add_co_u32_e64 v34, s[2:3], s14, v13
	v_addc_co_u32_e64 v35, s[2:3], v14, v31, s[2:3]
	v_add_co_u32_e64 v36, s[2:3], s14, v15
	v_addc_co_u32_e64 v37, s[2:3], v16, v31, s[2:3]
	global_load_dword v32, v[34:35], off
	global_load_dword v33, v[36:37], off
.LBB72_6:                               ;   in Loop: Header=BB72_4 Depth=1
	s_or_b64 exec, exec, s[6:7]
	v_mov_b32_e32 v31, 0
	v_mov_b32_e32 v37, 0
	s_and_saveexec_b64 s[6:7], vcc
	s_cbranch_execz .LBB72_8
; %bb.7:                                ;   in Loop: Header=BB72_4 Depth=1
	v_mov_b32_e32 v35, s15
	v_add_co_u32_e64 v34, s[2:3], s14, v17
	v_addc_co_u32_e64 v35, s[2:3], v18, v35, s[2:3]
	global_load_dword v37, v[34:35], off
.LBB72_8:                               ;   in Loop: Header=BB72_4 Depth=1
	s_or_b64 exec, exec, s[6:7]
	v_mov_b32_e32 v35, s21
	v_add_co_u32_e64 v34, s[2:3], s20, v19
	v_addc_co_u32_e64 v35, s[2:3], v20, v35, s[2:3]
	v_cmp_gt_u64_e64 s[2:3], s[18:19], v[34:35]
	v_mov_b32_e32 v35, 0
	s_and_saveexec_b64 s[8:9], s[2:3]
	s_cbranch_execz .LBB72_10
; %bb.9:                                ;   in Loop: Header=BB72_4 Depth=1
	v_mov_b32_e32 v31, s15
	v_add_co_u32_e64 v38, s[6:7], s14, v21
	v_addc_co_u32_e64 v39, s[6:7], v22, v31, s[6:7]
	v_add_co_u32_e64 v40, s[6:7], s14, v23
	v_addc_co_u32_e64 v41, s[6:7], v24, v31, s[6:7]
	global_load_dword v35, v[38:39], off
	global_load_dword v31, v[40:41], off
.LBB72_10:                              ;   in Loop: Header=BB72_4 Depth=1
	s_or_b64 exec, exec, s[8:9]
	v_mov_b32_e32 v34, 0
	v_mov_b32_e32 v39, 0
	s_and_saveexec_b64 s[8:9], s[2:3]
	s_cbranch_execz .LBB72_12
; %bb.11:                               ;   in Loop: Header=BB72_4 Depth=1
	v_mov_b32_e32 v36, s15
	v_add_co_u32_e64 v38, s[6:7], s14, v25
	v_addc_co_u32_e64 v39, s[6:7], v26, v36, s[6:7]
	global_load_dword v39, v[38:39], off
.LBB72_12:                              ;   in Loop: Header=BB72_4 Depth=1
	s_or_b64 exec, exec, s[8:9]
	v_mov_b32_e32 v36, s21
	v_add_co_u32_e64 v40, s[6:7], s20, v29
	v_addc_co_u32_e64 v41, s[6:7], v30, v36, s[6:7]
	v_cmp_gt_u64_e64 s[6:7], s[18:19], v[40:41]
	v_mov_b32_e32 v38, 0
	s_and_saveexec_b64 s[10:11], s[6:7]
	s_cbranch_execz .LBB72_14
; %bb.13:                               ;   in Loop: Header=BB72_4 Depth=1
	v_mov_b32_e32 v34, s15
	v_add_co_u32_e64 v40, s[8:9], s14, v7
	v_addc_co_u32_e64 v41, s[8:9], v8, v34, s[8:9]
	v_add_co_u32_e64 v42, s[8:9], s14, v9
	v_addc_co_u32_e64 v43, s[8:9], v10, v34, s[8:9]
	global_load_dword v38, v[40:41], off
	global_load_dword v34, v[42:43], off
.LBB72_14:                              ;   in Loop: Header=BB72_4 Depth=1
	s_or_b64 exec, exec, s[10:11]
	v_mov_b32_e32 v36, 0
	v_mov_b32_e32 v41, 0
	s_and_saveexec_b64 s[10:11], s[6:7]
	s_cbranch_execz .LBB72_16
; %bb.15:                               ;   in Loop: Header=BB72_4 Depth=1
	v_mov_b32_e32 v41, s15
	v_add_co_u32_e64 v40, s[8:9], s14, v11
	v_addc_co_u32_e64 v41, s[8:9], v12, v41, s[8:9]
	global_load_dword v41, v[40:41], off
.LBB72_16:                              ;   in Loop: Header=BB72_4 Depth=1
	s_or_b64 exec, exec, s[10:11]
	v_mov_b32_e32 v40, s21
	v_add_co_u32_e64 v42, s[8:9], s20, v27
	v_addc_co_u32_e64 v43, s[8:9], v28, v40, s[8:9]
	v_cmp_gt_u64_e64 s[8:9], s[18:19], v[42:43]
	v_mov_b32_e32 v40, 0
	s_and_saveexec_b64 s[22:23], s[8:9]
	s_cbranch_execnz .LBB72_22
; %bb.17:                               ;   in Loop: Header=BB72_4 Depth=1
	s_or_b64 exec, exec, s[22:23]
	v_mov_b32_e32 v42, 0
	s_and_saveexec_b64 s[22:23], s[8:9]
	s_cbranch_execnz .LBB72_23
.LBB72_18:                              ;   in Loop: Header=BB72_4 Depth=1
	s_or_b64 exec, exec, s[22:23]
	s_and_saveexec_b64 s[10:11], vcc
	s_cbranch_execnz .LBB72_24
.LBB72_19:                              ;   in Loop: Header=BB72_4 Depth=1
	s_or_b64 exec, exec, s[10:11]
	s_and_saveexec_b64 s[10:11], s[2:3]
	s_cbranch_execnz .LBB72_25
.LBB72_20:                              ;   in Loop: Header=BB72_4 Depth=1
	s_or_b64 exec, exec, s[10:11]
	s_and_saveexec_b64 s[2:3], s[6:7]
	s_cbranch_execnz .LBB72_26
.LBB72_21:                              ;   in Loop: Header=BB72_4 Depth=1
	s_or_b64 exec, exec, s[2:3]
	s_and_saveexec_b64 s[2:3], s[8:9]
	s_cbranch_execz .LBB72_3
	s_branch .LBB72_27
.LBB72_22:                              ;   in Loop: Header=BB72_4 Depth=1
	v_mov_b32_e32 v36, s15
	v_add_co_u32_e64 v42, s[10:11], s14, v1
	v_addc_co_u32_e64 v43, s[10:11], v2, v36, s[10:11]
	v_add_co_u32_e64 v44, s[10:11], s14, v3
	v_addc_co_u32_e64 v45, s[10:11], v4, v36, s[10:11]
	global_load_dword v40, v[42:43], off
	global_load_dword v36, v[44:45], off
	s_or_b64 exec, exec, s[22:23]
	v_mov_b32_e32 v42, 0
	s_and_saveexec_b64 s[22:23], s[8:9]
	s_cbranch_execz .LBB72_18
.LBB72_23:                              ;   in Loop: Header=BB72_4 Depth=1
	v_mov_b32_e32 v43, s15
	v_add_co_u32_e64 v42, s[10:11], s14, v5
	v_addc_co_u32_e64 v43, s[10:11], v6, v43, s[10:11]
	global_load_dword v42, v[42:43], off
	s_or_b64 exec, exec, s[22:23]
	s_and_saveexec_b64 s[10:11], vcc
	s_cbranch_execz .LBB72_19
.LBB72_24:                              ;   in Loop: Header=BB72_4 Depth=1
	s_waitcnt vmcnt(0)
	v_div_scale_f32 v43, s[22:23], v37, v37, v33
	v_div_scale_f32 v44, vcc, v33, v37, v33
	v_rcp_f32_e32 v45, v43
	v_fma_f32 v46, -v43, v45, 1.0
	v_fmac_f32_e32 v45, v46, v45
	v_mul_f32_e32 v46, v44, v45
	v_fma_f32 v47, -v43, v46, v44
	v_fmac_f32_e32 v46, v47, v45
	v_fma_f32 v43, -v43, v46, v44
	v_div_fmas_f32 v45, v43, v45, v46
	v_mov_b32_e32 v44, s15
	v_add_co_u32_e32 v43, vcc, s14, v13
	v_addc_co_u32_e32 v44, vcc, v14, v44, vcc
	v_div_fixup_f32 v33, v45, v37, v33
	v_add_f32_e32 v37, v32, v33
	v_fmac_f32_e32 v32, s24, v33
	v_cndmask_b32_e64 v32, v32, v37, s[0:1]
	global_store_dword v[43:44], v32, off
	s_or_b64 exec, exec, s[10:11]
	s_and_saveexec_b64 s[10:11], s[2:3]
	s_cbranch_execz .LBB72_20
.LBB72_25:                              ;   in Loop: Header=BB72_4 Depth=1
	s_waitcnt vmcnt(0)
	v_div_scale_f32 v32, s[2:3], v39, v39, v31
	v_div_scale_f32 v33, vcc, v31, v39, v31
	v_rcp_f32_e32 v37, v32
	v_fma_f32 v43, -v32, v37, 1.0
	v_fmac_f32_e32 v37, v43, v37
	v_mul_f32_e32 v43, v33, v37
	v_fma_f32 v44, -v32, v43, v33
	v_fmac_f32_e32 v43, v44, v37
	v_fma_f32 v32, -v32, v43, v33
	v_div_fmas_f32 v32, v32, v37, v43
	v_mov_b32_e32 v33, s15
	v_div_fixup_f32 v31, v32, v39, v31
	v_add_f32_e32 v32, v35, v31
	v_fmac_f32_e32 v35, s24, v31
	v_add_co_u32_e32 v31, vcc, s14, v21
	v_cndmask_b32_e64 v35, v35, v32, s[0:1]
	v_addc_co_u32_e32 v32, vcc, v22, v33, vcc
	global_store_dword v[31:32], v35, off
	s_or_b64 exec, exec, s[10:11]
	s_and_saveexec_b64 s[2:3], s[6:7]
	s_cbranch_execz .LBB72_21
.LBB72_26:                              ;   in Loop: Header=BB72_4 Depth=1
	s_waitcnt vmcnt(0)
	v_div_scale_f32 v31, s[6:7], v41, v41, v34
	v_div_scale_f32 v32, vcc, v34, v41, v34
	v_rcp_f32_e32 v33, v31
	v_fma_f32 v35, -v31, v33, 1.0
	v_fmac_f32_e32 v33, v35, v33
	v_mul_f32_e32 v35, v32, v33
	v_fma_f32 v37, -v31, v35, v32
	v_fmac_f32_e32 v35, v37, v33
	v_fma_f32 v31, -v31, v35, v32
	v_div_fmas_f32 v31, v31, v33, v35
	v_mov_b32_e32 v32, s15
	v_div_fixup_f32 v31, v31, v41, v34
	v_add_f32_e32 v33, v38, v31
	v_fmac_f32_e32 v38, s24, v31
	v_add_co_u32_e32 v31, vcc, s14, v7
	v_cndmask_b32_e64 v33, v38, v33, s[0:1]
	v_addc_co_u32_e32 v32, vcc, v8, v32, vcc
	global_store_dword v[31:32], v33, off
	s_or_b64 exec, exec, s[2:3]
	s_and_saveexec_b64 s[2:3], s[8:9]
	s_cbranch_execz .LBB72_3
.LBB72_27:                              ;   in Loop: Header=BB72_4 Depth=1
	s_waitcnt vmcnt(0)
	v_div_scale_f32 v31, s[6:7], v42, v42, v36
	v_div_scale_f32 v32, vcc, v36, v42, v36
	v_rcp_f32_e32 v33, v31
	v_fma_f32 v34, -v31, v33, 1.0
	v_fmac_f32_e32 v33, v34, v33
	v_mul_f32_e32 v34, v32, v33
	v_fma_f32 v35, -v31, v34, v32
	v_fmac_f32_e32 v34, v35, v33
	v_fma_f32 v31, -v31, v34, v32
	v_div_fmas_f32 v31, v31, v33, v34
	v_mov_b32_e32 v32, s15
	v_div_fixup_f32 v31, v31, v42, v36
	v_add_f32_e32 v33, v40, v31
	v_fmac_f32_e32 v40, s24, v31
	v_add_co_u32_e32 v31, vcc, s14, v1
	v_cndmask_b32_e64 v33, v40, v33, s[0:1]
	v_addc_co_u32_e32 v32, vcc, v2, v32, vcc
	global_store_dword v[31:32], v33, off
	s_branch .LBB72_3
.LBB72_28:
	s_mov_b64 s[0:1], 0
.LBB72_29:
	s_andn2_b64 vcc, exec, s[0:1]
	s_cbranch_vccnz .LBB72_33
; %bb.30:
	v_mov_b32_e32 v1, 0x10000
	v_mov_b32_e32 v2, 0
	v_cmp_lt_i64_e32 vcc, s[12:13], v[1:2]
	v_mov_b32_e32 v2, 0
	s_and_b64 s[0:1], vcc, exec
	s_cselect_b32 s11, s13, 0
	s_cselect_b32 s10, s12, 0x10000
	v_lshlrev_b32_e32 v1, 2, v0
	v_cmp_gt_i64_e32 vcc, s[10:11], v[1:2]
	s_and_saveexec_b64 s[0:1], vcc
	s_cbranch_execz .LBB72_33
; %bb.31:
	s_load_dword s2, s[4:5], 0xc5c
	v_mov_b32_e32 v1, v2
	v_cmp_eq_f32_e64 s[0:1], s24, 1.0
	v_lshlrev_b32_e32 v2, 4, v0
	s_mov_b64 s[12:13], 0
	s_waitcnt lgkmcnt(0)
	s_and_b32 s14, s2, 0xffff
	s_lshl_b32 s15, s14, 4
.LBB72_32:                              ; =>This Inner Loop Header: Depth=1
	v_mov_b32_e32 v3, s28
	v_add_co_u32_e64 v13, s[2:3], s27, v2
	v_mov_b32_e32 v4, s30
	v_add_co_u32_e32 v11, vcc, s29, v2
	v_addc_co_u32_e64 v14, s[2:3], 0, v3, s[2:3]
	v_addc_co_u32_e32 v12, vcc, 0, v4, vcc
	global_load_dwordx4 v[3:6], v[13:14], off
	global_load_dwordx4 v[7:10], v[11:12], off
	v_add_co_u32_e32 v0, vcc, s14, v0
	v_addc_co_u32_e32 v1, vcc, 0, v1, vcc
	v_mov_b32_e32 v11, s26
	v_add_co_u32_e32 v15, vcc, s25, v2
	v_addc_co_u32_e32 v16, vcc, 0, v11, vcc
	global_load_dwordx4 v[11:14], v[15:16], off
	v_lshlrev_b64 v[17:18], 2, v[0:1]
	s_add_u32 s29, s29, s15
	v_cmp_le_i64_e64 s[2:3], s[10:11], v[17:18]
	s_addc_u32 s30, s30, 0
	s_add_u32 s25, s25, s15
	s_addc_u32 s26, s26, 0
	s_add_u32 s27, s27, s15
	s_addc_u32 s28, s28, 0
	s_or_b64 s[12:13], s[2:3], s[12:13]
	s_waitcnt vmcnt(1)
	v_div_scale_f32 v17, s[4:5], v7, v7, v3
	v_div_scale_f32 v18, s[4:5], v8, v8, v4
	v_div_scale_f32 v19, s[4:5], v9, v9, v5
	v_div_scale_f32 v20, s[4:5], v10, v10, v6
	v_div_scale_f32 v21, vcc, v3, v7, v3
	v_div_scale_f32 v22, s[4:5], v4, v8, v4
	v_div_scale_f32 v23, s[6:7], v5, v9, v5
	;; [unrolled: 1-line block ×3, first 2 shown]
	v_rcp_f32_e32 v25, v17
	v_rcp_f32_e32 v26, v18
	;; [unrolled: 1-line block ×3, first 2 shown]
	v_fma_f32 v29, -v17, v25, 1.0
	v_rcp_f32_e32 v28, v20
	v_fma_f32 v30, -v18, v26, 1.0
	v_fmac_f32_e32 v25, v29, v25
	v_fma_f32 v31, -v19, v27, 1.0
	v_fmac_f32_e32 v26, v30, v26
	v_mul_f32_e32 v29, v21, v25
	v_fma_f32 v32, -v20, v28, 1.0
	v_fmac_f32_e32 v27, v31, v27
	v_mul_f32_e32 v30, v22, v26
	v_fma_f32 v33, -v17, v29, v21
	v_fmac_f32_e32 v28, v32, v28
	v_mul_f32_e32 v31, v23, v27
	v_fma_f32 v34, -v18, v30, v22
	;; [unrolled: 3-line block ×3, first 2 shown]
	v_fmac_f32_e32 v30, v34, v26
	v_fma_f32 v17, -v17, v29, v21
	v_fma_f32 v36, -v20, v32, v24
	v_fmac_f32_e32 v31, v35, v27
	v_fma_f32 v18, -v18, v30, v22
	v_div_fmas_f32 v17, v17, v25, v29
	s_mov_b64 vcc, s[4:5]
	v_fmac_f32_e32 v32, v36, v28
	v_fma_f32 v19, -v19, v31, v23
	v_div_fmas_f32 v18, v18, v26, v30
	s_mov_b64 vcc, s[6:7]
	v_fma_f32 v20, -v20, v32, v24
	v_div_fmas_f32 v19, v19, v27, v31
	s_mov_b64 vcc, s[8:9]
	v_div_fmas_f32 v20, v20, v28, v32
	v_div_fixup_f32 v3, v17, v7, v3
	s_waitcnt vmcnt(0)
	v_add_f32_e32 v7, v11, v3
	v_fma_f32 v3, s24, v3, v11
	v_cndmask_b32_e64 v3, v3, v7, s[0:1]
	v_div_fixup_f32 v4, v18, v8, v4
	v_add_f32_e32 v7, v12, v4
	v_fma_f32 v4, s24, v4, v12
	v_div_fixup_f32 v5, v19, v9, v5
	v_cndmask_b32_e64 v4, v4, v7, s[0:1]
	v_add_f32_e32 v7, v13, v5
	v_fma_f32 v5, s24, v5, v13
	v_div_fixup_f32 v6, v20, v10, v6
	v_cndmask_b32_e64 v5, v5, v7, s[0:1]
	v_add_f32_e32 v7, v14, v6
	v_fmac_f32_e32 v14, s24, v6
	v_cndmask_b32_e64 v6, v14, v7, s[0:1]
	global_store_dwordx4 v[15:16], v[3:6], off
	s_andn2_b64 exec, exec, s[12:13]
	s_cbranch_execnz .LBB72_32
.LBB72_33:
	s_endpgm
	.section	.rodata,"a",@progbits
	.p2align	6, 0x0
	.amdhsa_kernel _ZN2at6native12_GLOBAL__N_125multi_tensor_apply_kernelINS1_18TensorListMetadataILi3EEENS1_24PointwiseOpScalarFunctorIfLi3ELi3ELi0EEEJSt7dividesIfEfEEEvT_T0_DpT1_
		.amdhsa_group_segment_fixed_size 0
		.amdhsa_private_segment_fixed_size 0
		.amdhsa_kernarg_size 3408
		.amdhsa_user_sgpr_count 6
		.amdhsa_user_sgpr_private_segment_buffer 1
		.amdhsa_user_sgpr_dispatch_ptr 0
		.amdhsa_user_sgpr_queue_ptr 0
		.amdhsa_user_sgpr_kernarg_segment_ptr 1
		.amdhsa_user_sgpr_dispatch_id 0
		.amdhsa_user_sgpr_flat_scratch_init 0
		.amdhsa_user_sgpr_private_segment_size 0
		.amdhsa_uses_dynamic_stack 0
		.amdhsa_system_sgpr_private_segment_wavefront_offset 0
		.amdhsa_system_sgpr_workgroup_id_x 1
		.amdhsa_system_sgpr_workgroup_id_y 0
		.amdhsa_system_sgpr_workgroup_id_z 0
		.amdhsa_system_sgpr_workgroup_info 0
		.amdhsa_system_vgpr_workitem_id 0
		.amdhsa_next_free_vgpr 48
		.amdhsa_next_free_sgpr 34
		.amdhsa_reserve_vcc 1
		.amdhsa_reserve_flat_scratch 0
		.amdhsa_float_round_mode_32 0
		.amdhsa_float_round_mode_16_64 0
		.amdhsa_float_denorm_mode_32 3
		.amdhsa_float_denorm_mode_16_64 3
		.amdhsa_dx10_clamp 1
		.amdhsa_ieee_mode 1
		.amdhsa_fp16_overflow 0
		.amdhsa_exception_fp_ieee_invalid_op 0
		.amdhsa_exception_fp_denorm_src 0
		.amdhsa_exception_fp_ieee_div_zero 0
		.amdhsa_exception_fp_ieee_overflow 0
		.amdhsa_exception_fp_ieee_underflow 0
		.amdhsa_exception_fp_ieee_inexact 0
		.amdhsa_exception_int_div_zero 0
	.end_amdhsa_kernel
	.section	.text._ZN2at6native12_GLOBAL__N_125multi_tensor_apply_kernelINS1_18TensorListMetadataILi3EEENS1_24PointwiseOpScalarFunctorIfLi3ELi3ELi0EEEJSt7dividesIfEfEEEvT_T0_DpT1_,"axG",@progbits,_ZN2at6native12_GLOBAL__N_125multi_tensor_apply_kernelINS1_18TensorListMetadataILi3EEENS1_24PointwiseOpScalarFunctorIfLi3ELi3ELi0EEEJSt7dividesIfEfEEEvT_T0_DpT1_,comdat
.Lfunc_end72:
	.size	_ZN2at6native12_GLOBAL__N_125multi_tensor_apply_kernelINS1_18TensorListMetadataILi3EEENS1_24PointwiseOpScalarFunctorIfLi3ELi3ELi0EEEJSt7dividesIfEfEEEvT_T0_DpT1_, .Lfunc_end72-_ZN2at6native12_GLOBAL__N_125multi_tensor_apply_kernelINS1_18TensorListMetadataILi3EEENS1_24PointwiseOpScalarFunctorIfLi3ELi3ELi0EEEJSt7dividesIfEfEEEvT_T0_DpT1_
                                        ; -- End function
	.set _ZN2at6native12_GLOBAL__N_125multi_tensor_apply_kernelINS1_18TensorListMetadataILi3EEENS1_24PointwiseOpScalarFunctorIfLi3ELi3ELi0EEEJSt7dividesIfEfEEEvT_T0_DpT1_.num_vgpr, 48
	.set _ZN2at6native12_GLOBAL__N_125multi_tensor_apply_kernelINS1_18TensorListMetadataILi3EEENS1_24PointwiseOpScalarFunctorIfLi3ELi3ELi0EEEJSt7dividesIfEfEEEvT_T0_DpT1_.num_agpr, 0
	.set _ZN2at6native12_GLOBAL__N_125multi_tensor_apply_kernelINS1_18TensorListMetadataILi3EEENS1_24PointwiseOpScalarFunctorIfLi3ELi3ELi0EEEJSt7dividesIfEfEEEvT_T0_DpT1_.numbered_sgpr, 34
	.set _ZN2at6native12_GLOBAL__N_125multi_tensor_apply_kernelINS1_18TensorListMetadataILi3EEENS1_24PointwiseOpScalarFunctorIfLi3ELi3ELi0EEEJSt7dividesIfEfEEEvT_T0_DpT1_.num_named_barrier, 0
	.set _ZN2at6native12_GLOBAL__N_125multi_tensor_apply_kernelINS1_18TensorListMetadataILi3EEENS1_24PointwiseOpScalarFunctorIfLi3ELi3ELi0EEEJSt7dividesIfEfEEEvT_T0_DpT1_.private_seg_size, 0
	.set _ZN2at6native12_GLOBAL__N_125multi_tensor_apply_kernelINS1_18TensorListMetadataILi3EEENS1_24PointwiseOpScalarFunctorIfLi3ELi3ELi0EEEJSt7dividesIfEfEEEvT_T0_DpT1_.uses_vcc, 1
	.set _ZN2at6native12_GLOBAL__N_125multi_tensor_apply_kernelINS1_18TensorListMetadataILi3EEENS1_24PointwiseOpScalarFunctorIfLi3ELi3ELi0EEEJSt7dividesIfEfEEEvT_T0_DpT1_.uses_flat_scratch, 0
	.set _ZN2at6native12_GLOBAL__N_125multi_tensor_apply_kernelINS1_18TensorListMetadataILi3EEENS1_24PointwiseOpScalarFunctorIfLi3ELi3ELi0EEEJSt7dividesIfEfEEEvT_T0_DpT1_.has_dyn_sized_stack, 0
	.set _ZN2at6native12_GLOBAL__N_125multi_tensor_apply_kernelINS1_18TensorListMetadataILi3EEENS1_24PointwiseOpScalarFunctorIfLi3ELi3ELi0EEEJSt7dividesIfEfEEEvT_T0_DpT1_.has_recursion, 0
	.set _ZN2at6native12_GLOBAL__N_125multi_tensor_apply_kernelINS1_18TensorListMetadataILi3EEENS1_24PointwiseOpScalarFunctorIfLi3ELi3ELi0EEEJSt7dividesIfEfEEEvT_T0_DpT1_.has_indirect_call, 0
	.section	.AMDGPU.csdata,"",@progbits
; Kernel info:
; codeLenInByte = 2440
; TotalNumSgprs: 38
; NumVgprs: 48
; ScratchSize: 0
; MemoryBound: 0
; FloatMode: 240
; IeeeMode: 1
; LDSByteSize: 0 bytes/workgroup (compile time only)
; SGPRBlocks: 4
; VGPRBlocks: 11
; NumSGPRsForWavesPerEU: 38
; NumVGPRsForWavesPerEU: 48
; Occupancy: 5
; WaveLimiterHint : 0
; COMPUTE_PGM_RSRC2:SCRATCH_EN: 0
; COMPUTE_PGM_RSRC2:USER_SGPR: 6
; COMPUTE_PGM_RSRC2:TRAP_HANDLER: 0
; COMPUTE_PGM_RSRC2:TGID_X_EN: 1
; COMPUTE_PGM_RSRC2:TGID_Y_EN: 0
; COMPUTE_PGM_RSRC2:TGID_Z_EN: 0
; COMPUTE_PGM_RSRC2:TIDIG_COMP_CNT: 0
	.section	.text._ZN2at6native12_GLOBAL__N_125multi_tensor_apply_kernelINS1_18TensorListMetadataILi3EEENS1_24PointwiseOpScalarFunctorIN3c107complexIdEELi3ELi3ELi0EEEJSt7dividesIS8_ES8_EEEvT_T0_DpT1_,"axG",@progbits,_ZN2at6native12_GLOBAL__N_125multi_tensor_apply_kernelINS1_18TensorListMetadataILi3EEENS1_24PointwiseOpScalarFunctorIN3c107complexIdEELi3ELi3ELi0EEEJSt7dividesIS8_ES8_EEEvT_T0_DpT1_,comdat
	.globl	_ZN2at6native12_GLOBAL__N_125multi_tensor_apply_kernelINS1_18TensorListMetadataILi3EEENS1_24PointwiseOpScalarFunctorIN3c107complexIdEELi3ELi3ELi0EEEJSt7dividesIS8_ES8_EEEvT_T0_DpT1_ ; -- Begin function _ZN2at6native12_GLOBAL__N_125multi_tensor_apply_kernelINS1_18TensorListMetadataILi3EEENS1_24PointwiseOpScalarFunctorIN3c107complexIdEELi3ELi3ELi0EEEJSt7dividesIS8_ES8_EEEvT_T0_DpT1_
	.p2align	8
	.type	_ZN2at6native12_GLOBAL__N_125multi_tensor_apply_kernelINS1_18TensorListMetadataILi3EEENS1_24PointwiseOpScalarFunctorIN3c107complexIdEELi3ELi3ELi0EEEJSt7dividesIS8_ES8_EEEvT_T0_DpT1_,@function
_ZN2at6native12_GLOBAL__N_125multi_tensor_apply_kernelINS1_18TensorListMetadataILi3EEENS1_24PointwiseOpScalarFunctorIN3c107complexIdEELi3ELi3ELi0EEEJSt7dividesIS8_ES8_EEEvT_T0_DpT1_: ; @_ZN2at6native12_GLOBAL__N_125multi_tensor_apply_kernelINS1_18TensorListMetadataILi3EEENS1_24PointwiseOpScalarFunctorIN3c107complexIdEELi3ELi3ELi0EEEJSt7dividesIS8_ES8_EEEvT_T0_DpT1_
; %bb.0:
	v_mov_b32_e32 v1, s6
	global_load_ubyte v1, v1, s[4:5] offset:1536
	s_add_u32 s0, s4, s6
	s_mul_hi_u32 s1, s6, 3
	s_mul_i32 s6, s6, 3
	s_addc_u32 s2, s5, 0
	s_add_u32 s0, s0, s6
	s_addc_u32 s1, s2, s1
	s_load_dword s2, s[0:1], 0x740
	s_load_dwordx4 s[16:19], s[4:5], 0xc50
	s_mov_b32 s1, 0
	s_mov_b32 s7, s1
	s_waitcnt lgkmcnt(0)
	s_ashr_i32 s3, s2, 31
	s_lshl_b64 s[10:11], s[2:3], 20
	s_waitcnt vmcnt(0)
	v_readfirstlane_b32 s0, v1
	s_lshl_b32 s0, s0, 3
	s_load_dwordx2 s[8:9], s[4:5], s0 offset:0x0
	s_load_dwordx2 s[12:13], s[4:5], s0 offset:0x180
	;; [unrolled: 1-line block ×4, first 2 shown]
	s_waitcnt lgkmcnt(0)
	s_add_u32 s33, s8, s10
	s_addc_u32 s36, s9, s11
	s_add_u32 s37, s12, s10
	s_addc_u32 s38, s13, s11
	s_add_u32 s39, s20, s10
	s_addc_u32 s40, s21, s11
	s_or_b32 s6, s39, s37
	s_and_b32 s0, s33, 63
	s_and_b32 s6, s6, 63
	s_cmp_eq_u32 s6, 0
	s_cselect_b64 s[8:9], -1, 0
	s_lshl_b64 s[2:3], s[2:3], 16
	s_sub_u32 s20, s14, s2
	s_subb_u32 s21, s15, s3
	s_and_b32 s6, s14, 3
	s_or_b64 s[0:1], s[0:1], s[6:7]
	s_cmp_eq_u64 s[0:1], 0
	s_cselect_b64 s[0:1], -1, 0
	s_and_b64 s[2:3], s[8:9], s[0:1]
	s_mov_b64 s[0:1], -1
	s_and_b64 vcc, exec, s[2:3]
	s_cbranch_vccnz .LBB73_109
; %bb.1:
	v_cmp_lt_i64_e64 s[0:1], s[20:21], 1
	s_and_b64 vcc, exec, s[0:1]
	s_cbranch_vccnz .LBB73_108
; %bb.2:
	v_mov_b32_e32 v1, 0x10000
	v_mov_b32_e32 v2, 0
	v_cmp_lt_i64_e32 vcc, s[20:21], v[1:2]
	v_cmp_neq_f64_e64 s[2:3], s[18:19], 0
	s_and_b64 s[0:1], vcc, exec
	v_cmp_neq_f64_e64 s[0:1], s[16:17], 1.0
	s_load_dword s6, s[4:5], 0xc6c
	v_cmp_lt_u64_e32 vcc, s[20:21], v[1:2]
	s_cselect_b32 s23, s21, 0
	s_cselect_b32 s22, s20, 0x10000
	s_mov_b64 s[26:27], 0
	s_waitcnt lgkmcnt(0)
	s_and_b32 s41, s6, 0xffff
	s_and_b64 s[6:7], vcc, exec
	s_cselect_b32 s25, s21, 0
	s_cselect_b32 s24, s20, 0x10000
	s_lshl_b32 s42, s41, 1
	s_mul_i32 s43, s41, 3
	s_or_b64 s[28:29], s[0:1], s[2:3]
	s_lshl_b32 s44, s41, 2
	s_branch .LBB73_4
.LBB73_3:                               ;   in Loop: Header=BB73_4 Depth=1
	s_or_b64 exec, exec, s[0:1]
	s_add_u32 s26, s26, s44
	v_mov_b32_e32 v1, s22
	s_addc_u32 s27, s27, 0
	v_mov_b32_e32 v2, s23
	v_cmp_ge_i64_e32 vcc, s[26:27], v[1:2]
	s_cbranch_vccnz .LBB73_108
.LBB73_4:                               ; =>This Inner Loop Header: Depth=1
	v_mov_b32_e32 v1, s27
	v_add_co_u32_e32 v49, vcc, s26, v0
	v_addc_co_u32_e32 v50, vcc, 0, v1, vcc
	v_cmp_gt_u64_e64 s[0:1], s[24:25], v[49:50]
	v_mov_b32_e32 v47, 0
	v_mov_b32_e32 v43, 0
	;; [unrolled: 1-line block ×10, first 2 shown]
	s_and_saveexec_b64 s[2:3], s[0:1]
	s_cbranch_execz .LBB73_6
; %bb.5:                                ;   in Loop: Header=BB73_4 Depth=1
	v_lshlrev_b64 v[1:2], 4, v[49:50]
	v_mov_b32_e32 v3, s38
	v_add_co_u32_e32 v5, vcc, s37, v1
	v_addc_co_u32_e32 v6, vcc, v3, v2, vcc
	v_mov_b32_e32 v3, s36
	v_add_co_u32_e32 v7, vcc, s33, v1
	v_addc_co_u32_e32 v8, vcc, v3, v2, vcc
	global_load_dwordx4 v[1:4], v[7:8], off
	global_load_dwordx4 v[41:44], v[5:6], off
.LBB73_6:                               ;   in Loop: Header=BB73_4 Depth=1
	s_or_b64 exec, exec, s[2:3]
	v_mov_b32_e32 v45, 0
	v_mov_b32_e32 v46, 0
	s_and_saveexec_b64 s[2:3], s[0:1]
	s_cbranch_execz .LBB73_8
; %bb.7:                                ;   in Loop: Header=BB73_4 Depth=1
	v_lshlrev_b64 v[5:6], 4, v[49:50]
	v_mov_b32_e32 v7, s40
	v_add_co_u32_e32 v5, vcc, s39, v5
	v_addc_co_u32_e32 v6, vcc, v7, v6, vcc
	global_load_dwordx4 v[45:48], v[5:6], off
.LBB73_8:                               ;   in Loop: Header=BB73_4 Depth=1
	s_or_b64 exec, exec, s[2:3]
	v_add_co_u32_e32 v51, vcc, s41, v49
	v_addc_co_u32_e32 v52, vcc, 0, v50, vcc
	v_cmp_gt_u64_e64 s[2:3], s[24:25], v[51:52]
	v_mov_b32_e32 v39, 0
	v_mov_b32_e32 v35, 0
	;; [unrolled: 1-line block ×10, first 2 shown]
	s_and_saveexec_b64 s[6:7], s[2:3]
	s_cbranch_execz .LBB73_10
; %bb.9:                                ;   in Loop: Header=BB73_4 Depth=1
	v_lshlrev_b64 v[5:6], 4, v[51:52]
	v_mov_b32_e32 v7, s38
	v_add_co_u32_e32 v9, vcc, s37, v5
	v_addc_co_u32_e32 v10, vcc, v7, v6, vcc
	v_mov_b32_e32 v7, s36
	v_add_co_u32_e32 v11, vcc, s33, v5
	v_addc_co_u32_e32 v12, vcc, v7, v6, vcc
	global_load_dwordx4 v[5:8], v[11:12], off
	global_load_dwordx4 v[33:36], v[9:10], off
.LBB73_10:                              ;   in Loop: Header=BB73_4 Depth=1
	s_or_b64 exec, exec, s[6:7]
	v_mov_b32_e32 v37, 0
	v_mov_b32_e32 v38, 0
	s_and_saveexec_b64 s[6:7], s[2:3]
	s_cbranch_execz .LBB73_12
; %bb.11:                               ;   in Loop: Header=BB73_4 Depth=1
	v_lshlrev_b64 v[9:10], 4, v[51:52]
	v_mov_b32_e32 v11, s40
	v_add_co_u32_e32 v9, vcc, s39, v9
	v_addc_co_u32_e32 v10, vcc, v11, v10, vcc
	global_load_dwordx4 v[37:40], v[9:10], off
.LBB73_12:                              ;   in Loop: Header=BB73_4 Depth=1
	s_or_b64 exec, exec, s[6:7]
	v_add_co_u32_e32 v53, vcc, s42, v49
	v_addc_co_u32_e32 v54, vcc, 0, v50, vcc
	v_cmp_gt_u64_e64 s[6:7], s[24:25], v[53:54]
	v_mov_b32_e32 v31, 0
	v_mov_b32_e32 v27, 0
	;; [unrolled: 1-line block ×10, first 2 shown]
	s_and_saveexec_b64 s[8:9], s[6:7]
	s_cbranch_execz .LBB73_14
; %bb.13:                               ;   in Loop: Header=BB73_4 Depth=1
	v_lshlrev_b64 v[9:10], 4, v[53:54]
	v_mov_b32_e32 v11, s38
	v_add_co_u32_e32 v13, vcc, s37, v9
	v_addc_co_u32_e32 v14, vcc, v11, v10, vcc
	v_mov_b32_e32 v11, s36
	v_add_co_u32_e32 v15, vcc, s33, v9
	v_addc_co_u32_e32 v16, vcc, v11, v10, vcc
	global_load_dwordx4 v[9:12], v[15:16], off
	global_load_dwordx4 v[25:28], v[13:14], off
.LBB73_14:                              ;   in Loop: Header=BB73_4 Depth=1
	s_or_b64 exec, exec, s[8:9]
	v_mov_b32_e32 v29, 0
	v_mov_b32_e32 v30, 0
	s_and_saveexec_b64 s[8:9], s[6:7]
	s_cbranch_execz .LBB73_16
; %bb.15:                               ;   in Loop: Header=BB73_4 Depth=1
	v_lshlrev_b64 v[13:14], 4, v[53:54]
	v_mov_b32_e32 v15, s40
	v_add_co_u32_e32 v13, vcc, s39, v13
	v_addc_co_u32_e32 v14, vcc, v15, v14, vcc
	global_load_dwordx4 v[29:32], v[13:14], off
.LBB73_16:                              ;   in Loop: Header=BB73_4 Depth=1
	s_or_b64 exec, exec, s[8:9]
	v_add_co_u32_e32 v55, vcc, s43, v49
	v_addc_co_u32_e32 v56, vcc, 0, v50, vcc
	v_cmp_gt_u64_e64 s[8:9], s[24:25], v[55:56]
	v_mov_b32_e32 v23, 0
	v_mov_b32_e32 v19, 0
	;; [unrolled: 1-line block ×10, first 2 shown]
	s_and_saveexec_b64 s[10:11], s[8:9]
	s_cbranch_execz .LBB73_18
; %bb.17:                               ;   in Loop: Header=BB73_4 Depth=1
	v_lshlrev_b64 v[13:14], 4, v[55:56]
	v_mov_b32_e32 v15, s38
	v_add_co_u32_e32 v21, vcc, s37, v13
	v_addc_co_u32_e32 v22, vcc, v15, v14, vcc
	v_mov_b32_e32 v15, s36
	v_add_co_u32_e32 v57, vcc, s33, v13
	v_addc_co_u32_e32 v58, vcc, v15, v14, vcc
	global_load_dwordx4 v[13:16], v[57:58], off
	global_load_dwordx4 v[17:20], v[21:22], off
.LBB73_18:                              ;   in Loop: Header=BB73_4 Depth=1
	s_or_b64 exec, exec, s[10:11]
	v_mov_b32_e32 v21, 0
	v_mov_b32_e32 v22, 0
	s_and_saveexec_b64 s[10:11], s[8:9]
	s_cbranch_execz .LBB73_20
; %bb.19:                               ;   in Loop: Header=BB73_4 Depth=1
	v_lshlrev_b64 v[21:22], 4, v[55:56]
	v_mov_b32_e32 v23, s40
	v_add_co_u32_e32 v21, vcc, s39, v21
	v_addc_co_u32_e32 v22, vcc, v23, v22, vcc
	global_load_dwordx4 v[21:24], v[21:22], off
.LBB73_20:                              ;   in Loop: Header=BB73_4 Depth=1
	s_or_b64 exec, exec, s[10:11]
	s_waitcnt vmcnt(0)
	v_cmp_gt_f64_e32 vcc, 0, v[45:46]
	v_xor_b32_e32 v57, 0x80000000, v46
	v_mov_b32_e32 v61, v45
	v_mov_b32_e32 v63, v47
	s_mov_b64 s[12:13], -1
                                        ; implicit-def: $vgpr59_vgpr60
	v_cndmask_b32_e32 v62, v46, v57, vcc
	v_cmp_gt_f64_e32 vcc, 0, v[47:48]
	v_xor_b32_e32 v57, 0x80000000, v48
	v_cndmask_b32_e32 v64, v48, v57, vcc
	v_cmp_ge_f64_e64 s[10:11], v[61:62], v[63:64]
	s_and_b64 vcc, exec, s[28:29]
                                        ; implicit-def: $vgpr57_vgpr58
	s_cbranch_vccz .LBB73_30
; %bb.21:                               ;   in Loop: Header=BB73_4 Depth=1
                                        ; implicit-def: $vgpr57_vgpr58
                                        ; implicit-def: $vgpr59_vgpr60
	s_and_saveexec_b64 s[12:13], s[10:11]
	s_xor_b64 s[14:15], exec, s[12:13]
	s_cbranch_execz .LBB73_27
; %bb.22:                               ;   in Loop: Header=BB73_4 Depth=1
	v_cmp_neq_f64_e32 vcc, 0, v[45:46]
	v_cmp_neq_f64_e64 s[12:13], 0, v[47:48]
                                        ; implicit-def: $vgpr57_vgpr58
                                        ; implicit-def: $vgpr59_vgpr60
	s_or_b64 s[12:13], s[12:13], vcc
	s_and_saveexec_b64 s[30:31], s[12:13]
	s_xor_b64 s[12:13], exec, s[30:31]
	s_cbranch_execz .LBB73_24
; %bb.23:                               ;   in Loop: Header=BB73_4 Depth=1
	v_div_scale_f64 v[57:58], s[30:31], v[45:46], v[45:46], v[47:48]
	v_rcp_f64_e32 v[59:60], v[57:58]
	v_fma_f64 v[65:66], -v[57:58], v[59:60], 1.0
	v_fma_f64 v[59:60], v[59:60], v[65:66], v[59:60]
	v_div_scale_f64 v[65:66], vcc, v[47:48], v[45:46], v[47:48]
	v_fma_f64 v[67:68], -v[57:58], v[59:60], 1.0
	v_fma_f64 v[59:60], v[59:60], v[67:68], v[59:60]
	v_mul_f64 v[67:68], v[65:66], v[59:60]
	v_fma_f64 v[57:58], -v[57:58], v[67:68], v[65:66]
	v_div_fmas_f64 v[57:58], v[57:58], v[59:60], v[67:68]
	v_div_fixup_f64 v[57:58], v[57:58], v[45:46], v[47:48]
	v_fma_f64 v[59:60], v[47:48], v[57:58], v[45:46]
	v_div_scale_f64 v[65:66], s[30:31], v[59:60], v[59:60], 1.0
	v_rcp_f64_e32 v[67:68], v[65:66]
	v_fma_f64 v[69:70], -v[65:66], v[67:68], 1.0
	v_fma_f64 v[67:68], v[67:68], v[69:70], v[67:68]
	v_div_scale_f64 v[69:70], vcc, 1.0, v[59:60], 1.0
	v_fma_f64 v[71:72], -v[65:66], v[67:68], 1.0
	v_fma_f64 v[67:68], v[67:68], v[71:72], v[67:68]
	v_mul_f64 v[71:72], v[69:70], v[67:68]
	v_fma_f64 v[65:66], -v[65:66], v[71:72], v[69:70]
	v_div_fmas_f64 v[65:66], v[65:66], v[67:68], v[71:72]
	v_fma_f64 v[67:68], v[43:44], v[57:58], v[41:42]
	v_fma_f64 v[57:58], -v[41:42], v[57:58], v[43:44]
	v_div_fixup_f64 v[65:66], v[65:66], v[59:60], 1.0
	v_mul_f64 v[59:60], v[67:68], v[65:66]
	v_mul_f64 v[57:58], v[57:58], v[65:66]
.LBB73_24:                              ;   in Loop: Header=BB73_4 Depth=1
	s_andn2_saveexec_b64 s[30:31], s[12:13]
	s_cbranch_execz .LBB73_26
; %bb.25:                               ;   in Loop: Header=BB73_4 Depth=1
	v_div_scale_f64 v[57:58], s[12:13], v[61:62], v[61:62], v[41:42]
	v_div_scale_f64 v[59:60], s[12:13], v[63:64], v[63:64], v[43:44]
	v_div_scale_f64 v[73:74], s[12:13], v[43:44], v[63:64], v[43:44]
	v_rcp_f64_e32 v[65:66], v[57:58]
	v_rcp_f64_e32 v[67:68], v[59:60]
	v_fma_f64 v[69:70], -v[57:58], v[65:66], 1.0
	v_fma_f64 v[71:72], -v[59:60], v[67:68], 1.0
	v_fma_f64 v[65:66], v[65:66], v[69:70], v[65:66]
	v_div_scale_f64 v[69:70], vcc, v[41:42], v[61:62], v[41:42]
	v_fma_f64 v[67:68], v[67:68], v[71:72], v[67:68]
	v_fma_f64 v[71:72], -v[57:58], v[65:66], 1.0
	v_fma_f64 v[75:76], -v[59:60], v[67:68], 1.0
	v_fma_f64 v[65:66], v[65:66], v[71:72], v[65:66]
	v_fma_f64 v[67:68], v[67:68], v[75:76], v[67:68]
	v_mul_f64 v[71:72], v[69:70], v[65:66]
	v_mul_f64 v[75:76], v[73:74], v[67:68]
	v_fma_f64 v[57:58], -v[57:58], v[71:72], v[69:70]
	v_fma_f64 v[59:60], -v[59:60], v[75:76], v[73:74]
	v_div_fmas_f64 v[57:58], v[57:58], v[65:66], v[71:72]
	s_mov_b64 vcc, s[12:13]
	v_div_fmas_f64 v[65:66], v[59:60], v[67:68], v[75:76]
	v_div_fixup_f64 v[59:60], v[57:58], v[61:62], v[41:42]
	v_div_fixup_f64 v[57:58], v[65:66], v[63:64], v[43:44]
.LBB73_26:                              ;   in Loop: Header=BB73_4 Depth=1
	s_or_b64 exec, exec, s[30:31]
.LBB73_27:                              ;   in Loop: Header=BB73_4 Depth=1
	s_andn2_saveexec_b64 s[12:13], s[14:15]
	s_cbranch_execz .LBB73_29
; %bb.28:                               ;   in Loop: Header=BB73_4 Depth=1
	v_div_scale_f64 v[57:58], s[14:15], v[47:48], v[47:48], v[45:46]
	v_rcp_f64_e32 v[59:60], v[57:58]
	v_fma_f64 v[65:66], -v[57:58], v[59:60], 1.0
	v_fma_f64 v[59:60], v[59:60], v[65:66], v[59:60]
	v_div_scale_f64 v[65:66], vcc, v[45:46], v[47:48], v[45:46]
	v_fma_f64 v[67:68], -v[57:58], v[59:60], 1.0
	v_fma_f64 v[59:60], v[59:60], v[67:68], v[59:60]
	v_mul_f64 v[67:68], v[65:66], v[59:60]
	v_fma_f64 v[57:58], -v[57:58], v[67:68], v[65:66]
	v_div_fmas_f64 v[57:58], v[57:58], v[59:60], v[67:68]
	v_div_fixup_f64 v[57:58], v[57:58], v[47:48], v[45:46]
	v_fma_f64 v[59:60], v[45:46], v[57:58], v[47:48]
	v_div_scale_f64 v[65:66], s[14:15], v[59:60], v[59:60], 1.0
	v_rcp_f64_e32 v[67:68], v[65:66]
	v_fma_f64 v[69:70], -v[65:66], v[67:68], 1.0
	v_fma_f64 v[67:68], v[67:68], v[69:70], v[67:68]
	v_div_scale_f64 v[69:70], vcc, 1.0, v[59:60], 1.0
	v_fma_f64 v[71:72], -v[65:66], v[67:68], 1.0
	v_fma_f64 v[67:68], v[67:68], v[71:72], v[67:68]
	v_mul_f64 v[71:72], v[69:70], v[67:68]
	v_fma_f64 v[65:66], -v[65:66], v[71:72], v[69:70]
	v_div_fmas_f64 v[65:66], v[65:66], v[67:68], v[71:72]
	v_fma_f64 v[67:68], v[41:42], v[57:58], v[43:44]
	v_fma_f64 v[57:58], v[43:44], v[57:58], -v[41:42]
	v_div_fixup_f64 v[65:66], v[65:66], v[59:60], 1.0
	v_mul_f64 v[59:60], v[67:68], v[65:66]
	v_mul_f64 v[57:58], v[57:58], v[65:66]
.LBB73_29:                              ;   in Loop: Header=BB73_4 Depth=1
	s_or_b64 exec, exec, s[12:13]
	v_mul_f64 v[65:66], s[18:19], v[57:58]
	v_mul_f64 v[67:68], s[16:17], v[57:58]
	s_mov_b64 s[12:13], 0
	v_fma_f64 v[57:58], s[16:17], v[59:60], -v[65:66]
	v_fma_f64 v[59:60], s[18:19], v[59:60], v[67:68]
.LBB73_30:                              ;   in Loop: Header=BB73_4 Depth=1
	s_and_b64 vcc, exec, s[12:13]
	s_cbranch_vccz .LBB73_40
; %bb.31:                               ;   in Loop: Header=BB73_4 Depth=1
                                        ; implicit-def: $vgpr59_vgpr60
                                        ; implicit-def: $vgpr57_vgpr58
	s_and_saveexec_b64 s[12:13], s[10:11]
	s_xor_b64 s[12:13], exec, s[12:13]
	s_cbranch_execz .LBB73_37
; %bb.32:                               ;   in Loop: Header=BB73_4 Depth=1
	v_cmp_neq_f64_e32 vcc, 0, v[45:46]
	v_cmp_neq_f64_e64 s[10:11], 0, v[47:48]
                                        ; implicit-def: $vgpr59_vgpr60
                                        ; implicit-def: $vgpr57_vgpr58
	s_or_b64 s[10:11], s[10:11], vcc
	s_and_saveexec_b64 s[14:15], s[10:11]
	s_xor_b64 s[10:11], exec, s[14:15]
	s_cbranch_execz .LBB73_34
; %bb.33:                               ;   in Loop: Header=BB73_4 Depth=1
	v_div_scale_f64 v[57:58], s[14:15], v[45:46], v[45:46], v[47:48]
	v_rcp_f64_e32 v[59:60], v[57:58]
	v_fma_f64 v[61:62], -v[57:58], v[59:60], 1.0
	v_fma_f64 v[59:60], v[59:60], v[61:62], v[59:60]
	v_div_scale_f64 v[61:62], vcc, v[47:48], v[45:46], v[47:48]
	v_fma_f64 v[63:64], -v[57:58], v[59:60], 1.0
	v_fma_f64 v[59:60], v[59:60], v[63:64], v[59:60]
	v_mul_f64 v[63:64], v[61:62], v[59:60]
	v_fma_f64 v[57:58], -v[57:58], v[63:64], v[61:62]
	v_div_fmas_f64 v[57:58], v[57:58], v[59:60], v[63:64]
	v_div_fixup_f64 v[57:58], v[57:58], v[45:46], v[47:48]
	v_fma_f64 v[45:46], v[47:48], v[57:58], v[45:46]
	v_div_scale_f64 v[47:48], s[14:15], v[45:46], v[45:46], 1.0
	v_rcp_f64_e32 v[59:60], v[47:48]
	v_fma_f64 v[61:62], -v[47:48], v[59:60], 1.0
	v_fma_f64 v[59:60], v[59:60], v[61:62], v[59:60]
	v_div_scale_f64 v[61:62], vcc, 1.0, v[45:46], 1.0
	v_fma_f64 v[63:64], -v[47:48], v[59:60], 1.0
	v_fma_f64 v[59:60], v[59:60], v[63:64], v[59:60]
	v_mul_f64 v[63:64], v[61:62], v[59:60]
	v_fma_f64 v[47:48], -v[47:48], v[63:64], v[61:62]
                                        ; implicit-def: $vgpr61_vgpr62
	v_div_fmas_f64 v[47:48], v[47:48], v[59:60], v[63:64]
	v_fma_f64 v[59:60], v[43:44], v[57:58], v[41:42]
	v_fma_f64 v[41:42], -v[41:42], v[57:58], v[43:44]
                                        ; implicit-def: $vgpr63_vgpr64
	v_div_fixup_f64 v[45:46], v[47:48], v[45:46], 1.0
	v_mul_f64 v[57:58], v[59:60], v[45:46]
	v_mul_f64 v[59:60], v[41:42], v[45:46]
                                        ; implicit-def: $vgpr41_vgpr42
.LBB73_34:                              ;   in Loop: Header=BB73_4 Depth=1
	s_andn2_saveexec_b64 s[14:15], s[10:11]
	s_cbranch_execz .LBB73_36
; %bb.35:                               ;   in Loop: Header=BB73_4 Depth=1
	v_div_scale_f64 v[45:46], s[10:11], v[61:62], v[61:62], v[41:42]
	v_div_scale_f64 v[47:48], s[10:11], v[63:64], v[63:64], v[43:44]
	;; [unrolled: 1-line block ×3, first 2 shown]
	v_rcp_f64_e32 v[57:58], v[45:46]
	v_rcp_f64_e32 v[59:60], v[47:48]
	v_fma_f64 v[65:66], -v[45:46], v[57:58], 1.0
	v_fma_f64 v[67:68], -v[47:48], v[59:60], 1.0
	v_fma_f64 v[57:58], v[57:58], v[65:66], v[57:58]
	v_div_scale_f64 v[65:66], vcc, v[41:42], v[61:62], v[41:42]
	v_fma_f64 v[59:60], v[59:60], v[67:68], v[59:60]
	v_fma_f64 v[67:68], -v[45:46], v[57:58], 1.0
	v_fma_f64 v[71:72], -v[47:48], v[59:60], 1.0
	v_fma_f64 v[57:58], v[57:58], v[67:68], v[57:58]
	v_fma_f64 v[59:60], v[59:60], v[71:72], v[59:60]
	v_mul_f64 v[67:68], v[65:66], v[57:58]
	v_mul_f64 v[71:72], v[69:70], v[59:60]
	v_fma_f64 v[45:46], -v[45:46], v[67:68], v[65:66]
	v_fma_f64 v[47:48], -v[47:48], v[71:72], v[69:70]
	v_div_fmas_f64 v[45:46], v[45:46], v[57:58], v[67:68]
	s_mov_b64 vcc, s[10:11]
	v_div_fmas_f64 v[47:48], v[47:48], v[59:60], v[71:72]
	v_div_fixup_f64 v[57:58], v[45:46], v[61:62], v[41:42]
	v_div_fixup_f64 v[59:60], v[47:48], v[63:64], v[43:44]
.LBB73_36:                              ;   in Loop: Header=BB73_4 Depth=1
	s_or_b64 exec, exec, s[14:15]
                                        ; implicit-def: $vgpr47_vgpr48
                                        ; implicit-def: $vgpr41_vgpr42
.LBB73_37:                              ;   in Loop: Header=BB73_4 Depth=1
	s_andn2_saveexec_b64 s[10:11], s[12:13]
	s_cbranch_execz .LBB73_39
; %bb.38:                               ;   in Loop: Header=BB73_4 Depth=1
	v_div_scale_f64 v[57:58], s[12:13], v[47:48], v[47:48], v[45:46]
	v_rcp_f64_e32 v[59:60], v[57:58]
	v_fma_f64 v[61:62], -v[57:58], v[59:60], 1.0
	v_fma_f64 v[59:60], v[59:60], v[61:62], v[59:60]
	v_div_scale_f64 v[61:62], vcc, v[45:46], v[47:48], v[45:46]
	v_fma_f64 v[63:64], -v[57:58], v[59:60], 1.0
	v_fma_f64 v[59:60], v[59:60], v[63:64], v[59:60]
	v_mul_f64 v[63:64], v[61:62], v[59:60]
	v_fma_f64 v[57:58], -v[57:58], v[63:64], v[61:62]
	v_div_fmas_f64 v[57:58], v[57:58], v[59:60], v[63:64]
	v_div_fixup_f64 v[57:58], v[57:58], v[47:48], v[45:46]
	v_fma_f64 v[45:46], v[45:46], v[57:58], v[47:48]
	v_div_scale_f64 v[47:48], s[12:13], v[45:46], v[45:46], 1.0
	v_rcp_f64_e32 v[59:60], v[47:48]
	v_fma_f64 v[61:62], -v[47:48], v[59:60], 1.0
	v_fma_f64 v[59:60], v[59:60], v[61:62], v[59:60]
	v_div_scale_f64 v[61:62], vcc, 1.0, v[45:46], 1.0
	v_fma_f64 v[63:64], -v[47:48], v[59:60], 1.0
	v_fma_f64 v[59:60], v[59:60], v[63:64], v[59:60]
	v_mul_f64 v[63:64], v[61:62], v[59:60]
	v_fma_f64 v[47:48], -v[47:48], v[63:64], v[61:62]
	v_div_fmas_f64 v[47:48], v[47:48], v[59:60], v[63:64]
	v_fma_f64 v[59:60], v[41:42], v[57:58], v[43:44]
	v_fma_f64 v[41:42], v[43:44], v[57:58], -v[41:42]
	v_div_fixup_f64 v[45:46], v[47:48], v[45:46], 1.0
	v_mul_f64 v[57:58], v[59:60], v[45:46]
	v_mul_f64 v[59:60], v[41:42], v[45:46]
.LBB73_39:                              ;   in Loop: Header=BB73_4 Depth=1
	s_or_b64 exec, exec, s[10:11]
.LBB73_40:                              ;   in Loop: Header=BB73_4 Depth=1
	v_cmp_gt_f64_e32 vcc, 0, v[37:38]
	v_xor_b32_e32 v41, 0x80000000, v38
	v_mov_b32_e32 v45, v37
	v_mov_b32_e32 v47, v39
	s_mov_b64 s[14:15], -1
                                        ; implicit-def: $vgpr43_vgpr44
	v_cndmask_b32_e32 v46, v38, v41, vcc
	v_cmp_gt_f64_e32 vcc, 0, v[39:40]
	v_xor_b32_e32 v41, 0x80000000, v40
	v_cndmask_b32_e32 v48, v40, v41, vcc
	v_cmp_ge_f64_e64 s[12:13], v[45:46], v[47:48]
	v_cndmask_b32_e64 v41, 0, 1, s[28:29]
	v_cmp_ne_u32_e64 s[10:11], 1, v41
	s_andn2_b64 vcc, exec, s[28:29]
                                        ; implicit-def: $vgpr41_vgpr42
	s_cbranch_vccnz .LBB73_50
; %bb.41:                               ;   in Loop: Header=BB73_4 Depth=1
                                        ; implicit-def: $vgpr41_vgpr42
                                        ; implicit-def: $vgpr43_vgpr44
	s_and_saveexec_b64 s[14:15], s[12:13]
	s_xor_b64 s[30:31], exec, s[14:15]
	s_cbranch_execz .LBB73_47
; %bb.42:                               ;   in Loop: Header=BB73_4 Depth=1
	v_cmp_neq_f64_e32 vcc, 0, v[37:38]
	v_cmp_neq_f64_e64 s[14:15], 0, v[39:40]
                                        ; implicit-def: $vgpr41_vgpr42
                                        ; implicit-def: $vgpr43_vgpr44
	s_or_b64 s[14:15], s[14:15], vcc
	s_and_saveexec_b64 s[34:35], s[14:15]
	s_xor_b64 s[14:15], exec, s[34:35]
	s_cbranch_execz .LBB73_44
; %bb.43:                               ;   in Loop: Header=BB73_4 Depth=1
	v_div_scale_f64 v[41:42], s[34:35], v[37:38], v[37:38], v[39:40]
	v_rcp_f64_e32 v[43:44], v[41:42]
	v_fma_f64 v[61:62], -v[41:42], v[43:44], 1.0
	v_fma_f64 v[43:44], v[43:44], v[61:62], v[43:44]
	v_div_scale_f64 v[61:62], vcc, v[39:40], v[37:38], v[39:40]
	v_fma_f64 v[63:64], -v[41:42], v[43:44], 1.0
	v_fma_f64 v[43:44], v[43:44], v[63:64], v[43:44]
	v_mul_f64 v[63:64], v[61:62], v[43:44]
	v_fma_f64 v[41:42], -v[41:42], v[63:64], v[61:62]
	v_div_fmas_f64 v[41:42], v[41:42], v[43:44], v[63:64]
	v_div_fixup_f64 v[41:42], v[41:42], v[37:38], v[39:40]
	v_fma_f64 v[43:44], v[39:40], v[41:42], v[37:38]
	v_div_scale_f64 v[61:62], s[34:35], v[43:44], v[43:44], 1.0
	v_rcp_f64_e32 v[63:64], v[61:62]
	v_fma_f64 v[65:66], -v[61:62], v[63:64], 1.0
	v_fma_f64 v[63:64], v[63:64], v[65:66], v[63:64]
	v_div_scale_f64 v[65:66], vcc, 1.0, v[43:44], 1.0
	v_fma_f64 v[67:68], -v[61:62], v[63:64], 1.0
	v_fma_f64 v[63:64], v[63:64], v[67:68], v[63:64]
	v_mul_f64 v[67:68], v[65:66], v[63:64]
	v_fma_f64 v[61:62], -v[61:62], v[67:68], v[65:66]
	v_div_fmas_f64 v[61:62], v[61:62], v[63:64], v[67:68]
	v_fma_f64 v[63:64], v[35:36], v[41:42], v[33:34]
	v_fma_f64 v[41:42], -v[33:34], v[41:42], v[35:36]
	v_div_fixup_f64 v[61:62], v[61:62], v[43:44], 1.0
	v_mul_f64 v[43:44], v[63:64], v[61:62]
	v_mul_f64 v[41:42], v[41:42], v[61:62]
.LBB73_44:                              ;   in Loop: Header=BB73_4 Depth=1
	s_andn2_saveexec_b64 s[34:35], s[14:15]
	s_cbranch_execz .LBB73_46
; %bb.45:                               ;   in Loop: Header=BB73_4 Depth=1
	v_div_scale_f64 v[41:42], s[14:15], v[45:46], v[45:46], v[33:34]
	v_div_scale_f64 v[43:44], s[14:15], v[47:48], v[47:48], v[35:36]
	;; [unrolled: 1-line block ×3, first 2 shown]
	v_rcp_f64_e32 v[61:62], v[41:42]
	v_rcp_f64_e32 v[63:64], v[43:44]
	v_fma_f64 v[65:66], -v[41:42], v[61:62], 1.0
	v_fma_f64 v[67:68], -v[43:44], v[63:64], 1.0
	v_fma_f64 v[61:62], v[61:62], v[65:66], v[61:62]
	v_div_scale_f64 v[65:66], vcc, v[33:34], v[45:46], v[33:34]
	v_fma_f64 v[63:64], v[63:64], v[67:68], v[63:64]
	v_fma_f64 v[67:68], -v[41:42], v[61:62], 1.0
	v_fma_f64 v[71:72], -v[43:44], v[63:64], 1.0
	v_fma_f64 v[61:62], v[61:62], v[67:68], v[61:62]
	v_fma_f64 v[63:64], v[63:64], v[71:72], v[63:64]
	v_mul_f64 v[67:68], v[65:66], v[61:62]
	v_mul_f64 v[71:72], v[69:70], v[63:64]
	v_fma_f64 v[41:42], -v[41:42], v[67:68], v[65:66]
	v_fma_f64 v[43:44], -v[43:44], v[71:72], v[69:70]
	v_div_fmas_f64 v[41:42], v[41:42], v[61:62], v[67:68]
	s_mov_b64 vcc, s[14:15]
	v_div_fmas_f64 v[61:62], v[43:44], v[63:64], v[71:72]
	v_div_fixup_f64 v[43:44], v[41:42], v[45:46], v[33:34]
	v_div_fixup_f64 v[41:42], v[61:62], v[47:48], v[35:36]
.LBB73_46:                              ;   in Loop: Header=BB73_4 Depth=1
	s_or_b64 exec, exec, s[34:35]
.LBB73_47:                              ;   in Loop: Header=BB73_4 Depth=1
	s_andn2_saveexec_b64 s[14:15], s[30:31]
	s_cbranch_execz .LBB73_49
; %bb.48:                               ;   in Loop: Header=BB73_4 Depth=1
	v_div_scale_f64 v[41:42], s[30:31], v[39:40], v[39:40], v[37:38]
	v_rcp_f64_e32 v[43:44], v[41:42]
	v_fma_f64 v[61:62], -v[41:42], v[43:44], 1.0
	v_fma_f64 v[43:44], v[43:44], v[61:62], v[43:44]
	v_div_scale_f64 v[61:62], vcc, v[37:38], v[39:40], v[37:38]
	v_fma_f64 v[63:64], -v[41:42], v[43:44], 1.0
	v_fma_f64 v[43:44], v[43:44], v[63:64], v[43:44]
	v_mul_f64 v[63:64], v[61:62], v[43:44]
	v_fma_f64 v[41:42], -v[41:42], v[63:64], v[61:62]
	v_div_fmas_f64 v[41:42], v[41:42], v[43:44], v[63:64]
	v_div_fixup_f64 v[41:42], v[41:42], v[39:40], v[37:38]
	v_fma_f64 v[43:44], v[37:38], v[41:42], v[39:40]
	v_div_scale_f64 v[61:62], s[30:31], v[43:44], v[43:44], 1.0
	v_rcp_f64_e32 v[63:64], v[61:62]
	v_fma_f64 v[65:66], -v[61:62], v[63:64], 1.0
	v_fma_f64 v[63:64], v[63:64], v[65:66], v[63:64]
	v_div_scale_f64 v[65:66], vcc, 1.0, v[43:44], 1.0
	v_fma_f64 v[67:68], -v[61:62], v[63:64], 1.0
	v_fma_f64 v[63:64], v[63:64], v[67:68], v[63:64]
	v_mul_f64 v[67:68], v[65:66], v[63:64]
	v_fma_f64 v[61:62], -v[61:62], v[67:68], v[65:66]
	v_div_fmas_f64 v[61:62], v[61:62], v[63:64], v[67:68]
	v_fma_f64 v[63:64], v[33:34], v[41:42], v[35:36]
	v_fma_f64 v[41:42], v[35:36], v[41:42], -v[33:34]
	v_div_fixup_f64 v[61:62], v[61:62], v[43:44], 1.0
	v_mul_f64 v[43:44], v[63:64], v[61:62]
	v_mul_f64 v[41:42], v[41:42], v[61:62]
.LBB73_49:                              ;   in Loop: Header=BB73_4 Depth=1
	s_or_b64 exec, exec, s[14:15]
	v_mul_f64 v[61:62], s[18:19], v[41:42]
	v_mul_f64 v[63:64], s[16:17], v[41:42]
	s_mov_b64 s[14:15], 0
	v_fma_f64 v[41:42], s[16:17], v[43:44], -v[61:62]
	v_fma_f64 v[43:44], s[18:19], v[43:44], v[63:64]
.LBB73_50:                              ;   in Loop: Header=BB73_4 Depth=1
	s_and_b64 vcc, exec, s[14:15]
	s_cbranch_vccz .LBB73_60
; %bb.51:                               ;   in Loop: Header=BB73_4 Depth=1
                                        ; implicit-def: $vgpr43_vgpr44
                                        ; implicit-def: $vgpr41_vgpr42
	s_and_saveexec_b64 s[14:15], s[12:13]
	s_xor_b64 s[14:15], exec, s[14:15]
	s_cbranch_execz .LBB73_57
; %bb.52:                               ;   in Loop: Header=BB73_4 Depth=1
	v_cmp_neq_f64_e32 vcc, 0, v[37:38]
	v_cmp_neq_f64_e64 s[12:13], 0, v[39:40]
                                        ; implicit-def: $vgpr43_vgpr44
                                        ; implicit-def: $vgpr41_vgpr42
	s_or_b64 s[12:13], s[12:13], vcc
	s_and_saveexec_b64 s[30:31], s[12:13]
	s_xor_b64 s[12:13], exec, s[30:31]
	s_cbranch_execz .LBB73_54
; %bb.53:                               ;   in Loop: Header=BB73_4 Depth=1
	v_div_scale_f64 v[41:42], s[30:31], v[37:38], v[37:38], v[39:40]
	v_rcp_f64_e32 v[43:44], v[41:42]
	v_fma_f64 v[45:46], -v[41:42], v[43:44], 1.0
	v_fma_f64 v[43:44], v[43:44], v[45:46], v[43:44]
	v_div_scale_f64 v[45:46], vcc, v[39:40], v[37:38], v[39:40]
	v_fma_f64 v[47:48], -v[41:42], v[43:44], 1.0
	v_fma_f64 v[43:44], v[43:44], v[47:48], v[43:44]
	v_mul_f64 v[47:48], v[45:46], v[43:44]
	v_fma_f64 v[41:42], -v[41:42], v[47:48], v[45:46]
	v_div_fmas_f64 v[41:42], v[41:42], v[43:44], v[47:48]
	v_div_fixup_f64 v[41:42], v[41:42], v[37:38], v[39:40]
	v_fma_f64 v[37:38], v[39:40], v[41:42], v[37:38]
	v_div_scale_f64 v[39:40], s[30:31], v[37:38], v[37:38], 1.0
	v_rcp_f64_e32 v[43:44], v[39:40]
	v_fma_f64 v[45:46], -v[39:40], v[43:44], 1.0
	v_fma_f64 v[43:44], v[43:44], v[45:46], v[43:44]
	v_div_scale_f64 v[45:46], vcc, 1.0, v[37:38], 1.0
	v_fma_f64 v[47:48], -v[39:40], v[43:44], 1.0
	v_fma_f64 v[43:44], v[43:44], v[47:48], v[43:44]
	v_mul_f64 v[47:48], v[45:46], v[43:44]
	v_fma_f64 v[39:40], -v[39:40], v[47:48], v[45:46]
                                        ; implicit-def: $vgpr45_vgpr46
	v_div_fmas_f64 v[39:40], v[39:40], v[43:44], v[47:48]
	v_fma_f64 v[43:44], v[35:36], v[41:42], v[33:34]
	v_fma_f64 v[33:34], -v[33:34], v[41:42], v[35:36]
                                        ; implicit-def: $vgpr47_vgpr48
	v_div_fixup_f64 v[37:38], v[39:40], v[37:38], 1.0
	v_mul_f64 v[41:42], v[43:44], v[37:38]
	v_mul_f64 v[43:44], v[33:34], v[37:38]
                                        ; implicit-def: $vgpr33_vgpr34
.LBB73_54:                              ;   in Loop: Header=BB73_4 Depth=1
	s_andn2_saveexec_b64 s[30:31], s[12:13]
	s_cbranch_execz .LBB73_56
; %bb.55:                               ;   in Loop: Header=BB73_4 Depth=1
	v_div_scale_f64 v[37:38], s[12:13], v[45:46], v[45:46], v[33:34]
	v_div_scale_f64 v[39:40], s[12:13], v[47:48], v[47:48], v[35:36]
	;; [unrolled: 1-line block ×3, first 2 shown]
	v_rcp_f64_e32 v[41:42], v[37:38]
	v_rcp_f64_e32 v[43:44], v[39:40]
	v_fma_f64 v[61:62], -v[37:38], v[41:42], 1.0
	v_fma_f64 v[63:64], -v[39:40], v[43:44], 1.0
	v_fma_f64 v[41:42], v[41:42], v[61:62], v[41:42]
	v_div_scale_f64 v[61:62], vcc, v[33:34], v[45:46], v[33:34]
	v_fma_f64 v[43:44], v[43:44], v[63:64], v[43:44]
	v_fma_f64 v[63:64], -v[37:38], v[41:42], 1.0
	v_fma_f64 v[67:68], -v[39:40], v[43:44], 1.0
	v_fma_f64 v[41:42], v[41:42], v[63:64], v[41:42]
	v_fma_f64 v[43:44], v[43:44], v[67:68], v[43:44]
	v_mul_f64 v[63:64], v[61:62], v[41:42]
	v_mul_f64 v[67:68], v[65:66], v[43:44]
	v_fma_f64 v[37:38], -v[37:38], v[63:64], v[61:62]
	v_fma_f64 v[39:40], -v[39:40], v[67:68], v[65:66]
	v_div_fmas_f64 v[37:38], v[37:38], v[41:42], v[63:64]
	s_mov_b64 vcc, s[12:13]
	v_div_fmas_f64 v[39:40], v[39:40], v[43:44], v[67:68]
	v_div_fixup_f64 v[41:42], v[37:38], v[45:46], v[33:34]
	v_div_fixup_f64 v[43:44], v[39:40], v[47:48], v[35:36]
.LBB73_56:                              ;   in Loop: Header=BB73_4 Depth=1
	s_or_b64 exec, exec, s[30:31]
                                        ; implicit-def: $vgpr39_vgpr40
                                        ; implicit-def: $vgpr33_vgpr34
.LBB73_57:                              ;   in Loop: Header=BB73_4 Depth=1
	s_andn2_saveexec_b64 s[12:13], s[14:15]
	s_cbranch_execz .LBB73_59
; %bb.58:                               ;   in Loop: Header=BB73_4 Depth=1
	v_div_scale_f64 v[41:42], s[14:15], v[39:40], v[39:40], v[37:38]
	v_rcp_f64_e32 v[43:44], v[41:42]
	v_fma_f64 v[45:46], -v[41:42], v[43:44], 1.0
	v_fma_f64 v[43:44], v[43:44], v[45:46], v[43:44]
	v_div_scale_f64 v[45:46], vcc, v[37:38], v[39:40], v[37:38]
	v_fma_f64 v[47:48], -v[41:42], v[43:44], 1.0
	v_fma_f64 v[43:44], v[43:44], v[47:48], v[43:44]
	v_mul_f64 v[47:48], v[45:46], v[43:44]
	v_fma_f64 v[41:42], -v[41:42], v[47:48], v[45:46]
	v_div_fmas_f64 v[41:42], v[41:42], v[43:44], v[47:48]
	v_div_fixup_f64 v[41:42], v[41:42], v[39:40], v[37:38]
	v_fma_f64 v[37:38], v[37:38], v[41:42], v[39:40]
	v_div_scale_f64 v[39:40], s[14:15], v[37:38], v[37:38], 1.0
	v_rcp_f64_e32 v[43:44], v[39:40]
	v_fma_f64 v[45:46], -v[39:40], v[43:44], 1.0
	v_fma_f64 v[43:44], v[43:44], v[45:46], v[43:44]
	v_div_scale_f64 v[45:46], vcc, 1.0, v[37:38], 1.0
	v_fma_f64 v[47:48], -v[39:40], v[43:44], 1.0
	v_fma_f64 v[43:44], v[43:44], v[47:48], v[43:44]
	v_mul_f64 v[47:48], v[45:46], v[43:44]
	v_fma_f64 v[39:40], -v[39:40], v[47:48], v[45:46]
	v_div_fmas_f64 v[39:40], v[39:40], v[43:44], v[47:48]
	v_fma_f64 v[43:44], v[33:34], v[41:42], v[35:36]
	v_fma_f64 v[33:34], v[35:36], v[41:42], -v[33:34]
	v_div_fixup_f64 v[37:38], v[39:40], v[37:38], 1.0
	v_mul_f64 v[41:42], v[43:44], v[37:38]
	v_mul_f64 v[43:44], v[33:34], v[37:38]
.LBB73_59:                              ;   in Loop: Header=BB73_4 Depth=1
	s_or_b64 exec, exec, s[12:13]
.LBB73_60:                              ;   in Loop: Header=BB73_4 Depth=1
	v_cmp_gt_f64_e32 vcc, 0, v[29:30]
	v_xor_b32_e32 v33, 0x80000000, v30
	v_mov_b32_e32 v37, v29
	v_mov_b32_e32 v39, v31
	s_mov_b64 s[14:15], -1
                                        ; implicit-def: $vgpr35_vgpr36
	v_cndmask_b32_e32 v38, v30, v33, vcc
	v_cmp_gt_f64_e32 vcc, 0, v[31:32]
	v_xor_b32_e32 v33, 0x80000000, v32
	v_cndmask_b32_e32 v40, v32, v33, vcc
	v_cmp_ge_f64_e64 s[12:13], v[37:38], v[39:40]
	s_and_b64 vcc, exec, s[10:11]
                                        ; implicit-def: $vgpr33_vgpr34
	s_cbranch_vccnz .LBB73_70
; %bb.61:                               ;   in Loop: Header=BB73_4 Depth=1
                                        ; implicit-def: $vgpr33_vgpr34
                                        ; implicit-def: $vgpr35_vgpr36
	s_and_saveexec_b64 s[14:15], s[12:13]
	s_xor_b64 s[30:31], exec, s[14:15]
	s_cbranch_execz .LBB73_67
; %bb.62:                               ;   in Loop: Header=BB73_4 Depth=1
	v_cmp_neq_f64_e32 vcc, 0, v[29:30]
	v_cmp_neq_f64_e64 s[14:15], 0, v[31:32]
                                        ; implicit-def: $vgpr33_vgpr34
                                        ; implicit-def: $vgpr35_vgpr36
	s_or_b64 s[14:15], s[14:15], vcc
	s_and_saveexec_b64 s[34:35], s[14:15]
	s_xor_b64 s[14:15], exec, s[34:35]
	s_cbranch_execz .LBB73_64
; %bb.63:                               ;   in Loop: Header=BB73_4 Depth=1
	v_div_scale_f64 v[33:34], s[34:35], v[29:30], v[29:30], v[31:32]
	v_rcp_f64_e32 v[35:36], v[33:34]
	v_fma_f64 v[45:46], -v[33:34], v[35:36], 1.0
	v_fma_f64 v[35:36], v[35:36], v[45:46], v[35:36]
	v_div_scale_f64 v[45:46], vcc, v[31:32], v[29:30], v[31:32]
	v_fma_f64 v[47:48], -v[33:34], v[35:36], 1.0
	v_fma_f64 v[35:36], v[35:36], v[47:48], v[35:36]
	v_mul_f64 v[47:48], v[45:46], v[35:36]
	v_fma_f64 v[33:34], -v[33:34], v[47:48], v[45:46]
	v_div_fmas_f64 v[33:34], v[33:34], v[35:36], v[47:48]
	v_div_fixup_f64 v[33:34], v[33:34], v[29:30], v[31:32]
	v_fma_f64 v[35:36], v[31:32], v[33:34], v[29:30]
	v_div_scale_f64 v[45:46], s[34:35], v[35:36], v[35:36], 1.0
	v_rcp_f64_e32 v[47:48], v[45:46]
	v_fma_f64 v[61:62], -v[45:46], v[47:48], 1.0
	v_fma_f64 v[47:48], v[47:48], v[61:62], v[47:48]
	v_div_scale_f64 v[61:62], vcc, 1.0, v[35:36], 1.0
	v_fma_f64 v[63:64], -v[45:46], v[47:48], 1.0
	v_fma_f64 v[47:48], v[47:48], v[63:64], v[47:48]
	v_mul_f64 v[63:64], v[61:62], v[47:48]
	v_fma_f64 v[45:46], -v[45:46], v[63:64], v[61:62]
	v_div_fmas_f64 v[45:46], v[45:46], v[47:48], v[63:64]
	v_fma_f64 v[47:48], v[27:28], v[33:34], v[25:26]
	v_fma_f64 v[33:34], -v[25:26], v[33:34], v[27:28]
	v_div_fixup_f64 v[45:46], v[45:46], v[35:36], 1.0
	v_mul_f64 v[35:36], v[47:48], v[45:46]
	v_mul_f64 v[33:34], v[33:34], v[45:46]
.LBB73_64:                              ;   in Loop: Header=BB73_4 Depth=1
	s_andn2_saveexec_b64 s[34:35], s[14:15]
	s_cbranch_execz .LBB73_66
; %bb.65:                               ;   in Loop: Header=BB73_4 Depth=1
	v_div_scale_f64 v[33:34], s[14:15], v[37:38], v[37:38], v[25:26]
	v_div_scale_f64 v[35:36], s[14:15], v[39:40], v[39:40], v[27:28]
	;; [unrolled: 1-line block ×3, first 2 shown]
	v_rcp_f64_e32 v[45:46], v[33:34]
	v_rcp_f64_e32 v[47:48], v[35:36]
	v_fma_f64 v[61:62], -v[33:34], v[45:46], 1.0
	v_fma_f64 v[63:64], -v[35:36], v[47:48], 1.0
	v_fma_f64 v[45:46], v[45:46], v[61:62], v[45:46]
	v_div_scale_f64 v[61:62], vcc, v[25:26], v[37:38], v[25:26]
	v_fma_f64 v[47:48], v[47:48], v[63:64], v[47:48]
	v_fma_f64 v[63:64], -v[33:34], v[45:46], 1.0
	v_fma_f64 v[67:68], -v[35:36], v[47:48], 1.0
	v_fma_f64 v[45:46], v[45:46], v[63:64], v[45:46]
	v_fma_f64 v[47:48], v[47:48], v[67:68], v[47:48]
	v_mul_f64 v[63:64], v[61:62], v[45:46]
	v_mul_f64 v[67:68], v[65:66], v[47:48]
	v_fma_f64 v[33:34], -v[33:34], v[63:64], v[61:62]
	v_fma_f64 v[35:36], -v[35:36], v[67:68], v[65:66]
	v_div_fmas_f64 v[33:34], v[33:34], v[45:46], v[63:64]
	s_mov_b64 vcc, s[14:15]
	v_div_fmas_f64 v[45:46], v[35:36], v[47:48], v[67:68]
	v_div_fixup_f64 v[35:36], v[33:34], v[37:38], v[25:26]
	v_div_fixup_f64 v[33:34], v[45:46], v[39:40], v[27:28]
.LBB73_66:                              ;   in Loop: Header=BB73_4 Depth=1
	s_or_b64 exec, exec, s[34:35]
.LBB73_67:                              ;   in Loop: Header=BB73_4 Depth=1
	s_andn2_saveexec_b64 s[14:15], s[30:31]
	s_cbranch_execz .LBB73_69
; %bb.68:                               ;   in Loop: Header=BB73_4 Depth=1
	v_div_scale_f64 v[33:34], s[30:31], v[31:32], v[31:32], v[29:30]
	v_rcp_f64_e32 v[35:36], v[33:34]
	v_fma_f64 v[45:46], -v[33:34], v[35:36], 1.0
	v_fma_f64 v[35:36], v[35:36], v[45:46], v[35:36]
	v_div_scale_f64 v[45:46], vcc, v[29:30], v[31:32], v[29:30]
	v_fma_f64 v[47:48], -v[33:34], v[35:36], 1.0
	v_fma_f64 v[35:36], v[35:36], v[47:48], v[35:36]
	v_mul_f64 v[47:48], v[45:46], v[35:36]
	v_fma_f64 v[33:34], -v[33:34], v[47:48], v[45:46]
	v_div_fmas_f64 v[33:34], v[33:34], v[35:36], v[47:48]
	v_div_fixup_f64 v[33:34], v[33:34], v[31:32], v[29:30]
	v_fma_f64 v[35:36], v[29:30], v[33:34], v[31:32]
	v_div_scale_f64 v[45:46], s[30:31], v[35:36], v[35:36], 1.0
	v_rcp_f64_e32 v[47:48], v[45:46]
	v_fma_f64 v[61:62], -v[45:46], v[47:48], 1.0
	v_fma_f64 v[47:48], v[47:48], v[61:62], v[47:48]
	v_div_scale_f64 v[61:62], vcc, 1.0, v[35:36], 1.0
	v_fma_f64 v[63:64], -v[45:46], v[47:48], 1.0
	v_fma_f64 v[47:48], v[47:48], v[63:64], v[47:48]
	v_mul_f64 v[63:64], v[61:62], v[47:48]
	v_fma_f64 v[45:46], -v[45:46], v[63:64], v[61:62]
	v_div_fmas_f64 v[45:46], v[45:46], v[47:48], v[63:64]
	v_fma_f64 v[47:48], v[25:26], v[33:34], v[27:28]
	v_fma_f64 v[33:34], v[27:28], v[33:34], -v[25:26]
	v_div_fixup_f64 v[45:46], v[45:46], v[35:36], 1.0
	v_mul_f64 v[35:36], v[47:48], v[45:46]
	v_mul_f64 v[33:34], v[33:34], v[45:46]
.LBB73_69:                              ;   in Loop: Header=BB73_4 Depth=1
	s_or_b64 exec, exec, s[14:15]
	v_mul_f64 v[45:46], s[18:19], v[33:34]
	v_mul_f64 v[47:48], s[16:17], v[33:34]
	s_mov_b64 s[14:15], 0
	v_fma_f64 v[33:34], s[16:17], v[35:36], -v[45:46]
	v_fma_f64 v[35:36], s[18:19], v[35:36], v[47:48]
.LBB73_70:                              ;   in Loop: Header=BB73_4 Depth=1
	s_and_b64 vcc, exec, s[14:15]
	s_cbranch_vccz .LBB73_80
; %bb.71:                               ;   in Loop: Header=BB73_4 Depth=1
                                        ; implicit-def: $vgpr35_vgpr36
                                        ; implicit-def: $vgpr33_vgpr34
	s_and_saveexec_b64 s[14:15], s[12:13]
	s_xor_b64 s[14:15], exec, s[14:15]
	s_cbranch_execz .LBB73_77
; %bb.72:                               ;   in Loop: Header=BB73_4 Depth=1
	v_cmp_neq_f64_e32 vcc, 0, v[29:30]
	v_cmp_neq_f64_e64 s[12:13], 0, v[31:32]
                                        ; implicit-def: $vgpr35_vgpr36
                                        ; implicit-def: $vgpr33_vgpr34
	s_or_b64 s[12:13], s[12:13], vcc
	s_and_saveexec_b64 s[30:31], s[12:13]
	s_xor_b64 s[12:13], exec, s[30:31]
	s_cbranch_execz .LBB73_74
; %bb.73:                               ;   in Loop: Header=BB73_4 Depth=1
	v_div_scale_f64 v[33:34], s[30:31], v[29:30], v[29:30], v[31:32]
	v_rcp_f64_e32 v[35:36], v[33:34]
	v_fma_f64 v[37:38], -v[33:34], v[35:36], 1.0
	v_fma_f64 v[35:36], v[35:36], v[37:38], v[35:36]
	v_div_scale_f64 v[37:38], vcc, v[31:32], v[29:30], v[31:32]
	v_fma_f64 v[39:40], -v[33:34], v[35:36], 1.0
	v_fma_f64 v[35:36], v[35:36], v[39:40], v[35:36]
	v_mul_f64 v[39:40], v[37:38], v[35:36]
	v_fma_f64 v[33:34], -v[33:34], v[39:40], v[37:38]
	v_div_fmas_f64 v[33:34], v[33:34], v[35:36], v[39:40]
	v_div_fixup_f64 v[33:34], v[33:34], v[29:30], v[31:32]
	v_fma_f64 v[29:30], v[31:32], v[33:34], v[29:30]
	v_div_scale_f64 v[31:32], s[30:31], v[29:30], v[29:30], 1.0
	v_rcp_f64_e32 v[35:36], v[31:32]
	v_fma_f64 v[37:38], -v[31:32], v[35:36], 1.0
	v_fma_f64 v[35:36], v[35:36], v[37:38], v[35:36]
	v_div_scale_f64 v[37:38], vcc, 1.0, v[29:30], 1.0
	v_fma_f64 v[39:40], -v[31:32], v[35:36], 1.0
	v_fma_f64 v[35:36], v[35:36], v[39:40], v[35:36]
	v_mul_f64 v[39:40], v[37:38], v[35:36]
	v_fma_f64 v[31:32], -v[31:32], v[39:40], v[37:38]
                                        ; implicit-def: $vgpr37_vgpr38
	v_div_fmas_f64 v[31:32], v[31:32], v[35:36], v[39:40]
	v_fma_f64 v[35:36], v[27:28], v[33:34], v[25:26]
	v_fma_f64 v[25:26], -v[25:26], v[33:34], v[27:28]
                                        ; implicit-def: $vgpr39_vgpr40
	v_div_fixup_f64 v[29:30], v[31:32], v[29:30], 1.0
	v_mul_f64 v[33:34], v[35:36], v[29:30]
	v_mul_f64 v[35:36], v[25:26], v[29:30]
                                        ; implicit-def: $vgpr25_vgpr26
.LBB73_74:                              ;   in Loop: Header=BB73_4 Depth=1
	s_andn2_saveexec_b64 s[30:31], s[12:13]
	s_cbranch_execz .LBB73_76
; %bb.75:                               ;   in Loop: Header=BB73_4 Depth=1
	v_div_scale_f64 v[29:30], s[12:13], v[37:38], v[37:38], v[25:26]
	v_div_scale_f64 v[31:32], s[12:13], v[39:40], v[39:40], v[27:28]
	;; [unrolled: 1-line block ×3, first 2 shown]
	v_rcp_f64_e32 v[33:34], v[29:30]
	v_rcp_f64_e32 v[35:36], v[31:32]
	v_fma_f64 v[45:46], -v[29:30], v[33:34], 1.0
	v_fma_f64 v[47:48], -v[31:32], v[35:36], 1.0
	v_fma_f64 v[33:34], v[33:34], v[45:46], v[33:34]
	v_div_scale_f64 v[45:46], vcc, v[25:26], v[37:38], v[25:26]
	v_fma_f64 v[35:36], v[35:36], v[47:48], v[35:36]
	v_fma_f64 v[47:48], -v[29:30], v[33:34], 1.0
	v_fma_f64 v[63:64], -v[31:32], v[35:36], 1.0
	v_fma_f64 v[33:34], v[33:34], v[47:48], v[33:34]
	v_fma_f64 v[35:36], v[35:36], v[63:64], v[35:36]
	v_mul_f64 v[47:48], v[45:46], v[33:34]
	v_mul_f64 v[63:64], v[61:62], v[35:36]
	v_fma_f64 v[29:30], -v[29:30], v[47:48], v[45:46]
	v_fma_f64 v[31:32], -v[31:32], v[63:64], v[61:62]
	v_div_fmas_f64 v[29:30], v[29:30], v[33:34], v[47:48]
	s_mov_b64 vcc, s[12:13]
	v_div_fmas_f64 v[31:32], v[31:32], v[35:36], v[63:64]
	v_div_fixup_f64 v[33:34], v[29:30], v[37:38], v[25:26]
	v_div_fixup_f64 v[35:36], v[31:32], v[39:40], v[27:28]
.LBB73_76:                              ;   in Loop: Header=BB73_4 Depth=1
	s_or_b64 exec, exec, s[30:31]
                                        ; implicit-def: $vgpr31_vgpr32
                                        ; implicit-def: $vgpr25_vgpr26
.LBB73_77:                              ;   in Loop: Header=BB73_4 Depth=1
	s_andn2_saveexec_b64 s[12:13], s[14:15]
	s_cbranch_execz .LBB73_79
; %bb.78:                               ;   in Loop: Header=BB73_4 Depth=1
	v_div_scale_f64 v[33:34], s[14:15], v[31:32], v[31:32], v[29:30]
	v_rcp_f64_e32 v[35:36], v[33:34]
	v_fma_f64 v[37:38], -v[33:34], v[35:36], 1.0
	v_fma_f64 v[35:36], v[35:36], v[37:38], v[35:36]
	v_div_scale_f64 v[37:38], vcc, v[29:30], v[31:32], v[29:30]
	v_fma_f64 v[39:40], -v[33:34], v[35:36], 1.0
	v_fma_f64 v[35:36], v[35:36], v[39:40], v[35:36]
	v_mul_f64 v[39:40], v[37:38], v[35:36]
	v_fma_f64 v[33:34], -v[33:34], v[39:40], v[37:38]
	v_div_fmas_f64 v[33:34], v[33:34], v[35:36], v[39:40]
	v_div_fixup_f64 v[33:34], v[33:34], v[31:32], v[29:30]
	v_fma_f64 v[29:30], v[29:30], v[33:34], v[31:32]
	v_div_scale_f64 v[31:32], s[14:15], v[29:30], v[29:30], 1.0
	v_rcp_f64_e32 v[35:36], v[31:32]
	v_fma_f64 v[37:38], -v[31:32], v[35:36], 1.0
	v_fma_f64 v[35:36], v[35:36], v[37:38], v[35:36]
	v_div_scale_f64 v[37:38], vcc, 1.0, v[29:30], 1.0
	v_fma_f64 v[39:40], -v[31:32], v[35:36], 1.0
	v_fma_f64 v[35:36], v[35:36], v[39:40], v[35:36]
	v_mul_f64 v[39:40], v[37:38], v[35:36]
	v_fma_f64 v[31:32], -v[31:32], v[39:40], v[37:38]
	v_div_fmas_f64 v[31:32], v[31:32], v[35:36], v[39:40]
	v_fma_f64 v[35:36], v[25:26], v[33:34], v[27:28]
	v_fma_f64 v[25:26], v[27:28], v[33:34], -v[25:26]
	v_div_fixup_f64 v[29:30], v[31:32], v[29:30], 1.0
	v_mul_f64 v[33:34], v[35:36], v[29:30]
	v_mul_f64 v[35:36], v[25:26], v[29:30]
.LBB73_79:                              ;   in Loop: Header=BB73_4 Depth=1
	s_or_b64 exec, exec, s[12:13]
.LBB73_80:                              ;   in Loop: Header=BB73_4 Depth=1
	v_cmp_gt_f64_e32 vcc, 0, v[21:22]
	v_xor_b32_e32 v25, 0x80000000, v22
	v_xor_b32_e32 v27, 0x80000000, v24
                                        ; implicit-def: $vgpr31_vgpr32
                                        ; implicit-def: $vgpr29_vgpr30
	v_cndmask_b32_e32 v26, v22, v25, vcc
	v_cmp_gt_f64_e32 vcc, 0, v[23:24]
	v_mov_b32_e32 v25, v21
	v_cndmask_b32_e32 v28, v24, v27, vcc
	v_mov_b32_e32 v27, v23
	v_cmp_ge_f64_e64 s[12:13], v[25:26], v[27:28]
	s_and_b64 vcc, exec, s[10:11]
	s_mov_b64 s[10:11], -1
	s_cbranch_vccz .LBB73_86
; %bb.81:                               ;   in Loop: Header=BB73_4 Depth=1
	s_and_b64 vcc, exec, s[10:11]
	s_cbranch_vccnz .LBB73_95
.LBB73_82:                              ;   in Loop: Header=BB73_4 Depth=1
	s_and_saveexec_b64 s[10:11], s[0:1]
	s_xor_b64 s[0:1], exec, s[10:11]
	s_cbranch_execnz .LBB73_104
.LBB73_83:                              ;   in Loop: Header=BB73_4 Depth=1
	s_or_b64 exec, exec, s[0:1]
	s_and_saveexec_b64 s[0:1], s[2:3]
	s_cbranch_execnz .LBB73_105
.LBB73_84:                              ;   in Loop: Header=BB73_4 Depth=1
	s_or_b64 exec, exec, s[0:1]
	s_and_saveexec_b64 s[0:1], s[6:7]
	s_cbranch_execnz .LBB73_106
.LBB73_85:                              ;   in Loop: Header=BB73_4 Depth=1
	s_or_b64 exec, exec, s[0:1]
	s_and_saveexec_b64 s[0:1], s[8:9]
	s_cbranch_execz .LBB73_3
	s_branch .LBB73_107
.LBB73_86:                              ;   in Loop: Header=BB73_4 Depth=1
                                        ; implicit-def: $vgpr29_vgpr30
                                        ; implicit-def: $vgpr31_vgpr32
	s_and_saveexec_b64 s[10:11], s[12:13]
	s_xor_b64 s[14:15], exec, s[10:11]
	s_cbranch_execz .LBB73_92
; %bb.87:                               ;   in Loop: Header=BB73_4 Depth=1
	v_cmp_neq_f64_e32 vcc, 0, v[21:22]
	v_cmp_neq_f64_e64 s[10:11], 0, v[23:24]
                                        ; implicit-def: $vgpr29_vgpr30
                                        ; implicit-def: $vgpr31_vgpr32
	s_or_b64 s[10:11], s[10:11], vcc
	s_and_saveexec_b64 s[30:31], s[10:11]
	s_xor_b64 s[10:11], exec, s[30:31]
	s_cbranch_execz .LBB73_89
; %bb.88:                               ;   in Loop: Header=BB73_4 Depth=1
	v_div_scale_f64 v[29:30], s[30:31], v[21:22], v[21:22], v[23:24]
	v_rcp_f64_e32 v[31:32], v[29:30]
	v_fma_f64 v[37:38], -v[29:30], v[31:32], 1.0
	v_fma_f64 v[31:32], v[31:32], v[37:38], v[31:32]
	v_div_scale_f64 v[37:38], vcc, v[23:24], v[21:22], v[23:24]
	v_fma_f64 v[39:40], -v[29:30], v[31:32], 1.0
	v_fma_f64 v[31:32], v[31:32], v[39:40], v[31:32]
	v_mul_f64 v[39:40], v[37:38], v[31:32]
	v_fma_f64 v[29:30], -v[29:30], v[39:40], v[37:38]
	v_div_fmas_f64 v[29:30], v[29:30], v[31:32], v[39:40]
	v_div_fixup_f64 v[29:30], v[29:30], v[21:22], v[23:24]
	v_fma_f64 v[31:32], v[23:24], v[29:30], v[21:22]
	v_div_scale_f64 v[37:38], s[30:31], v[31:32], v[31:32], 1.0
	v_rcp_f64_e32 v[39:40], v[37:38]
	v_fma_f64 v[45:46], -v[37:38], v[39:40], 1.0
	v_fma_f64 v[39:40], v[39:40], v[45:46], v[39:40]
	v_div_scale_f64 v[45:46], vcc, 1.0, v[31:32], 1.0
	v_fma_f64 v[47:48], -v[37:38], v[39:40], 1.0
	v_fma_f64 v[39:40], v[39:40], v[47:48], v[39:40]
	v_mul_f64 v[47:48], v[45:46], v[39:40]
	v_fma_f64 v[37:38], -v[37:38], v[47:48], v[45:46]
	v_div_fmas_f64 v[37:38], v[37:38], v[39:40], v[47:48]
	v_fma_f64 v[39:40], v[19:20], v[29:30], v[17:18]
	v_fma_f64 v[29:30], -v[17:18], v[29:30], v[19:20]
	v_div_fixup_f64 v[37:38], v[37:38], v[31:32], 1.0
	v_mul_f64 v[31:32], v[39:40], v[37:38]
	v_mul_f64 v[29:30], v[29:30], v[37:38]
.LBB73_89:                              ;   in Loop: Header=BB73_4 Depth=1
	s_andn2_saveexec_b64 s[30:31], s[10:11]
	s_cbranch_execz .LBB73_91
; %bb.90:                               ;   in Loop: Header=BB73_4 Depth=1
	v_div_scale_f64 v[29:30], s[10:11], v[25:26], v[25:26], v[17:18]
	v_div_scale_f64 v[31:32], s[10:11], v[27:28], v[27:28], v[19:20]
	;; [unrolled: 1-line block ×3, first 2 shown]
	v_rcp_f64_e32 v[37:38], v[29:30]
	v_rcp_f64_e32 v[39:40], v[31:32]
	v_fma_f64 v[45:46], -v[29:30], v[37:38], 1.0
	v_fma_f64 v[47:48], -v[31:32], v[39:40], 1.0
	v_fma_f64 v[37:38], v[37:38], v[45:46], v[37:38]
	v_div_scale_f64 v[45:46], vcc, v[17:18], v[25:26], v[17:18]
	v_fma_f64 v[39:40], v[39:40], v[47:48], v[39:40]
	v_fma_f64 v[47:48], -v[29:30], v[37:38], 1.0
	v_fma_f64 v[63:64], -v[31:32], v[39:40], 1.0
	v_fma_f64 v[37:38], v[37:38], v[47:48], v[37:38]
	v_fma_f64 v[39:40], v[39:40], v[63:64], v[39:40]
	v_mul_f64 v[47:48], v[45:46], v[37:38]
	v_mul_f64 v[63:64], v[61:62], v[39:40]
	v_fma_f64 v[29:30], -v[29:30], v[47:48], v[45:46]
	v_fma_f64 v[31:32], -v[31:32], v[63:64], v[61:62]
	v_div_fmas_f64 v[29:30], v[29:30], v[37:38], v[47:48]
	s_mov_b64 vcc, s[10:11]
	v_div_fmas_f64 v[37:38], v[31:32], v[39:40], v[63:64]
	v_div_fixup_f64 v[31:32], v[29:30], v[25:26], v[17:18]
	v_div_fixup_f64 v[29:30], v[37:38], v[27:28], v[19:20]
.LBB73_91:                              ;   in Loop: Header=BB73_4 Depth=1
	s_or_b64 exec, exec, s[30:31]
.LBB73_92:                              ;   in Loop: Header=BB73_4 Depth=1
	s_andn2_saveexec_b64 s[10:11], s[14:15]
	s_cbranch_execz .LBB73_94
; %bb.93:                               ;   in Loop: Header=BB73_4 Depth=1
	v_div_scale_f64 v[29:30], s[14:15], v[23:24], v[23:24], v[21:22]
	v_rcp_f64_e32 v[31:32], v[29:30]
	v_fma_f64 v[37:38], -v[29:30], v[31:32], 1.0
	v_fma_f64 v[31:32], v[31:32], v[37:38], v[31:32]
	v_div_scale_f64 v[37:38], vcc, v[21:22], v[23:24], v[21:22]
	v_fma_f64 v[39:40], -v[29:30], v[31:32], 1.0
	v_fma_f64 v[31:32], v[31:32], v[39:40], v[31:32]
	v_mul_f64 v[39:40], v[37:38], v[31:32]
	v_fma_f64 v[29:30], -v[29:30], v[39:40], v[37:38]
	v_div_fmas_f64 v[29:30], v[29:30], v[31:32], v[39:40]
	v_div_fixup_f64 v[29:30], v[29:30], v[23:24], v[21:22]
	v_fma_f64 v[31:32], v[21:22], v[29:30], v[23:24]
	v_div_scale_f64 v[37:38], s[14:15], v[31:32], v[31:32], 1.0
	v_rcp_f64_e32 v[39:40], v[37:38]
	v_fma_f64 v[45:46], -v[37:38], v[39:40], 1.0
	v_fma_f64 v[39:40], v[39:40], v[45:46], v[39:40]
	v_div_scale_f64 v[45:46], vcc, 1.0, v[31:32], 1.0
	v_fma_f64 v[47:48], -v[37:38], v[39:40], 1.0
	v_fma_f64 v[39:40], v[39:40], v[47:48], v[39:40]
	v_mul_f64 v[47:48], v[45:46], v[39:40]
	v_fma_f64 v[37:38], -v[37:38], v[47:48], v[45:46]
	v_div_fmas_f64 v[37:38], v[37:38], v[39:40], v[47:48]
	v_fma_f64 v[39:40], v[17:18], v[29:30], v[19:20]
	v_fma_f64 v[29:30], v[19:20], v[29:30], -v[17:18]
	v_div_fixup_f64 v[37:38], v[37:38], v[31:32], 1.0
	v_mul_f64 v[31:32], v[39:40], v[37:38]
	v_mul_f64 v[29:30], v[29:30], v[37:38]
.LBB73_94:                              ;   in Loop: Header=BB73_4 Depth=1
	s_or_b64 exec, exec, s[10:11]
	v_mul_f64 v[37:38], s[18:19], v[29:30]
	v_mul_f64 v[39:40], s[16:17], v[29:30]
	v_fma_f64 v[29:30], s[16:17], v[31:32], -v[37:38]
	v_fma_f64 v[31:32], s[18:19], v[31:32], v[39:40]
	s_branch .LBB73_82
.LBB73_95:                              ;   in Loop: Header=BB73_4 Depth=1
                                        ; implicit-def: $vgpr31_vgpr32
                                        ; implicit-def: $vgpr29_vgpr30
	s_and_saveexec_b64 s[10:11], s[12:13]
	s_xor_b64 s[12:13], exec, s[10:11]
	s_cbranch_execz .LBB73_101
; %bb.96:                               ;   in Loop: Header=BB73_4 Depth=1
	v_cmp_neq_f64_e32 vcc, 0, v[21:22]
	v_cmp_neq_f64_e64 s[10:11], 0, v[23:24]
                                        ; implicit-def: $vgpr31_vgpr32
                                        ; implicit-def: $vgpr29_vgpr30
	s_or_b64 s[10:11], s[10:11], vcc
	s_and_saveexec_b64 s[14:15], s[10:11]
	s_xor_b64 s[10:11], exec, s[14:15]
	s_cbranch_execz .LBB73_98
; %bb.97:                               ;   in Loop: Header=BB73_4 Depth=1
	v_div_scale_f64 v[25:26], s[14:15], v[21:22], v[21:22], v[23:24]
	v_rcp_f64_e32 v[27:28], v[25:26]
	v_fma_f64 v[29:30], -v[25:26], v[27:28], 1.0
	v_fma_f64 v[27:28], v[27:28], v[29:30], v[27:28]
	v_div_scale_f64 v[29:30], vcc, v[23:24], v[21:22], v[23:24]
	v_fma_f64 v[31:32], -v[25:26], v[27:28], 1.0
	v_fma_f64 v[27:28], v[27:28], v[31:32], v[27:28]
	v_mul_f64 v[31:32], v[29:30], v[27:28]
	v_fma_f64 v[25:26], -v[25:26], v[31:32], v[29:30]
	v_div_fmas_f64 v[25:26], v[25:26], v[27:28], v[31:32]
	v_div_fixup_f64 v[25:26], v[25:26], v[21:22], v[23:24]
	v_fma_f64 v[21:22], v[23:24], v[25:26], v[21:22]
	v_div_scale_f64 v[23:24], s[14:15], v[21:22], v[21:22], 1.0
	v_rcp_f64_e32 v[27:28], v[23:24]
	v_fma_f64 v[29:30], -v[23:24], v[27:28], 1.0
	v_fma_f64 v[27:28], v[27:28], v[29:30], v[27:28]
	v_div_scale_f64 v[29:30], vcc, 1.0, v[21:22], 1.0
	v_fma_f64 v[31:32], -v[23:24], v[27:28], 1.0
	v_fma_f64 v[27:28], v[27:28], v[31:32], v[27:28]
	v_mul_f64 v[31:32], v[29:30], v[27:28]
	v_fma_f64 v[23:24], -v[23:24], v[31:32], v[29:30]
	v_div_fmas_f64 v[23:24], v[23:24], v[27:28], v[31:32]
	v_fma_f64 v[27:28], v[19:20], v[25:26], v[17:18]
	v_fma_f64 v[17:18], -v[17:18], v[25:26], v[19:20]
                                        ; implicit-def: $vgpr25_vgpr26
	v_div_fixup_f64 v[21:22], v[23:24], v[21:22], 1.0
	v_mul_f64 v[29:30], v[27:28], v[21:22]
	v_mul_f64 v[31:32], v[17:18], v[21:22]
                                        ; implicit-def: $vgpr17_vgpr18
                                        ; implicit-def: $vgpr27_vgpr28
.LBB73_98:                              ;   in Loop: Header=BB73_4 Depth=1
	s_andn2_saveexec_b64 s[14:15], s[10:11]
	s_cbranch_execz .LBB73_100
; %bb.99:                               ;   in Loop: Header=BB73_4 Depth=1
	v_div_scale_f64 v[21:22], s[10:11], v[25:26], v[25:26], v[17:18]
	v_div_scale_f64 v[23:24], s[10:11], v[27:28], v[27:28], v[19:20]
	;; [unrolled: 1-line block ×3, first 2 shown]
	v_rcp_f64_e32 v[29:30], v[21:22]
	v_rcp_f64_e32 v[31:32], v[23:24]
	v_fma_f64 v[37:38], -v[21:22], v[29:30], 1.0
	v_fma_f64 v[39:40], -v[23:24], v[31:32], 1.0
	v_fma_f64 v[29:30], v[29:30], v[37:38], v[29:30]
	v_div_scale_f64 v[37:38], vcc, v[17:18], v[25:26], v[17:18]
	v_fma_f64 v[31:32], v[31:32], v[39:40], v[31:32]
	v_fma_f64 v[39:40], -v[21:22], v[29:30], 1.0
	v_fma_f64 v[47:48], -v[23:24], v[31:32], 1.0
	v_fma_f64 v[29:30], v[29:30], v[39:40], v[29:30]
	v_fma_f64 v[31:32], v[31:32], v[47:48], v[31:32]
	v_mul_f64 v[39:40], v[37:38], v[29:30]
	v_mul_f64 v[47:48], v[45:46], v[31:32]
	v_fma_f64 v[21:22], -v[21:22], v[39:40], v[37:38]
	v_fma_f64 v[23:24], -v[23:24], v[47:48], v[45:46]
	v_div_fmas_f64 v[21:22], v[21:22], v[29:30], v[39:40]
	s_mov_b64 vcc, s[10:11]
	v_div_fmas_f64 v[23:24], v[23:24], v[31:32], v[47:48]
	v_div_fixup_f64 v[29:30], v[21:22], v[25:26], v[17:18]
	v_div_fixup_f64 v[31:32], v[23:24], v[27:28], v[19:20]
.LBB73_100:                             ;   in Loop: Header=BB73_4 Depth=1
	s_or_b64 exec, exec, s[14:15]
                                        ; implicit-def: $vgpr23_vgpr24
                                        ; implicit-def: $vgpr17_vgpr18
.LBB73_101:                             ;   in Loop: Header=BB73_4 Depth=1
	s_andn2_saveexec_b64 s[10:11], s[12:13]
	s_cbranch_execz .LBB73_103
; %bb.102:                              ;   in Loop: Header=BB73_4 Depth=1
	v_div_scale_f64 v[25:26], s[12:13], v[23:24], v[23:24], v[21:22]
	v_rcp_f64_e32 v[27:28], v[25:26]
	v_fma_f64 v[29:30], -v[25:26], v[27:28], 1.0
	v_fma_f64 v[27:28], v[27:28], v[29:30], v[27:28]
	v_div_scale_f64 v[29:30], vcc, v[21:22], v[23:24], v[21:22]
	v_fma_f64 v[31:32], -v[25:26], v[27:28], 1.0
	v_fma_f64 v[27:28], v[27:28], v[31:32], v[27:28]
	v_mul_f64 v[31:32], v[29:30], v[27:28]
	v_fma_f64 v[25:26], -v[25:26], v[31:32], v[29:30]
	v_div_fmas_f64 v[25:26], v[25:26], v[27:28], v[31:32]
	v_div_fixup_f64 v[25:26], v[25:26], v[23:24], v[21:22]
	v_fma_f64 v[21:22], v[21:22], v[25:26], v[23:24]
	v_div_scale_f64 v[23:24], s[12:13], v[21:22], v[21:22], 1.0
	v_rcp_f64_e32 v[27:28], v[23:24]
	v_fma_f64 v[29:30], -v[23:24], v[27:28], 1.0
	v_fma_f64 v[27:28], v[27:28], v[29:30], v[27:28]
	v_div_scale_f64 v[29:30], vcc, 1.0, v[21:22], 1.0
	v_fma_f64 v[31:32], -v[23:24], v[27:28], 1.0
	v_fma_f64 v[27:28], v[27:28], v[31:32], v[27:28]
	v_mul_f64 v[31:32], v[29:30], v[27:28]
	v_fma_f64 v[23:24], -v[23:24], v[31:32], v[29:30]
	v_div_fmas_f64 v[23:24], v[23:24], v[27:28], v[31:32]
	v_fma_f64 v[27:28], v[17:18], v[25:26], v[19:20]
	v_fma_f64 v[17:18], v[19:20], v[25:26], -v[17:18]
	v_div_fixup_f64 v[21:22], v[23:24], v[21:22], 1.0
	v_mul_f64 v[29:30], v[27:28], v[21:22]
	v_mul_f64 v[31:32], v[17:18], v[21:22]
.LBB73_103:                             ;   in Loop: Header=BB73_4 Depth=1
	s_or_b64 exec, exec, s[10:11]
	s_and_saveexec_b64 s[10:11], s[0:1]
	s_xor_b64 s[0:1], exec, s[10:11]
	s_cbranch_execz .LBB73_83
.LBB73_104:                             ;   in Loop: Header=BB73_4 Depth=1
	v_add_f64 v[3:4], v[3:4], v[59:60]
	v_add_f64 v[1:2], v[1:2], v[57:58]
	v_lshlrev_b64 v[17:18], 4, v[49:50]
	v_mov_b32_e32 v19, s36
	v_add_co_u32_e32 v17, vcc, s33, v17
	v_addc_co_u32_e32 v18, vcc, v19, v18, vcc
	global_store_dwordx4 v[17:18], v[1:4], off
	s_or_b64 exec, exec, s[0:1]
	s_and_saveexec_b64 s[0:1], s[2:3]
	s_cbranch_execz .LBB73_84
.LBB73_105:                             ;   in Loop: Header=BB73_4 Depth=1
	v_add_f64 v[3:4], v[7:8], v[43:44]
	v_add_f64 v[1:2], v[5:6], v[41:42]
	v_lshlrev_b64 v[5:6], 4, v[51:52]
	v_mov_b32_e32 v7, s36
	v_add_co_u32_e32 v5, vcc, s33, v5
	v_addc_co_u32_e32 v6, vcc, v7, v6, vcc
	global_store_dwordx4 v[5:6], v[1:4], off
	s_or_b64 exec, exec, s[0:1]
	s_and_saveexec_b64 s[0:1], s[6:7]
	s_cbranch_execz .LBB73_85
.LBB73_106:                             ;   in Loop: Header=BB73_4 Depth=1
	v_add_f64 v[3:4], v[11:12], v[35:36]
	v_add_f64 v[1:2], v[9:10], v[33:34]
	v_lshlrev_b64 v[5:6], 4, v[53:54]
	v_mov_b32_e32 v7, s36
	v_add_co_u32_e32 v5, vcc, s33, v5
	v_addc_co_u32_e32 v6, vcc, v7, v6, vcc
	global_store_dwordx4 v[5:6], v[1:4], off
	s_or_b64 exec, exec, s[0:1]
	s_and_saveexec_b64 s[0:1], s[8:9]
	s_cbranch_execz .LBB73_3
.LBB73_107:                             ;   in Loop: Header=BB73_4 Depth=1
	v_add_f64 v[3:4], v[15:16], v[31:32]
	v_add_f64 v[1:2], v[13:14], v[29:30]
	v_lshlrev_b64 v[5:6], 4, v[55:56]
	v_mov_b32_e32 v7, s36
	v_add_co_u32_e32 v5, vcc, s33, v5
	v_addc_co_u32_e32 v6, vcc, v7, v6, vcc
	global_store_dwordx4 v[5:6], v[1:4], off
	s_branch .LBB73_3
.LBB73_108:
	s_mov_b64 s[0:1], 0
.LBB73_109:
	s_andn2_b64 vcc, exec, s[0:1]
	s_cbranch_vccnz .LBB73_193
; %bb.110:
	v_mov_b32_e32 v1, 0x10000
	v_mov_b32_e32 v2, 0
	v_cmp_lt_i64_e32 vcc, s[20:21], v[1:2]
	v_mov_b32_e32 v2, 0
	s_and_b64 s[0:1], vcc, exec
	s_cselect_b32 s7, s21, 0
	s_cselect_b32 s6, s20, 0x10000
	v_lshlrev_b32_e32 v1, 2, v0
	v_cmp_gt_i64_e32 vcc, s[6:7], v[1:2]
	s_and_saveexec_b64 s[0:1], vcc
	s_cbranch_execz .LBB73_193
; %bb.111:
	v_cmp_neq_f64_e64 s[0:1], s[16:17], 1.0
	v_cmp_neq_f64_e64 s[2:3], s[18:19], 0
	s_load_dword s4, s[4:5], 0xc6c
	v_mov_b32_e32 v1, v2
	s_mov_b64 s[8:9], 0
	v_lshlrev_b32_e32 v60, 6, v0
	s_waitcnt lgkmcnt(0)
	s_and_b32 s20, s4, 0xffff
	s_lshl_b32 s21, s20, 6
	s_or_b64 s[10:11], s[0:1], s[2:3]
	s_branch .LBB73_114
.LBB73_112:                             ;   in Loop: Header=BB73_114 Depth=1
	s_or_b64 exec, exec, s[0:1]
.LBB73_113:                             ;   in Loop: Header=BB73_114 Depth=1
	s_waitcnt vmcnt(0)
	v_add_f64 v[16:17], v[16:17], v[54:55]
	v_add_f64 v[14:15], v[14:15], v[52:53]
	v_add_f64 v[12:13], v[12:13], v[44:45]
	v_add_f64 v[10:11], v[10:11], v[42:43]
	v_add_f64 v[8:9], v[8:9], v[36:37]
	v_add_f64 v[6:7], v[6:7], v[34:35]
	v_add_f64 v[4:5], v[4:5], v[32:33]
	v_add_f64 v[2:3], v[2:3], v[30:31]
	v_add_co_u32_e32 v0, vcc, s20, v0
	s_add_u32 s39, s39, s21
	v_addc_co_u32_e32 v1, vcc, 0, v1, vcc
	s_addc_u32 s40, s40, 0
	global_store_dwordx4 v[50:51], v[14:17], off
	global_store_dwordx4 v[50:51], v[10:13], off offset:16
	global_store_dwordx4 v[50:51], v[6:9], off offset:32
	s_add_u32 s33, s33, s21
	v_lshlrev_b64 v[6:7], 2, v[0:1]
	s_addc_u32 s36, s36, 0
	s_add_u32 s37, s37, s21
	v_cmp_le_i64_e32 vcc, s[6:7], v[6:7]
	s_addc_u32 s38, s38, 0
	s_or_b64 s[8:9], vcc, s[8:9]
	global_store_dwordx4 v[50:51], v[2:5], off offset:48
	s_andn2_b64 exec, exec, s[8:9]
	s_cbranch_execz .LBB73_193
.LBB73_114:                             ; =>This Inner Loop Header: Depth=1
	v_mov_b32_e32 v2, s40
	v_add_co_u32_e32 v52, vcc, s39, v60
	v_addc_co_u32_e32 v53, vcc, 0, v2, vcc
	global_load_dwordx4 v[46:49], v[52:53], off
	v_mov_b32_e32 v2, s36
	v_add_co_u32_e32 v50, vcc, s33, v60
	v_addc_co_u32_e32 v51, vcc, 0, v2, vcc
	v_mov_b32_e32 v3, s38
	v_add_co_u32_e32 v54, vcc, s37, v60
	v_addc_co_u32_e32 v55, vcc, 0, v3, vcc
	global_load_dwordx4 v[18:21], v[54:55], off offset:48
	global_load_dwordx4 v[26:29], v[54:55], off offset:32
	;; [unrolled: 1-line block ×3, first 2 shown]
	global_load_dwordx4 v[42:45], v[54:55], off
	global_load_dwordx4 v[38:41], v[52:53], off offset:16
	global_load_dwordx4 v[22:25], v[52:53], off offset:48
	global_load_dwordx4 v[30:33], v[52:53], off offset:32
	global_load_dwordx4 v[2:5], v[50:51], off offset:48
	global_load_dwordx4 v[6:9], v[50:51], off offset:32
	global_load_dwordx4 v[10:13], v[50:51], off offset:16
	global_load_dwordx4 v[14:17], v[50:51], off
	s_mov_b64 s[2:3], -1
                                        ; implicit-def: $vgpr54_vgpr55
	s_waitcnt vmcnt(11)
	v_cmp_gt_f64_e32 vcc, 0, v[46:47]
	v_xor_b32_e32 v52, 0x80000000, v47
	v_xor_b32_e32 v53, 0x80000000, v49
	v_mov_b32_e32 v58, v46
	v_mov_b32_e32 v56, v48
	v_cndmask_b32_e32 v59, v47, v52, vcc
	v_cmp_gt_f64_e32 vcc, 0, v[48:49]
	v_cndmask_b32_e32 v57, v49, v53, vcc
	v_cmp_ge_f64_e64 s[0:1], v[58:59], v[56:57]
	s_and_b64 vcc, exec, s[10:11]
                                        ; implicit-def: $vgpr52_vgpr53
	s_cbranch_vccz .LBB73_124
; %bb.115:                              ;   in Loop: Header=BB73_114 Depth=1
                                        ; implicit-def: $vgpr52_vgpr53
                                        ; implicit-def: $vgpr54_vgpr55
	s_and_saveexec_b64 s[2:3], s[0:1]
	s_xor_b64 s[4:5], exec, s[2:3]
	s_cbranch_execz .LBB73_121
; %bb.116:                              ;   in Loop: Header=BB73_114 Depth=1
	v_cmp_neq_f64_e32 vcc, 0, v[46:47]
	v_cmp_neq_f64_e64 s[2:3], 0, v[48:49]
                                        ; implicit-def: $vgpr52_vgpr53
                                        ; implicit-def: $vgpr54_vgpr55
	s_or_b64 s[2:3], vcc, s[2:3]
	s_and_saveexec_b64 s[12:13], s[2:3]
	s_xor_b64 s[2:3], exec, s[12:13]
	s_cbranch_execz .LBB73_118
; %bb.117:                              ;   in Loop: Header=BB73_114 Depth=1
	v_div_scale_f64 v[52:53], s[12:13], v[46:47], v[46:47], v[48:49]
	v_rcp_f64_e32 v[54:55], v[52:53]
	v_fma_f64 v[61:62], -v[52:53], v[54:55], 1.0
	v_fma_f64 v[54:55], v[54:55], v[61:62], v[54:55]
	v_div_scale_f64 v[61:62], vcc, v[48:49], v[46:47], v[48:49]
	v_fma_f64 v[63:64], -v[52:53], v[54:55], 1.0
	v_fma_f64 v[54:55], v[54:55], v[63:64], v[54:55]
	v_mul_f64 v[63:64], v[61:62], v[54:55]
	v_fma_f64 v[52:53], -v[52:53], v[63:64], v[61:62]
	v_div_fmas_f64 v[52:53], v[52:53], v[54:55], v[63:64]
	v_div_fixup_f64 v[52:53], v[52:53], v[46:47], v[48:49]
	v_fma_f64 v[54:55], v[48:49], v[52:53], v[46:47]
	v_div_scale_f64 v[61:62], s[12:13], v[54:55], v[54:55], 1.0
	v_rcp_f64_e32 v[63:64], v[61:62]
	v_fma_f64 v[65:66], -v[61:62], v[63:64], 1.0
	v_fma_f64 v[63:64], v[63:64], v[65:66], v[63:64]
	v_div_scale_f64 v[65:66], vcc, 1.0, v[54:55], 1.0
	v_fma_f64 v[67:68], -v[61:62], v[63:64], 1.0
	v_fma_f64 v[63:64], v[63:64], v[67:68], v[63:64]
	v_mul_f64 v[67:68], v[65:66], v[63:64]
	v_fma_f64 v[61:62], -v[61:62], v[67:68], v[65:66]
	v_div_fmas_f64 v[61:62], v[61:62], v[63:64], v[67:68]
	s_waitcnt vmcnt(7)
	v_fma_f64 v[63:64], v[44:45], v[52:53], v[42:43]
	v_fma_f64 v[52:53], -v[42:43], v[52:53], v[44:45]
	v_div_fixup_f64 v[61:62], v[61:62], v[54:55], 1.0
	v_mul_f64 v[54:55], v[63:64], v[61:62]
	v_mul_f64 v[52:53], v[52:53], v[61:62]
.LBB73_118:                             ;   in Loop: Header=BB73_114 Depth=1
	s_andn2_saveexec_b64 s[12:13], s[2:3]
	s_cbranch_execz .LBB73_120
; %bb.119:                              ;   in Loop: Header=BB73_114 Depth=1
	s_waitcnt vmcnt(7)
	v_div_scale_f64 v[52:53], s[2:3], v[58:59], v[58:59], v[42:43]
	v_div_scale_f64 v[54:55], s[2:3], v[56:57], v[56:57], v[44:45]
	;; [unrolled: 1-line block ×3, first 2 shown]
	v_rcp_f64_e32 v[61:62], v[52:53]
	v_rcp_f64_e32 v[63:64], v[54:55]
	v_fma_f64 v[65:66], -v[52:53], v[61:62], 1.0
	v_fma_f64 v[67:68], -v[54:55], v[63:64], 1.0
	v_fma_f64 v[61:62], v[61:62], v[65:66], v[61:62]
	v_div_scale_f64 v[65:66], vcc, v[42:43], v[58:59], v[42:43]
	v_fma_f64 v[63:64], v[63:64], v[67:68], v[63:64]
	v_fma_f64 v[67:68], -v[52:53], v[61:62], 1.0
	v_fma_f64 v[71:72], -v[54:55], v[63:64], 1.0
	v_fma_f64 v[61:62], v[61:62], v[67:68], v[61:62]
	v_fma_f64 v[63:64], v[63:64], v[71:72], v[63:64]
	v_mul_f64 v[67:68], v[65:66], v[61:62]
	v_mul_f64 v[71:72], v[69:70], v[63:64]
	v_fma_f64 v[52:53], -v[52:53], v[67:68], v[65:66]
	v_fma_f64 v[54:55], -v[54:55], v[71:72], v[69:70]
	v_div_fmas_f64 v[52:53], v[52:53], v[61:62], v[67:68]
	s_mov_b64 vcc, s[2:3]
	v_div_fmas_f64 v[61:62], v[54:55], v[63:64], v[71:72]
	v_div_fixup_f64 v[54:55], v[52:53], v[58:59], v[42:43]
	v_div_fixup_f64 v[52:53], v[61:62], v[56:57], v[44:45]
.LBB73_120:                             ;   in Loop: Header=BB73_114 Depth=1
	s_or_b64 exec, exec, s[12:13]
.LBB73_121:                             ;   in Loop: Header=BB73_114 Depth=1
	s_andn2_saveexec_b64 s[2:3], s[4:5]
	s_cbranch_execz .LBB73_123
; %bb.122:                              ;   in Loop: Header=BB73_114 Depth=1
	v_div_scale_f64 v[52:53], s[4:5], v[48:49], v[48:49], v[46:47]
	v_rcp_f64_e32 v[54:55], v[52:53]
	v_fma_f64 v[61:62], -v[52:53], v[54:55], 1.0
	v_fma_f64 v[54:55], v[54:55], v[61:62], v[54:55]
	v_div_scale_f64 v[61:62], vcc, v[46:47], v[48:49], v[46:47]
	v_fma_f64 v[63:64], -v[52:53], v[54:55], 1.0
	v_fma_f64 v[54:55], v[54:55], v[63:64], v[54:55]
	v_mul_f64 v[63:64], v[61:62], v[54:55]
	v_fma_f64 v[52:53], -v[52:53], v[63:64], v[61:62]
	v_div_fmas_f64 v[52:53], v[52:53], v[54:55], v[63:64]
	v_div_fixup_f64 v[52:53], v[52:53], v[48:49], v[46:47]
	v_fma_f64 v[54:55], v[46:47], v[52:53], v[48:49]
	v_div_scale_f64 v[61:62], s[4:5], v[54:55], v[54:55], 1.0
	v_rcp_f64_e32 v[63:64], v[61:62]
	v_fma_f64 v[65:66], -v[61:62], v[63:64], 1.0
	v_fma_f64 v[63:64], v[63:64], v[65:66], v[63:64]
	v_div_scale_f64 v[65:66], vcc, 1.0, v[54:55], 1.0
	v_fma_f64 v[67:68], -v[61:62], v[63:64], 1.0
	v_fma_f64 v[63:64], v[63:64], v[67:68], v[63:64]
	v_mul_f64 v[67:68], v[65:66], v[63:64]
	v_fma_f64 v[61:62], -v[61:62], v[67:68], v[65:66]
	v_div_fmas_f64 v[61:62], v[61:62], v[63:64], v[67:68]
	s_waitcnt vmcnt(7)
	v_fma_f64 v[63:64], v[42:43], v[52:53], v[44:45]
	v_fma_f64 v[52:53], v[44:45], v[52:53], -v[42:43]
	v_div_fixup_f64 v[61:62], v[61:62], v[54:55], 1.0
	v_mul_f64 v[54:55], v[63:64], v[61:62]
	v_mul_f64 v[52:53], v[52:53], v[61:62]
.LBB73_123:                             ;   in Loop: Header=BB73_114 Depth=1
	s_or_b64 exec, exec, s[2:3]
	v_mul_f64 v[61:62], s[18:19], v[52:53]
	v_mul_f64 v[63:64], s[16:17], v[52:53]
	s_mov_b64 s[2:3], 0
	v_fma_f64 v[52:53], s[16:17], v[54:55], -v[61:62]
	v_fma_f64 v[54:55], s[18:19], v[54:55], v[63:64]
.LBB73_124:                             ;   in Loop: Header=BB73_114 Depth=1
	s_and_b64 vcc, exec, s[2:3]
	s_cbranch_vccz .LBB73_134
; %bb.125:                              ;   in Loop: Header=BB73_114 Depth=1
                                        ; implicit-def: $vgpr54_vgpr55
                                        ; implicit-def: $vgpr52_vgpr53
	s_and_saveexec_b64 s[2:3], s[0:1]
	s_xor_b64 s[2:3], exec, s[2:3]
	s_cbranch_execz .LBB73_131
; %bb.126:                              ;   in Loop: Header=BB73_114 Depth=1
	v_cmp_neq_f64_e32 vcc, 0, v[46:47]
	v_cmp_neq_f64_e64 s[0:1], 0, v[48:49]
                                        ; implicit-def: $vgpr54_vgpr55
                                        ; implicit-def: $vgpr52_vgpr53
	s_or_b64 s[0:1], vcc, s[0:1]
	s_and_saveexec_b64 s[4:5], s[0:1]
	s_xor_b64 s[0:1], exec, s[4:5]
	s_cbranch_execz .LBB73_128
; %bb.127:                              ;   in Loop: Header=BB73_114 Depth=1
	v_div_scale_f64 v[52:53], s[4:5], v[46:47], v[46:47], v[48:49]
	v_rcp_f64_e32 v[54:55], v[52:53]
	v_fma_f64 v[56:57], -v[52:53], v[54:55], 1.0
	v_fma_f64 v[54:55], v[54:55], v[56:57], v[54:55]
	v_div_scale_f64 v[56:57], vcc, v[48:49], v[46:47], v[48:49]
	v_fma_f64 v[58:59], -v[52:53], v[54:55], 1.0
	v_fma_f64 v[54:55], v[54:55], v[58:59], v[54:55]
	v_mul_f64 v[58:59], v[56:57], v[54:55]
	v_fma_f64 v[52:53], -v[52:53], v[58:59], v[56:57]
	v_div_fmas_f64 v[52:53], v[52:53], v[54:55], v[58:59]
	v_div_fixup_f64 v[52:53], v[52:53], v[46:47], v[48:49]
	v_fma_f64 v[46:47], v[48:49], v[52:53], v[46:47]
	v_div_scale_f64 v[48:49], s[4:5], v[46:47], v[46:47], 1.0
	v_rcp_f64_e32 v[54:55], v[48:49]
	v_fma_f64 v[56:57], -v[48:49], v[54:55], 1.0
	v_fma_f64 v[54:55], v[54:55], v[56:57], v[54:55]
	v_div_scale_f64 v[56:57], vcc, 1.0, v[46:47], 1.0
	v_fma_f64 v[58:59], -v[48:49], v[54:55], 1.0
	v_fma_f64 v[54:55], v[54:55], v[58:59], v[54:55]
	v_mul_f64 v[58:59], v[56:57], v[54:55]
	v_fma_f64 v[48:49], -v[48:49], v[58:59], v[56:57]
                                        ; implicit-def: $vgpr56_vgpr57
	v_div_fmas_f64 v[48:49], v[48:49], v[54:55], v[58:59]
	s_waitcnt vmcnt(7)
	v_fma_f64 v[54:55], v[44:45], v[52:53], v[42:43]
	v_fma_f64 v[42:43], -v[42:43], v[52:53], v[44:45]
                                        ; implicit-def: $vgpr58_vgpr59
	v_div_fixup_f64 v[46:47], v[48:49], v[46:47], 1.0
	v_mul_f64 v[52:53], v[54:55], v[46:47]
	v_mul_f64 v[54:55], v[42:43], v[46:47]
                                        ; implicit-def: $vgpr42_vgpr43
.LBB73_128:                             ;   in Loop: Header=BB73_114 Depth=1
	s_andn2_saveexec_b64 s[0:1], s[0:1]
	s_cbranch_execz .LBB73_130
; %bb.129:                              ;   in Loop: Header=BB73_114 Depth=1
	s_waitcnt vmcnt(7)
	v_div_scale_f64 v[46:47], s[4:5], v[58:59], v[58:59], v[42:43]
	v_rcp_f64_e32 v[48:49], v[46:47]
	v_fma_f64 v[52:53], -v[46:47], v[48:49], 1.0
	v_fma_f64 v[48:49], v[48:49], v[52:53], v[48:49]
	v_fma_f64 v[52:53], -v[46:47], v[48:49], 1.0
	v_fma_f64 v[48:49], v[48:49], v[52:53], v[48:49]
	v_div_scale_f64 v[52:53], vcc, v[42:43], v[58:59], v[42:43]
	v_mul_f64 v[54:55], v[52:53], v[48:49]
	v_fma_f64 v[46:47], -v[46:47], v[54:55], v[52:53]
	s_nop 1
	v_div_fmas_f64 v[46:47], v[46:47], v[48:49], v[54:55]
	v_div_fixup_f64 v[52:53], v[46:47], v[58:59], v[42:43]
	v_div_scale_f64 v[42:43], s[4:5], v[56:57], v[56:57], v[44:45]
	v_rcp_f64_e32 v[46:47], v[42:43]
	v_fma_f64 v[48:49], -v[42:43], v[46:47], 1.0
	v_fma_f64 v[46:47], v[46:47], v[48:49], v[46:47]
	v_fma_f64 v[48:49], -v[42:43], v[46:47], 1.0
	v_fma_f64 v[46:47], v[46:47], v[48:49], v[46:47]
	v_div_scale_f64 v[48:49], vcc, v[44:45], v[56:57], v[44:45]
	v_mul_f64 v[54:55], v[48:49], v[46:47]
	v_fma_f64 v[42:43], -v[42:43], v[54:55], v[48:49]
	s_nop 1
	v_div_fmas_f64 v[42:43], v[42:43], v[46:47], v[54:55]
	v_div_fixup_f64 v[54:55], v[42:43], v[56:57], v[44:45]
.LBB73_130:                             ;   in Loop: Header=BB73_114 Depth=1
	s_or_b64 exec, exec, s[0:1]
                                        ; implicit-def: $vgpr48_vgpr49
                                        ; implicit-def: $vgpr42_vgpr43
.LBB73_131:                             ;   in Loop: Header=BB73_114 Depth=1
	s_andn2_saveexec_b64 s[0:1], s[2:3]
	s_cbranch_execz .LBB73_133
; %bb.132:                              ;   in Loop: Header=BB73_114 Depth=1
	v_div_scale_f64 v[52:53], s[2:3], v[48:49], v[48:49], v[46:47]
	v_rcp_f64_e32 v[54:55], v[52:53]
	v_fma_f64 v[56:57], -v[52:53], v[54:55], 1.0
	v_fma_f64 v[54:55], v[54:55], v[56:57], v[54:55]
	v_div_scale_f64 v[56:57], vcc, v[46:47], v[48:49], v[46:47]
	v_fma_f64 v[58:59], -v[52:53], v[54:55], 1.0
	v_fma_f64 v[54:55], v[54:55], v[58:59], v[54:55]
	v_mul_f64 v[58:59], v[56:57], v[54:55]
	v_fma_f64 v[52:53], -v[52:53], v[58:59], v[56:57]
	v_div_fmas_f64 v[52:53], v[52:53], v[54:55], v[58:59]
	v_div_fixup_f64 v[52:53], v[52:53], v[48:49], v[46:47]
	v_fma_f64 v[46:47], v[46:47], v[52:53], v[48:49]
	v_div_scale_f64 v[48:49], s[2:3], v[46:47], v[46:47], 1.0
	v_rcp_f64_e32 v[54:55], v[48:49]
	v_fma_f64 v[56:57], -v[48:49], v[54:55], 1.0
	v_fma_f64 v[54:55], v[54:55], v[56:57], v[54:55]
	v_div_scale_f64 v[56:57], vcc, 1.0, v[46:47], 1.0
	v_fma_f64 v[58:59], -v[48:49], v[54:55], 1.0
	v_fma_f64 v[54:55], v[54:55], v[58:59], v[54:55]
	v_mul_f64 v[58:59], v[56:57], v[54:55]
	v_fma_f64 v[48:49], -v[48:49], v[58:59], v[56:57]
	v_div_fmas_f64 v[48:49], v[48:49], v[54:55], v[58:59]
	s_waitcnt vmcnt(7)
	v_fma_f64 v[54:55], v[42:43], v[52:53], v[44:45]
	v_fma_f64 v[42:43], v[44:45], v[52:53], -v[42:43]
	v_div_fixup_f64 v[46:47], v[48:49], v[46:47], 1.0
	v_mul_f64 v[52:53], v[54:55], v[46:47]
	v_mul_f64 v[54:55], v[42:43], v[46:47]
.LBB73_133:                             ;   in Loop: Header=BB73_114 Depth=1
	s_or_b64 exec, exec, s[0:1]
.LBB73_134:                             ;   in Loop: Header=BB73_114 Depth=1
	s_waitcnt vmcnt(6)
	v_cmp_gt_f64_e32 vcc, 0, v[38:39]
	v_xor_b32_e32 v42, 0x80000000, v39
	v_mov_b32_e32 v46, v38
	v_mov_b32_e32 v48, v40
	s_mov_b64 s[4:5], -1
                                        ; implicit-def: $vgpr44_vgpr45
	v_cndmask_b32_e32 v47, v39, v42, vcc
	v_cmp_gt_f64_e32 vcc, 0, v[40:41]
	v_xor_b32_e32 v42, 0x80000000, v41
	v_cndmask_b32_e32 v49, v41, v42, vcc
	v_cmp_ge_f64_e64 s[2:3], v[46:47], v[48:49]
	v_cndmask_b32_e64 v42, 0, 1, s[10:11]
	v_cmp_ne_u32_e64 s[0:1], 1, v42
	s_andn2_b64 vcc, exec, s[10:11]
                                        ; implicit-def: $vgpr42_vgpr43
	s_cbranch_vccnz .LBB73_144
; %bb.135:                              ;   in Loop: Header=BB73_114 Depth=1
                                        ; implicit-def: $vgpr42_vgpr43
                                        ; implicit-def: $vgpr44_vgpr45
	s_and_saveexec_b64 s[4:5], s[2:3]
	s_xor_b64 s[12:13], exec, s[4:5]
	s_cbranch_execz .LBB73_141
; %bb.136:                              ;   in Loop: Header=BB73_114 Depth=1
	v_cmp_neq_f64_e32 vcc, 0, v[38:39]
	v_cmp_neq_f64_e64 s[4:5], 0, v[40:41]
                                        ; implicit-def: $vgpr42_vgpr43
                                        ; implicit-def: $vgpr44_vgpr45
	s_or_b64 s[4:5], vcc, s[4:5]
	s_and_saveexec_b64 s[14:15], s[4:5]
	s_xor_b64 s[4:5], exec, s[14:15]
	s_cbranch_execz .LBB73_138
; %bb.137:                              ;   in Loop: Header=BB73_114 Depth=1
	v_div_scale_f64 v[42:43], s[14:15], v[38:39], v[38:39], v[40:41]
	v_rcp_f64_e32 v[44:45], v[42:43]
	v_fma_f64 v[56:57], -v[42:43], v[44:45], 1.0
	v_fma_f64 v[44:45], v[44:45], v[56:57], v[44:45]
	v_div_scale_f64 v[56:57], vcc, v[40:41], v[38:39], v[40:41]
	v_fma_f64 v[58:59], -v[42:43], v[44:45], 1.0
	v_fma_f64 v[44:45], v[44:45], v[58:59], v[44:45]
	v_mul_f64 v[58:59], v[56:57], v[44:45]
	v_fma_f64 v[42:43], -v[42:43], v[58:59], v[56:57]
	v_div_fmas_f64 v[42:43], v[42:43], v[44:45], v[58:59]
	v_div_fixup_f64 v[42:43], v[42:43], v[38:39], v[40:41]
	v_fma_f64 v[44:45], v[40:41], v[42:43], v[38:39]
	v_div_scale_f64 v[56:57], s[14:15], v[44:45], v[44:45], 1.0
	v_rcp_f64_e32 v[58:59], v[56:57]
	v_fma_f64 v[61:62], -v[56:57], v[58:59], 1.0
	v_fma_f64 v[58:59], v[58:59], v[61:62], v[58:59]
	v_div_scale_f64 v[61:62], vcc, 1.0, v[44:45], 1.0
	v_fma_f64 v[63:64], -v[56:57], v[58:59], 1.0
	v_fma_f64 v[58:59], v[58:59], v[63:64], v[58:59]
	v_mul_f64 v[63:64], v[61:62], v[58:59]
	v_fma_f64 v[56:57], -v[56:57], v[63:64], v[61:62]
	v_div_fmas_f64 v[56:57], v[56:57], v[58:59], v[63:64]
	v_fma_f64 v[58:59], v[36:37], v[42:43], v[34:35]
	v_fma_f64 v[42:43], -v[34:35], v[42:43], v[36:37]
	v_div_fixup_f64 v[56:57], v[56:57], v[44:45], 1.0
	v_mul_f64 v[44:45], v[58:59], v[56:57]
	v_mul_f64 v[42:43], v[42:43], v[56:57]
.LBB73_138:                             ;   in Loop: Header=BB73_114 Depth=1
	s_andn2_saveexec_b64 s[14:15], s[4:5]
	s_cbranch_execz .LBB73_140
; %bb.139:                              ;   in Loop: Header=BB73_114 Depth=1
	v_div_scale_f64 v[42:43], s[4:5], v[46:47], v[46:47], v[34:35]
	v_div_scale_f64 v[44:45], s[4:5], v[48:49], v[48:49], v[36:37]
	;; [unrolled: 1-line block ×3, first 2 shown]
	v_rcp_f64_e32 v[56:57], v[42:43]
	v_rcp_f64_e32 v[58:59], v[44:45]
	v_fma_f64 v[61:62], -v[42:43], v[56:57], 1.0
	v_fma_f64 v[63:64], -v[44:45], v[58:59], 1.0
	v_fma_f64 v[56:57], v[56:57], v[61:62], v[56:57]
	v_div_scale_f64 v[61:62], vcc, v[34:35], v[46:47], v[34:35]
	v_fma_f64 v[58:59], v[58:59], v[63:64], v[58:59]
	v_fma_f64 v[63:64], -v[42:43], v[56:57], 1.0
	v_fma_f64 v[67:68], -v[44:45], v[58:59], 1.0
	v_fma_f64 v[56:57], v[56:57], v[63:64], v[56:57]
	v_fma_f64 v[58:59], v[58:59], v[67:68], v[58:59]
	v_mul_f64 v[63:64], v[61:62], v[56:57]
	v_mul_f64 v[67:68], v[65:66], v[58:59]
	v_fma_f64 v[42:43], -v[42:43], v[63:64], v[61:62]
	v_fma_f64 v[44:45], -v[44:45], v[67:68], v[65:66]
	v_div_fmas_f64 v[42:43], v[42:43], v[56:57], v[63:64]
	s_mov_b64 vcc, s[4:5]
	v_div_fmas_f64 v[56:57], v[44:45], v[58:59], v[67:68]
	v_div_fixup_f64 v[44:45], v[42:43], v[46:47], v[34:35]
	v_div_fixup_f64 v[42:43], v[56:57], v[48:49], v[36:37]
.LBB73_140:                             ;   in Loop: Header=BB73_114 Depth=1
	s_or_b64 exec, exec, s[14:15]
.LBB73_141:                             ;   in Loop: Header=BB73_114 Depth=1
	s_andn2_saveexec_b64 s[4:5], s[12:13]
	s_cbranch_execz .LBB73_143
; %bb.142:                              ;   in Loop: Header=BB73_114 Depth=1
	v_div_scale_f64 v[42:43], s[12:13], v[40:41], v[40:41], v[38:39]
	v_rcp_f64_e32 v[44:45], v[42:43]
	v_fma_f64 v[56:57], -v[42:43], v[44:45], 1.0
	v_fma_f64 v[44:45], v[44:45], v[56:57], v[44:45]
	v_div_scale_f64 v[56:57], vcc, v[38:39], v[40:41], v[38:39]
	v_fma_f64 v[58:59], -v[42:43], v[44:45], 1.0
	v_fma_f64 v[44:45], v[44:45], v[58:59], v[44:45]
	v_mul_f64 v[58:59], v[56:57], v[44:45]
	v_fma_f64 v[42:43], -v[42:43], v[58:59], v[56:57]
	v_div_fmas_f64 v[42:43], v[42:43], v[44:45], v[58:59]
	v_div_fixup_f64 v[42:43], v[42:43], v[40:41], v[38:39]
	v_fma_f64 v[44:45], v[38:39], v[42:43], v[40:41]
	v_div_scale_f64 v[56:57], s[12:13], v[44:45], v[44:45], 1.0
	v_rcp_f64_e32 v[58:59], v[56:57]
	v_fma_f64 v[61:62], -v[56:57], v[58:59], 1.0
	v_fma_f64 v[58:59], v[58:59], v[61:62], v[58:59]
	v_div_scale_f64 v[61:62], vcc, 1.0, v[44:45], 1.0
	v_fma_f64 v[63:64], -v[56:57], v[58:59], 1.0
	v_fma_f64 v[58:59], v[58:59], v[63:64], v[58:59]
	v_mul_f64 v[63:64], v[61:62], v[58:59]
	v_fma_f64 v[56:57], -v[56:57], v[63:64], v[61:62]
	v_div_fmas_f64 v[56:57], v[56:57], v[58:59], v[63:64]
	v_fma_f64 v[58:59], v[34:35], v[42:43], v[36:37]
	v_fma_f64 v[42:43], v[36:37], v[42:43], -v[34:35]
	v_div_fixup_f64 v[56:57], v[56:57], v[44:45], 1.0
	v_mul_f64 v[44:45], v[58:59], v[56:57]
	v_mul_f64 v[42:43], v[42:43], v[56:57]
.LBB73_143:                             ;   in Loop: Header=BB73_114 Depth=1
	s_or_b64 exec, exec, s[4:5]
	v_mul_f64 v[56:57], s[18:19], v[42:43]
	v_mul_f64 v[58:59], s[16:17], v[42:43]
	s_mov_b64 s[4:5], 0
	v_fma_f64 v[42:43], s[16:17], v[44:45], -v[56:57]
	v_fma_f64 v[44:45], s[18:19], v[44:45], v[58:59]
.LBB73_144:                             ;   in Loop: Header=BB73_114 Depth=1
	s_and_b64 vcc, exec, s[4:5]
	s_cbranch_vccz .LBB73_154
; %bb.145:                              ;   in Loop: Header=BB73_114 Depth=1
                                        ; implicit-def: $vgpr44_vgpr45
                                        ; implicit-def: $vgpr42_vgpr43
	s_and_saveexec_b64 s[4:5], s[2:3]
	s_xor_b64 s[4:5], exec, s[4:5]
	s_cbranch_execz .LBB73_151
; %bb.146:                              ;   in Loop: Header=BB73_114 Depth=1
	v_cmp_neq_f64_e32 vcc, 0, v[38:39]
	v_cmp_neq_f64_e64 s[2:3], 0, v[40:41]
                                        ; implicit-def: $vgpr44_vgpr45
                                        ; implicit-def: $vgpr42_vgpr43
	s_or_b64 s[2:3], vcc, s[2:3]
	s_and_saveexec_b64 s[12:13], s[2:3]
	s_xor_b64 s[2:3], exec, s[12:13]
	s_cbranch_execz .LBB73_148
; %bb.147:                              ;   in Loop: Header=BB73_114 Depth=1
	v_div_scale_f64 v[42:43], s[12:13], v[38:39], v[38:39], v[40:41]
	v_rcp_f64_e32 v[44:45], v[42:43]
	v_fma_f64 v[46:47], -v[42:43], v[44:45], 1.0
	v_fma_f64 v[44:45], v[44:45], v[46:47], v[44:45]
	v_div_scale_f64 v[46:47], vcc, v[40:41], v[38:39], v[40:41]
	v_fma_f64 v[48:49], -v[42:43], v[44:45], 1.0
	v_fma_f64 v[44:45], v[44:45], v[48:49], v[44:45]
	v_mul_f64 v[48:49], v[46:47], v[44:45]
	v_fma_f64 v[42:43], -v[42:43], v[48:49], v[46:47]
	v_div_fmas_f64 v[42:43], v[42:43], v[44:45], v[48:49]
	v_div_fixup_f64 v[42:43], v[42:43], v[38:39], v[40:41]
	v_fma_f64 v[38:39], v[40:41], v[42:43], v[38:39]
	v_div_scale_f64 v[40:41], s[12:13], v[38:39], v[38:39], 1.0
	v_rcp_f64_e32 v[44:45], v[40:41]
	v_fma_f64 v[46:47], -v[40:41], v[44:45], 1.0
	v_fma_f64 v[44:45], v[44:45], v[46:47], v[44:45]
	v_div_scale_f64 v[46:47], vcc, 1.0, v[38:39], 1.0
	v_fma_f64 v[48:49], -v[40:41], v[44:45], 1.0
	v_fma_f64 v[44:45], v[44:45], v[48:49], v[44:45]
	v_mul_f64 v[48:49], v[46:47], v[44:45]
	v_fma_f64 v[40:41], -v[40:41], v[48:49], v[46:47]
                                        ; implicit-def: $vgpr46_vgpr47
	v_div_fmas_f64 v[40:41], v[40:41], v[44:45], v[48:49]
	v_fma_f64 v[44:45], v[36:37], v[42:43], v[34:35]
	v_fma_f64 v[34:35], -v[34:35], v[42:43], v[36:37]
                                        ; implicit-def: $vgpr48_vgpr49
	v_div_fixup_f64 v[38:39], v[40:41], v[38:39], 1.0
	v_mul_f64 v[42:43], v[44:45], v[38:39]
	v_mul_f64 v[44:45], v[34:35], v[38:39]
                                        ; implicit-def: $vgpr34_vgpr35
.LBB73_148:                             ;   in Loop: Header=BB73_114 Depth=1
	s_andn2_saveexec_b64 s[12:13], s[2:3]
	s_cbranch_execz .LBB73_150
; %bb.149:                              ;   in Loop: Header=BB73_114 Depth=1
	v_div_scale_f64 v[38:39], s[2:3], v[46:47], v[46:47], v[34:35]
	v_div_scale_f64 v[40:41], s[2:3], v[48:49], v[48:49], v[36:37]
	;; [unrolled: 1-line block ×3, first 2 shown]
	v_rcp_f64_e32 v[42:43], v[38:39]
	v_rcp_f64_e32 v[44:45], v[40:41]
	v_fma_f64 v[56:57], -v[38:39], v[42:43], 1.0
	v_fma_f64 v[58:59], -v[40:41], v[44:45], 1.0
	v_fma_f64 v[42:43], v[42:43], v[56:57], v[42:43]
	v_div_scale_f64 v[56:57], vcc, v[34:35], v[46:47], v[34:35]
	v_fma_f64 v[44:45], v[44:45], v[58:59], v[44:45]
	v_fma_f64 v[58:59], -v[38:39], v[42:43], 1.0
	v_fma_f64 v[63:64], -v[40:41], v[44:45], 1.0
	v_fma_f64 v[42:43], v[42:43], v[58:59], v[42:43]
	v_fma_f64 v[44:45], v[44:45], v[63:64], v[44:45]
	v_mul_f64 v[58:59], v[56:57], v[42:43]
	v_mul_f64 v[63:64], v[61:62], v[44:45]
	v_fma_f64 v[38:39], -v[38:39], v[58:59], v[56:57]
	v_fma_f64 v[40:41], -v[40:41], v[63:64], v[61:62]
	v_div_fmas_f64 v[38:39], v[38:39], v[42:43], v[58:59]
	s_mov_b64 vcc, s[2:3]
	v_div_fmas_f64 v[40:41], v[40:41], v[44:45], v[63:64]
	v_div_fixup_f64 v[42:43], v[38:39], v[46:47], v[34:35]
	v_div_fixup_f64 v[44:45], v[40:41], v[48:49], v[36:37]
.LBB73_150:                             ;   in Loop: Header=BB73_114 Depth=1
	s_or_b64 exec, exec, s[12:13]
                                        ; implicit-def: $vgpr40_vgpr41
                                        ; implicit-def: $vgpr34_vgpr35
.LBB73_151:                             ;   in Loop: Header=BB73_114 Depth=1
	s_andn2_saveexec_b64 s[2:3], s[4:5]
	s_cbranch_execz .LBB73_153
; %bb.152:                              ;   in Loop: Header=BB73_114 Depth=1
	v_div_scale_f64 v[42:43], s[4:5], v[40:41], v[40:41], v[38:39]
	v_rcp_f64_e32 v[44:45], v[42:43]
	v_fma_f64 v[46:47], -v[42:43], v[44:45], 1.0
	v_fma_f64 v[44:45], v[44:45], v[46:47], v[44:45]
	v_div_scale_f64 v[46:47], vcc, v[38:39], v[40:41], v[38:39]
	v_fma_f64 v[48:49], -v[42:43], v[44:45], 1.0
	v_fma_f64 v[44:45], v[44:45], v[48:49], v[44:45]
	v_mul_f64 v[48:49], v[46:47], v[44:45]
	v_fma_f64 v[42:43], -v[42:43], v[48:49], v[46:47]
	v_div_fmas_f64 v[42:43], v[42:43], v[44:45], v[48:49]
	v_div_fixup_f64 v[42:43], v[42:43], v[40:41], v[38:39]
	v_fma_f64 v[38:39], v[38:39], v[42:43], v[40:41]
	v_div_scale_f64 v[40:41], s[4:5], v[38:39], v[38:39], 1.0
	v_rcp_f64_e32 v[44:45], v[40:41]
	v_fma_f64 v[46:47], -v[40:41], v[44:45], 1.0
	v_fma_f64 v[44:45], v[44:45], v[46:47], v[44:45]
	v_div_scale_f64 v[46:47], vcc, 1.0, v[38:39], 1.0
	v_fma_f64 v[48:49], -v[40:41], v[44:45], 1.0
	v_fma_f64 v[44:45], v[44:45], v[48:49], v[44:45]
	v_mul_f64 v[48:49], v[46:47], v[44:45]
	v_fma_f64 v[40:41], -v[40:41], v[48:49], v[46:47]
	v_div_fmas_f64 v[40:41], v[40:41], v[44:45], v[48:49]
	v_fma_f64 v[44:45], v[34:35], v[42:43], v[36:37]
	v_fma_f64 v[34:35], v[36:37], v[42:43], -v[34:35]
	v_div_fixup_f64 v[38:39], v[40:41], v[38:39], 1.0
	v_mul_f64 v[42:43], v[44:45], v[38:39]
	v_mul_f64 v[44:45], v[34:35], v[38:39]
.LBB73_153:                             ;   in Loop: Header=BB73_114 Depth=1
	s_or_b64 exec, exec, s[2:3]
.LBB73_154:                             ;   in Loop: Header=BB73_114 Depth=1
	s_waitcnt vmcnt(4)
	v_cmp_gt_f64_e32 vcc, 0, v[30:31]
	v_xor_b32_e32 v34, 0x80000000, v31
	v_mov_b32_e32 v38, v30
	v_mov_b32_e32 v40, v32
	s_mov_b64 s[4:5], -1
                                        ; implicit-def: $vgpr36_vgpr37
	v_cndmask_b32_e32 v39, v31, v34, vcc
	v_cmp_gt_f64_e32 vcc, 0, v[32:33]
	v_xor_b32_e32 v34, 0x80000000, v33
	v_cndmask_b32_e32 v41, v33, v34, vcc
	v_cmp_ge_f64_e64 s[2:3], v[38:39], v[40:41]
	s_and_b64 vcc, exec, s[0:1]
                                        ; implicit-def: $vgpr34_vgpr35
	s_cbranch_vccnz .LBB73_164
; %bb.155:                              ;   in Loop: Header=BB73_114 Depth=1
                                        ; implicit-def: $vgpr34_vgpr35
                                        ; implicit-def: $vgpr36_vgpr37
	s_and_saveexec_b64 s[4:5], s[2:3]
	s_xor_b64 s[12:13], exec, s[4:5]
	s_cbranch_execz .LBB73_161
; %bb.156:                              ;   in Loop: Header=BB73_114 Depth=1
	v_cmp_neq_f64_e32 vcc, 0, v[30:31]
	v_cmp_neq_f64_e64 s[4:5], 0, v[32:33]
                                        ; implicit-def: $vgpr34_vgpr35
                                        ; implicit-def: $vgpr36_vgpr37
	s_or_b64 s[4:5], vcc, s[4:5]
	s_and_saveexec_b64 s[14:15], s[4:5]
	s_xor_b64 s[4:5], exec, s[14:15]
	s_cbranch_execz .LBB73_158
; %bb.157:                              ;   in Loop: Header=BB73_114 Depth=1
	v_div_scale_f64 v[34:35], s[14:15], v[30:31], v[30:31], v[32:33]
	v_rcp_f64_e32 v[36:37], v[34:35]
	v_fma_f64 v[46:47], -v[34:35], v[36:37], 1.0
	v_fma_f64 v[36:37], v[36:37], v[46:47], v[36:37]
	v_div_scale_f64 v[46:47], vcc, v[32:33], v[30:31], v[32:33]
	v_fma_f64 v[48:49], -v[34:35], v[36:37], 1.0
	v_fma_f64 v[36:37], v[36:37], v[48:49], v[36:37]
	v_mul_f64 v[48:49], v[46:47], v[36:37]
	v_fma_f64 v[34:35], -v[34:35], v[48:49], v[46:47]
	v_div_fmas_f64 v[34:35], v[34:35], v[36:37], v[48:49]
	v_div_fixup_f64 v[34:35], v[34:35], v[30:31], v[32:33]
	v_fma_f64 v[36:37], v[32:33], v[34:35], v[30:31]
	v_div_scale_f64 v[46:47], s[14:15], v[36:37], v[36:37], 1.0
	v_rcp_f64_e32 v[48:49], v[46:47]
	v_fma_f64 v[56:57], -v[46:47], v[48:49], 1.0
	v_fma_f64 v[48:49], v[48:49], v[56:57], v[48:49]
	v_div_scale_f64 v[56:57], vcc, 1.0, v[36:37], 1.0
	v_fma_f64 v[58:59], -v[46:47], v[48:49], 1.0
	v_fma_f64 v[48:49], v[48:49], v[58:59], v[48:49]
	v_mul_f64 v[58:59], v[56:57], v[48:49]
	v_fma_f64 v[46:47], -v[46:47], v[58:59], v[56:57]
	v_div_fmas_f64 v[46:47], v[46:47], v[48:49], v[58:59]
	v_fma_f64 v[48:49], v[28:29], v[34:35], v[26:27]
	v_fma_f64 v[34:35], -v[26:27], v[34:35], v[28:29]
	v_div_fixup_f64 v[46:47], v[46:47], v[36:37], 1.0
	v_mul_f64 v[36:37], v[48:49], v[46:47]
	v_mul_f64 v[34:35], v[34:35], v[46:47]
.LBB73_158:                             ;   in Loop: Header=BB73_114 Depth=1
	s_andn2_saveexec_b64 s[14:15], s[4:5]
	s_cbranch_execz .LBB73_160
; %bb.159:                              ;   in Loop: Header=BB73_114 Depth=1
	v_div_scale_f64 v[34:35], s[4:5], v[38:39], v[38:39], v[26:27]
	v_div_scale_f64 v[36:37], s[4:5], v[40:41], v[40:41], v[28:29]
	v_div_scale_f64 v[61:62], s[4:5], v[28:29], v[40:41], v[28:29]
	v_rcp_f64_e32 v[46:47], v[34:35]
	v_rcp_f64_e32 v[48:49], v[36:37]
	v_fma_f64 v[56:57], -v[34:35], v[46:47], 1.0
	v_fma_f64 v[58:59], -v[36:37], v[48:49], 1.0
	v_fma_f64 v[46:47], v[46:47], v[56:57], v[46:47]
	v_div_scale_f64 v[56:57], vcc, v[26:27], v[38:39], v[26:27]
	v_fma_f64 v[48:49], v[48:49], v[58:59], v[48:49]
	v_fma_f64 v[58:59], -v[34:35], v[46:47], 1.0
	v_fma_f64 v[63:64], -v[36:37], v[48:49], 1.0
	v_fma_f64 v[46:47], v[46:47], v[58:59], v[46:47]
	v_fma_f64 v[48:49], v[48:49], v[63:64], v[48:49]
	v_mul_f64 v[58:59], v[56:57], v[46:47]
	v_mul_f64 v[63:64], v[61:62], v[48:49]
	v_fma_f64 v[34:35], -v[34:35], v[58:59], v[56:57]
	v_fma_f64 v[36:37], -v[36:37], v[63:64], v[61:62]
	v_div_fmas_f64 v[34:35], v[34:35], v[46:47], v[58:59]
	s_mov_b64 vcc, s[4:5]
	v_div_fmas_f64 v[46:47], v[36:37], v[48:49], v[63:64]
	v_div_fixup_f64 v[36:37], v[34:35], v[38:39], v[26:27]
	v_div_fixup_f64 v[34:35], v[46:47], v[40:41], v[28:29]
.LBB73_160:                             ;   in Loop: Header=BB73_114 Depth=1
	s_or_b64 exec, exec, s[14:15]
.LBB73_161:                             ;   in Loop: Header=BB73_114 Depth=1
	s_andn2_saveexec_b64 s[4:5], s[12:13]
	s_cbranch_execz .LBB73_163
; %bb.162:                              ;   in Loop: Header=BB73_114 Depth=1
	v_div_scale_f64 v[34:35], s[12:13], v[32:33], v[32:33], v[30:31]
	v_rcp_f64_e32 v[36:37], v[34:35]
	v_fma_f64 v[46:47], -v[34:35], v[36:37], 1.0
	v_fma_f64 v[36:37], v[36:37], v[46:47], v[36:37]
	v_div_scale_f64 v[46:47], vcc, v[30:31], v[32:33], v[30:31]
	v_fma_f64 v[48:49], -v[34:35], v[36:37], 1.0
	v_fma_f64 v[36:37], v[36:37], v[48:49], v[36:37]
	v_mul_f64 v[48:49], v[46:47], v[36:37]
	v_fma_f64 v[34:35], -v[34:35], v[48:49], v[46:47]
	v_div_fmas_f64 v[34:35], v[34:35], v[36:37], v[48:49]
	v_div_fixup_f64 v[34:35], v[34:35], v[32:33], v[30:31]
	v_fma_f64 v[36:37], v[30:31], v[34:35], v[32:33]
	v_div_scale_f64 v[46:47], s[12:13], v[36:37], v[36:37], 1.0
	v_rcp_f64_e32 v[48:49], v[46:47]
	v_fma_f64 v[56:57], -v[46:47], v[48:49], 1.0
	v_fma_f64 v[48:49], v[48:49], v[56:57], v[48:49]
	v_div_scale_f64 v[56:57], vcc, 1.0, v[36:37], 1.0
	v_fma_f64 v[58:59], -v[46:47], v[48:49], 1.0
	v_fma_f64 v[48:49], v[48:49], v[58:59], v[48:49]
	v_mul_f64 v[58:59], v[56:57], v[48:49]
	v_fma_f64 v[46:47], -v[46:47], v[58:59], v[56:57]
	v_div_fmas_f64 v[46:47], v[46:47], v[48:49], v[58:59]
	v_fma_f64 v[48:49], v[26:27], v[34:35], v[28:29]
	v_fma_f64 v[34:35], v[28:29], v[34:35], -v[26:27]
	v_div_fixup_f64 v[46:47], v[46:47], v[36:37], 1.0
	v_mul_f64 v[36:37], v[48:49], v[46:47]
	v_mul_f64 v[34:35], v[34:35], v[46:47]
.LBB73_163:                             ;   in Loop: Header=BB73_114 Depth=1
	s_or_b64 exec, exec, s[4:5]
	v_mul_f64 v[46:47], s[18:19], v[34:35]
	v_mul_f64 v[48:49], s[16:17], v[34:35]
	s_mov_b64 s[4:5], 0
	v_fma_f64 v[34:35], s[16:17], v[36:37], -v[46:47]
	v_fma_f64 v[36:37], s[18:19], v[36:37], v[48:49]
.LBB73_164:                             ;   in Loop: Header=BB73_114 Depth=1
	s_and_b64 vcc, exec, s[4:5]
	s_cbranch_vccz .LBB73_174
; %bb.165:                              ;   in Loop: Header=BB73_114 Depth=1
                                        ; implicit-def: $vgpr36_vgpr37
                                        ; implicit-def: $vgpr34_vgpr35
	s_and_saveexec_b64 s[4:5], s[2:3]
	s_xor_b64 s[4:5], exec, s[4:5]
	s_cbranch_execz .LBB73_171
; %bb.166:                              ;   in Loop: Header=BB73_114 Depth=1
	v_cmp_neq_f64_e32 vcc, 0, v[30:31]
	v_cmp_neq_f64_e64 s[2:3], 0, v[32:33]
                                        ; implicit-def: $vgpr36_vgpr37
                                        ; implicit-def: $vgpr34_vgpr35
	s_or_b64 s[2:3], vcc, s[2:3]
	s_and_saveexec_b64 s[12:13], s[2:3]
	s_xor_b64 s[2:3], exec, s[12:13]
	s_cbranch_execz .LBB73_168
; %bb.167:                              ;   in Loop: Header=BB73_114 Depth=1
	v_div_scale_f64 v[34:35], s[12:13], v[30:31], v[30:31], v[32:33]
	v_rcp_f64_e32 v[36:37], v[34:35]
	v_fma_f64 v[38:39], -v[34:35], v[36:37], 1.0
	v_fma_f64 v[36:37], v[36:37], v[38:39], v[36:37]
	v_div_scale_f64 v[38:39], vcc, v[32:33], v[30:31], v[32:33]
	v_fma_f64 v[40:41], -v[34:35], v[36:37], 1.0
	v_fma_f64 v[36:37], v[36:37], v[40:41], v[36:37]
	v_mul_f64 v[40:41], v[38:39], v[36:37]
	v_fma_f64 v[34:35], -v[34:35], v[40:41], v[38:39]
	v_div_fmas_f64 v[34:35], v[34:35], v[36:37], v[40:41]
	v_div_fixup_f64 v[34:35], v[34:35], v[30:31], v[32:33]
	v_fma_f64 v[30:31], v[32:33], v[34:35], v[30:31]
	v_div_scale_f64 v[32:33], s[12:13], v[30:31], v[30:31], 1.0
	v_rcp_f64_e32 v[36:37], v[32:33]
	v_fma_f64 v[38:39], -v[32:33], v[36:37], 1.0
	v_fma_f64 v[36:37], v[36:37], v[38:39], v[36:37]
	v_div_scale_f64 v[38:39], vcc, 1.0, v[30:31], 1.0
	v_fma_f64 v[40:41], -v[32:33], v[36:37], 1.0
	v_fma_f64 v[36:37], v[36:37], v[40:41], v[36:37]
	v_mul_f64 v[40:41], v[38:39], v[36:37]
	v_fma_f64 v[32:33], -v[32:33], v[40:41], v[38:39]
                                        ; implicit-def: $vgpr38_vgpr39
	v_div_fmas_f64 v[32:33], v[32:33], v[36:37], v[40:41]
	v_fma_f64 v[36:37], v[28:29], v[34:35], v[26:27]
	v_fma_f64 v[26:27], -v[26:27], v[34:35], v[28:29]
                                        ; implicit-def: $vgpr40_vgpr41
	v_div_fixup_f64 v[30:31], v[32:33], v[30:31], 1.0
	v_mul_f64 v[34:35], v[36:37], v[30:31]
	v_mul_f64 v[36:37], v[26:27], v[30:31]
                                        ; implicit-def: $vgpr26_vgpr27
.LBB73_168:                             ;   in Loop: Header=BB73_114 Depth=1
	s_andn2_saveexec_b64 s[12:13], s[2:3]
	s_cbranch_execz .LBB73_170
; %bb.169:                              ;   in Loop: Header=BB73_114 Depth=1
	v_div_scale_f64 v[30:31], s[2:3], v[38:39], v[38:39], v[26:27]
	v_div_scale_f64 v[32:33], s[2:3], v[40:41], v[40:41], v[28:29]
	;; [unrolled: 1-line block ×3, first 2 shown]
	v_rcp_f64_e32 v[34:35], v[30:31]
	v_rcp_f64_e32 v[36:37], v[32:33]
	v_fma_f64 v[46:47], -v[30:31], v[34:35], 1.0
	v_fma_f64 v[48:49], -v[32:33], v[36:37], 1.0
	v_fma_f64 v[34:35], v[34:35], v[46:47], v[34:35]
	v_div_scale_f64 v[46:47], vcc, v[26:27], v[38:39], v[26:27]
	v_fma_f64 v[36:37], v[36:37], v[48:49], v[36:37]
	v_fma_f64 v[48:49], -v[30:31], v[34:35], 1.0
	v_fma_f64 v[58:59], -v[32:33], v[36:37], 1.0
	v_fma_f64 v[34:35], v[34:35], v[48:49], v[34:35]
	v_fma_f64 v[36:37], v[36:37], v[58:59], v[36:37]
	v_mul_f64 v[48:49], v[46:47], v[34:35]
	v_mul_f64 v[58:59], v[56:57], v[36:37]
	v_fma_f64 v[30:31], -v[30:31], v[48:49], v[46:47]
	v_fma_f64 v[32:33], -v[32:33], v[58:59], v[56:57]
	v_div_fmas_f64 v[30:31], v[30:31], v[34:35], v[48:49]
	s_mov_b64 vcc, s[2:3]
	v_div_fmas_f64 v[32:33], v[32:33], v[36:37], v[58:59]
	v_div_fixup_f64 v[34:35], v[30:31], v[38:39], v[26:27]
	v_div_fixup_f64 v[36:37], v[32:33], v[40:41], v[28:29]
.LBB73_170:                             ;   in Loop: Header=BB73_114 Depth=1
	s_or_b64 exec, exec, s[12:13]
                                        ; implicit-def: $vgpr32_vgpr33
                                        ; implicit-def: $vgpr26_vgpr27
.LBB73_171:                             ;   in Loop: Header=BB73_114 Depth=1
	s_andn2_saveexec_b64 s[2:3], s[4:5]
	s_cbranch_execz .LBB73_173
; %bb.172:                              ;   in Loop: Header=BB73_114 Depth=1
	v_div_scale_f64 v[34:35], s[4:5], v[32:33], v[32:33], v[30:31]
	v_rcp_f64_e32 v[36:37], v[34:35]
	v_fma_f64 v[38:39], -v[34:35], v[36:37], 1.0
	v_fma_f64 v[36:37], v[36:37], v[38:39], v[36:37]
	v_div_scale_f64 v[38:39], vcc, v[30:31], v[32:33], v[30:31]
	v_fma_f64 v[40:41], -v[34:35], v[36:37], 1.0
	v_fma_f64 v[36:37], v[36:37], v[40:41], v[36:37]
	v_mul_f64 v[40:41], v[38:39], v[36:37]
	v_fma_f64 v[34:35], -v[34:35], v[40:41], v[38:39]
	v_div_fmas_f64 v[34:35], v[34:35], v[36:37], v[40:41]
	v_div_fixup_f64 v[34:35], v[34:35], v[32:33], v[30:31]
	v_fma_f64 v[30:31], v[30:31], v[34:35], v[32:33]
	v_div_scale_f64 v[32:33], s[4:5], v[30:31], v[30:31], 1.0
	v_rcp_f64_e32 v[36:37], v[32:33]
	v_fma_f64 v[38:39], -v[32:33], v[36:37], 1.0
	v_fma_f64 v[36:37], v[36:37], v[38:39], v[36:37]
	v_div_scale_f64 v[38:39], vcc, 1.0, v[30:31], 1.0
	v_fma_f64 v[40:41], -v[32:33], v[36:37], 1.0
	v_fma_f64 v[36:37], v[36:37], v[40:41], v[36:37]
	v_mul_f64 v[40:41], v[38:39], v[36:37]
	v_fma_f64 v[32:33], -v[32:33], v[40:41], v[38:39]
	v_div_fmas_f64 v[32:33], v[32:33], v[36:37], v[40:41]
	v_fma_f64 v[36:37], v[26:27], v[34:35], v[28:29]
	v_fma_f64 v[26:27], v[28:29], v[34:35], -v[26:27]
	v_div_fixup_f64 v[30:31], v[32:33], v[30:31], 1.0
	v_mul_f64 v[34:35], v[36:37], v[30:31]
	v_mul_f64 v[36:37], v[26:27], v[30:31]
.LBB73_173:                             ;   in Loop: Header=BB73_114 Depth=1
	s_or_b64 exec, exec, s[2:3]
.LBB73_174:                             ;   in Loop: Header=BB73_114 Depth=1
	v_cmp_gt_f64_e32 vcc, 0, v[22:23]
	v_xor_b32_e32 v26, 0x80000000, v23
	v_xor_b32_e32 v28, 0x80000000, v25
                                        ; implicit-def: $vgpr32_vgpr33
                                        ; implicit-def: $vgpr30_vgpr31
	v_cndmask_b32_e32 v27, v23, v26, vcc
	v_cmp_gt_f64_e32 vcc, 0, v[24:25]
	v_mov_b32_e32 v26, v22
	v_cndmask_b32_e32 v29, v25, v28, vcc
	v_mov_b32_e32 v28, v24
	v_cmp_ge_f64_e64 s[2:3], v[26:27], v[28:29]
	s_and_b64 vcc, exec, s[0:1]
	s_mov_b64 s[0:1], -1
	s_cbranch_vccnz .LBB73_184
; %bb.175:                              ;   in Loop: Header=BB73_114 Depth=1
                                        ; implicit-def: $vgpr30_vgpr31
                                        ; implicit-def: $vgpr32_vgpr33
	s_and_saveexec_b64 s[0:1], s[2:3]
	s_xor_b64 s[4:5], exec, s[0:1]
	s_cbranch_execz .LBB73_181
; %bb.176:                              ;   in Loop: Header=BB73_114 Depth=1
	v_cmp_neq_f64_e32 vcc, 0, v[22:23]
	v_cmp_neq_f64_e64 s[0:1], 0, v[24:25]
                                        ; implicit-def: $vgpr30_vgpr31
                                        ; implicit-def: $vgpr32_vgpr33
	s_or_b64 s[0:1], vcc, s[0:1]
	s_and_saveexec_b64 s[12:13], s[0:1]
	s_xor_b64 s[0:1], exec, s[12:13]
	s_cbranch_execz .LBB73_178
; %bb.177:                              ;   in Loop: Header=BB73_114 Depth=1
	v_div_scale_f64 v[30:31], s[12:13], v[22:23], v[22:23], v[24:25]
	v_rcp_f64_e32 v[32:33], v[30:31]
	v_fma_f64 v[38:39], -v[30:31], v[32:33], 1.0
	v_fma_f64 v[32:33], v[32:33], v[38:39], v[32:33]
	v_div_scale_f64 v[38:39], vcc, v[24:25], v[22:23], v[24:25]
	v_fma_f64 v[40:41], -v[30:31], v[32:33], 1.0
	v_fma_f64 v[32:33], v[32:33], v[40:41], v[32:33]
	v_mul_f64 v[40:41], v[38:39], v[32:33]
	v_fma_f64 v[30:31], -v[30:31], v[40:41], v[38:39]
	v_div_fmas_f64 v[30:31], v[30:31], v[32:33], v[40:41]
	v_div_fixup_f64 v[30:31], v[30:31], v[22:23], v[24:25]
	v_fma_f64 v[32:33], v[24:25], v[30:31], v[22:23]
	v_div_scale_f64 v[38:39], s[12:13], v[32:33], v[32:33], 1.0
	v_rcp_f64_e32 v[40:41], v[38:39]
	v_fma_f64 v[46:47], -v[38:39], v[40:41], 1.0
	v_fma_f64 v[40:41], v[40:41], v[46:47], v[40:41]
	v_div_scale_f64 v[46:47], vcc, 1.0, v[32:33], 1.0
	v_fma_f64 v[48:49], -v[38:39], v[40:41], 1.0
	v_fma_f64 v[40:41], v[40:41], v[48:49], v[40:41]
	v_mul_f64 v[48:49], v[46:47], v[40:41]
	v_fma_f64 v[38:39], -v[38:39], v[48:49], v[46:47]
	v_div_fmas_f64 v[38:39], v[38:39], v[40:41], v[48:49]
	v_fma_f64 v[40:41], v[20:21], v[30:31], v[18:19]
	v_fma_f64 v[30:31], -v[18:19], v[30:31], v[20:21]
	v_div_fixup_f64 v[38:39], v[38:39], v[32:33], 1.0
	v_mul_f64 v[32:33], v[40:41], v[38:39]
	v_mul_f64 v[30:31], v[30:31], v[38:39]
.LBB73_178:                             ;   in Loop: Header=BB73_114 Depth=1
	s_andn2_saveexec_b64 s[12:13], s[0:1]
	s_cbranch_execz .LBB73_180
; %bb.179:                              ;   in Loop: Header=BB73_114 Depth=1
	v_div_scale_f64 v[30:31], s[0:1], v[26:27], v[26:27], v[18:19]
	v_div_scale_f64 v[32:33], s[0:1], v[28:29], v[28:29], v[20:21]
	;; [unrolled: 1-line block ×3, first 2 shown]
	v_rcp_f64_e32 v[38:39], v[30:31]
	v_rcp_f64_e32 v[40:41], v[32:33]
	v_fma_f64 v[46:47], -v[30:31], v[38:39], 1.0
	v_fma_f64 v[48:49], -v[32:33], v[40:41], 1.0
	v_fma_f64 v[38:39], v[38:39], v[46:47], v[38:39]
	v_div_scale_f64 v[46:47], vcc, v[18:19], v[26:27], v[18:19]
	v_fma_f64 v[40:41], v[40:41], v[48:49], v[40:41]
	v_fma_f64 v[48:49], -v[30:31], v[38:39], 1.0
	v_fma_f64 v[58:59], -v[32:33], v[40:41], 1.0
	v_fma_f64 v[38:39], v[38:39], v[48:49], v[38:39]
	v_fma_f64 v[40:41], v[40:41], v[58:59], v[40:41]
	v_mul_f64 v[48:49], v[46:47], v[38:39]
	v_mul_f64 v[58:59], v[56:57], v[40:41]
	v_fma_f64 v[30:31], -v[30:31], v[48:49], v[46:47]
	v_fma_f64 v[32:33], -v[32:33], v[58:59], v[56:57]
	v_div_fmas_f64 v[30:31], v[30:31], v[38:39], v[48:49]
	s_mov_b64 vcc, s[0:1]
	v_div_fmas_f64 v[38:39], v[32:33], v[40:41], v[58:59]
	v_div_fixup_f64 v[32:33], v[30:31], v[26:27], v[18:19]
	v_div_fixup_f64 v[30:31], v[38:39], v[28:29], v[20:21]
.LBB73_180:                             ;   in Loop: Header=BB73_114 Depth=1
	s_or_b64 exec, exec, s[12:13]
.LBB73_181:                             ;   in Loop: Header=BB73_114 Depth=1
	s_andn2_saveexec_b64 s[0:1], s[4:5]
	s_cbranch_execz .LBB73_183
; %bb.182:                              ;   in Loop: Header=BB73_114 Depth=1
	v_div_scale_f64 v[30:31], s[4:5], v[24:25], v[24:25], v[22:23]
	v_rcp_f64_e32 v[32:33], v[30:31]
	v_fma_f64 v[38:39], -v[30:31], v[32:33], 1.0
	v_fma_f64 v[32:33], v[32:33], v[38:39], v[32:33]
	v_div_scale_f64 v[38:39], vcc, v[22:23], v[24:25], v[22:23]
	v_fma_f64 v[40:41], -v[30:31], v[32:33], 1.0
	v_fma_f64 v[32:33], v[32:33], v[40:41], v[32:33]
	v_mul_f64 v[40:41], v[38:39], v[32:33]
	v_fma_f64 v[30:31], -v[30:31], v[40:41], v[38:39]
	v_div_fmas_f64 v[30:31], v[30:31], v[32:33], v[40:41]
	v_div_fixup_f64 v[30:31], v[30:31], v[24:25], v[22:23]
	v_fma_f64 v[32:33], v[22:23], v[30:31], v[24:25]
	v_div_scale_f64 v[38:39], s[4:5], v[32:33], v[32:33], 1.0
	v_rcp_f64_e32 v[40:41], v[38:39]
	v_fma_f64 v[46:47], -v[38:39], v[40:41], 1.0
	v_fma_f64 v[40:41], v[40:41], v[46:47], v[40:41]
	v_div_scale_f64 v[46:47], vcc, 1.0, v[32:33], 1.0
	v_fma_f64 v[48:49], -v[38:39], v[40:41], 1.0
	v_fma_f64 v[40:41], v[40:41], v[48:49], v[40:41]
	v_mul_f64 v[48:49], v[46:47], v[40:41]
	v_fma_f64 v[38:39], -v[38:39], v[48:49], v[46:47]
	v_div_fmas_f64 v[38:39], v[38:39], v[40:41], v[48:49]
	v_fma_f64 v[40:41], v[18:19], v[30:31], v[20:21]
	v_fma_f64 v[30:31], v[20:21], v[30:31], -v[18:19]
	v_div_fixup_f64 v[38:39], v[38:39], v[32:33], 1.0
	v_mul_f64 v[32:33], v[40:41], v[38:39]
	v_mul_f64 v[30:31], v[30:31], v[38:39]
.LBB73_183:                             ;   in Loop: Header=BB73_114 Depth=1
	s_or_b64 exec, exec, s[0:1]
	v_mul_f64 v[38:39], s[18:19], v[30:31]
	v_mul_f64 v[40:41], s[16:17], v[30:31]
	s_mov_b64 s[0:1], 0
	v_fma_f64 v[30:31], s[16:17], v[32:33], -v[38:39]
	v_fma_f64 v[32:33], s[18:19], v[32:33], v[40:41]
.LBB73_184:                             ;   in Loop: Header=BB73_114 Depth=1
	s_and_b64 vcc, exec, s[0:1]
	s_cbranch_vccz .LBB73_113
; %bb.185:                              ;   in Loop: Header=BB73_114 Depth=1
                                        ; implicit-def: $vgpr32_vgpr33
                                        ; implicit-def: $vgpr30_vgpr31
	s_and_saveexec_b64 s[0:1], s[2:3]
	s_xor_b64 s[2:3], exec, s[0:1]
	s_cbranch_execz .LBB73_191
; %bb.186:                              ;   in Loop: Header=BB73_114 Depth=1
	v_cmp_neq_f64_e32 vcc, 0, v[22:23]
	v_cmp_neq_f64_e64 s[0:1], 0, v[24:25]
                                        ; implicit-def: $vgpr32_vgpr33
                                        ; implicit-def: $vgpr30_vgpr31
	s_or_b64 s[0:1], vcc, s[0:1]
	s_and_saveexec_b64 s[4:5], s[0:1]
	s_xor_b64 s[0:1], exec, s[4:5]
	s_cbranch_execz .LBB73_188
; %bb.187:                              ;   in Loop: Header=BB73_114 Depth=1
	v_div_scale_f64 v[26:27], s[4:5], v[22:23], v[22:23], v[24:25]
	v_rcp_f64_e32 v[28:29], v[26:27]
	v_fma_f64 v[30:31], -v[26:27], v[28:29], 1.0
	v_fma_f64 v[28:29], v[28:29], v[30:31], v[28:29]
	v_div_scale_f64 v[30:31], vcc, v[24:25], v[22:23], v[24:25]
	v_fma_f64 v[32:33], -v[26:27], v[28:29], 1.0
	v_fma_f64 v[28:29], v[28:29], v[32:33], v[28:29]
	v_mul_f64 v[32:33], v[30:31], v[28:29]
	v_fma_f64 v[26:27], -v[26:27], v[32:33], v[30:31]
	v_div_fmas_f64 v[26:27], v[26:27], v[28:29], v[32:33]
	v_div_fixup_f64 v[26:27], v[26:27], v[22:23], v[24:25]
	v_fma_f64 v[22:23], v[24:25], v[26:27], v[22:23]
	v_div_scale_f64 v[24:25], s[4:5], v[22:23], v[22:23], 1.0
	v_rcp_f64_e32 v[28:29], v[24:25]
	v_fma_f64 v[30:31], -v[24:25], v[28:29], 1.0
	v_fma_f64 v[28:29], v[28:29], v[30:31], v[28:29]
	v_div_scale_f64 v[30:31], vcc, 1.0, v[22:23], 1.0
	v_fma_f64 v[32:33], -v[24:25], v[28:29], 1.0
	v_fma_f64 v[28:29], v[28:29], v[32:33], v[28:29]
	v_mul_f64 v[32:33], v[30:31], v[28:29]
	v_fma_f64 v[24:25], -v[24:25], v[32:33], v[30:31]
	v_div_fmas_f64 v[24:25], v[24:25], v[28:29], v[32:33]
	v_fma_f64 v[28:29], v[20:21], v[26:27], v[18:19]
	v_fma_f64 v[18:19], -v[18:19], v[26:27], v[20:21]
                                        ; implicit-def: $vgpr26_vgpr27
	v_div_fixup_f64 v[22:23], v[24:25], v[22:23], 1.0
	v_mul_f64 v[30:31], v[28:29], v[22:23]
	v_mul_f64 v[32:33], v[18:19], v[22:23]
                                        ; implicit-def: $vgpr18_vgpr19
                                        ; implicit-def: $vgpr28_vgpr29
.LBB73_188:                             ;   in Loop: Header=BB73_114 Depth=1
	s_andn2_saveexec_b64 s[4:5], s[0:1]
	s_cbranch_execz .LBB73_190
; %bb.189:                              ;   in Loop: Header=BB73_114 Depth=1
	v_div_scale_f64 v[22:23], s[0:1], v[26:27], v[26:27], v[18:19]
	v_div_scale_f64 v[24:25], s[0:1], v[28:29], v[28:29], v[20:21]
	;; [unrolled: 1-line block ×3, first 2 shown]
	v_rcp_f64_e32 v[30:31], v[22:23]
	v_rcp_f64_e32 v[32:33], v[24:25]
	v_fma_f64 v[38:39], -v[22:23], v[30:31], 1.0
	v_fma_f64 v[40:41], -v[24:25], v[32:33], 1.0
	v_fma_f64 v[30:31], v[30:31], v[38:39], v[30:31]
	v_div_scale_f64 v[38:39], vcc, v[18:19], v[26:27], v[18:19]
	v_fma_f64 v[32:33], v[32:33], v[40:41], v[32:33]
	v_fma_f64 v[40:41], -v[22:23], v[30:31], 1.0
	v_fma_f64 v[48:49], -v[24:25], v[32:33], 1.0
	v_fma_f64 v[30:31], v[30:31], v[40:41], v[30:31]
	v_fma_f64 v[32:33], v[32:33], v[48:49], v[32:33]
	v_mul_f64 v[40:41], v[38:39], v[30:31]
	v_mul_f64 v[48:49], v[46:47], v[32:33]
	v_fma_f64 v[22:23], -v[22:23], v[40:41], v[38:39]
	v_fma_f64 v[24:25], -v[24:25], v[48:49], v[46:47]
	v_div_fmas_f64 v[22:23], v[22:23], v[30:31], v[40:41]
	s_mov_b64 vcc, s[0:1]
	v_div_fmas_f64 v[24:25], v[24:25], v[32:33], v[48:49]
	v_div_fixup_f64 v[30:31], v[22:23], v[26:27], v[18:19]
	v_div_fixup_f64 v[32:33], v[24:25], v[28:29], v[20:21]
.LBB73_190:                             ;   in Loop: Header=BB73_114 Depth=1
	s_or_b64 exec, exec, s[4:5]
                                        ; implicit-def: $vgpr24_vgpr25
                                        ; implicit-def: $vgpr18_vgpr19
.LBB73_191:                             ;   in Loop: Header=BB73_114 Depth=1
	s_andn2_saveexec_b64 s[0:1], s[2:3]
	s_cbranch_execz .LBB73_112
; %bb.192:                              ;   in Loop: Header=BB73_114 Depth=1
	v_div_scale_f64 v[26:27], s[2:3], v[24:25], v[24:25], v[22:23]
	v_rcp_f64_e32 v[28:29], v[26:27]
	v_fma_f64 v[30:31], -v[26:27], v[28:29], 1.0
	v_fma_f64 v[28:29], v[28:29], v[30:31], v[28:29]
	v_div_scale_f64 v[30:31], vcc, v[22:23], v[24:25], v[22:23]
	v_fma_f64 v[32:33], -v[26:27], v[28:29], 1.0
	v_fma_f64 v[28:29], v[28:29], v[32:33], v[28:29]
	v_mul_f64 v[32:33], v[30:31], v[28:29]
	v_fma_f64 v[26:27], -v[26:27], v[32:33], v[30:31]
	v_div_fmas_f64 v[26:27], v[26:27], v[28:29], v[32:33]
	v_div_fixup_f64 v[26:27], v[26:27], v[24:25], v[22:23]
	v_fma_f64 v[22:23], v[22:23], v[26:27], v[24:25]
	v_div_scale_f64 v[24:25], s[2:3], v[22:23], v[22:23], 1.0
	v_rcp_f64_e32 v[28:29], v[24:25]
	v_fma_f64 v[30:31], -v[24:25], v[28:29], 1.0
	v_fma_f64 v[28:29], v[28:29], v[30:31], v[28:29]
	v_div_scale_f64 v[30:31], vcc, 1.0, v[22:23], 1.0
	v_fma_f64 v[32:33], -v[24:25], v[28:29], 1.0
	v_fma_f64 v[28:29], v[28:29], v[32:33], v[28:29]
	v_mul_f64 v[32:33], v[30:31], v[28:29]
	v_fma_f64 v[24:25], -v[24:25], v[32:33], v[30:31]
	v_div_fmas_f64 v[24:25], v[24:25], v[28:29], v[32:33]
	v_fma_f64 v[28:29], v[18:19], v[26:27], v[20:21]
	v_fma_f64 v[18:19], v[20:21], v[26:27], -v[18:19]
	v_div_fixup_f64 v[22:23], v[24:25], v[22:23], 1.0
	v_mul_f64 v[30:31], v[28:29], v[22:23]
	v_mul_f64 v[32:33], v[18:19], v[22:23]
	s_branch .LBB73_112
.LBB73_193:
	s_endpgm
	.section	.rodata,"a",@progbits
	.p2align	6, 0x0
	.amdhsa_kernel _ZN2at6native12_GLOBAL__N_125multi_tensor_apply_kernelINS1_18TensorListMetadataILi3EEENS1_24PointwiseOpScalarFunctorIN3c107complexIdEELi3ELi3ELi0EEEJSt7dividesIS8_ES8_EEEvT_T0_DpT1_
		.amdhsa_group_segment_fixed_size 0
		.amdhsa_private_segment_fixed_size 0
		.amdhsa_kernarg_size 3424
		.amdhsa_user_sgpr_count 6
		.amdhsa_user_sgpr_private_segment_buffer 1
		.amdhsa_user_sgpr_dispatch_ptr 0
		.amdhsa_user_sgpr_queue_ptr 0
		.amdhsa_user_sgpr_kernarg_segment_ptr 1
		.amdhsa_user_sgpr_dispatch_id 0
		.amdhsa_user_sgpr_flat_scratch_init 0
		.amdhsa_user_sgpr_private_segment_size 0
		.amdhsa_uses_dynamic_stack 0
		.amdhsa_system_sgpr_private_segment_wavefront_offset 0
		.amdhsa_system_sgpr_workgroup_id_x 1
		.amdhsa_system_sgpr_workgroup_id_y 0
		.amdhsa_system_sgpr_workgroup_id_z 0
		.amdhsa_system_sgpr_workgroup_info 0
		.amdhsa_system_vgpr_workitem_id 0
		.amdhsa_next_free_vgpr 77
		.amdhsa_next_free_sgpr 45
		.amdhsa_reserve_vcc 1
		.amdhsa_reserve_flat_scratch 0
		.amdhsa_float_round_mode_32 0
		.amdhsa_float_round_mode_16_64 0
		.amdhsa_float_denorm_mode_32 3
		.amdhsa_float_denorm_mode_16_64 3
		.amdhsa_dx10_clamp 1
		.amdhsa_ieee_mode 1
		.amdhsa_fp16_overflow 0
		.amdhsa_exception_fp_ieee_invalid_op 0
		.amdhsa_exception_fp_denorm_src 0
		.amdhsa_exception_fp_ieee_div_zero 0
		.amdhsa_exception_fp_ieee_overflow 0
		.amdhsa_exception_fp_ieee_underflow 0
		.amdhsa_exception_fp_ieee_inexact 0
		.amdhsa_exception_int_div_zero 0
	.end_amdhsa_kernel
	.section	.text._ZN2at6native12_GLOBAL__N_125multi_tensor_apply_kernelINS1_18TensorListMetadataILi3EEENS1_24PointwiseOpScalarFunctorIN3c107complexIdEELi3ELi3ELi0EEEJSt7dividesIS8_ES8_EEEvT_T0_DpT1_,"axG",@progbits,_ZN2at6native12_GLOBAL__N_125multi_tensor_apply_kernelINS1_18TensorListMetadataILi3EEENS1_24PointwiseOpScalarFunctorIN3c107complexIdEELi3ELi3ELi0EEEJSt7dividesIS8_ES8_EEEvT_T0_DpT1_,comdat
.Lfunc_end73:
	.size	_ZN2at6native12_GLOBAL__N_125multi_tensor_apply_kernelINS1_18TensorListMetadataILi3EEENS1_24PointwiseOpScalarFunctorIN3c107complexIdEELi3ELi3ELi0EEEJSt7dividesIS8_ES8_EEEvT_T0_DpT1_, .Lfunc_end73-_ZN2at6native12_GLOBAL__N_125multi_tensor_apply_kernelINS1_18TensorListMetadataILi3EEENS1_24PointwiseOpScalarFunctorIN3c107complexIdEELi3ELi3ELi0EEEJSt7dividesIS8_ES8_EEEvT_T0_DpT1_
                                        ; -- End function
	.set _ZN2at6native12_GLOBAL__N_125multi_tensor_apply_kernelINS1_18TensorListMetadataILi3EEENS1_24PointwiseOpScalarFunctorIN3c107complexIdEELi3ELi3ELi0EEEJSt7dividesIS8_ES8_EEEvT_T0_DpT1_.num_vgpr, 77
	.set _ZN2at6native12_GLOBAL__N_125multi_tensor_apply_kernelINS1_18TensorListMetadataILi3EEENS1_24PointwiseOpScalarFunctorIN3c107complexIdEELi3ELi3ELi0EEEJSt7dividesIS8_ES8_EEEvT_T0_DpT1_.num_agpr, 0
	.set _ZN2at6native12_GLOBAL__N_125multi_tensor_apply_kernelINS1_18TensorListMetadataILi3EEENS1_24PointwiseOpScalarFunctorIN3c107complexIdEELi3ELi3ELi0EEEJSt7dividesIS8_ES8_EEEvT_T0_DpT1_.numbered_sgpr, 45
	.set _ZN2at6native12_GLOBAL__N_125multi_tensor_apply_kernelINS1_18TensorListMetadataILi3EEENS1_24PointwiseOpScalarFunctorIN3c107complexIdEELi3ELi3ELi0EEEJSt7dividesIS8_ES8_EEEvT_T0_DpT1_.num_named_barrier, 0
	.set _ZN2at6native12_GLOBAL__N_125multi_tensor_apply_kernelINS1_18TensorListMetadataILi3EEENS1_24PointwiseOpScalarFunctorIN3c107complexIdEELi3ELi3ELi0EEEJSt7dividesIS8_ES8_EEEvT_T0_DpT1_.private_seg_size, 0
	.set _ZN2at6native12_GLOBAL__N_125multi_tensor_apply_kernelINS1_18TensorListMetadataILi3EEENS1_24PointwiseOpScalarFunctorIN3c107complexIdEELi3ELi3ELi0EEEJSt7dividesIS8_ES8_EEEvT_T0_DpT1_.uses_vcc, 1
	.set _ZN2at6native12_GLOBAL__N_125multi_tensor_apply_kernelINS1_18TensorListMetadataILi3EEENS1_24PointwiseOpScalarFunctorIN3c107complexIdEELi3ELi3ELi0EEEJSt7dividesIS8_ES8_EEEvT_T0_DpT1_.uses_flat_scratch, 0
	.set _ZN2at6native12_GLOBAL__N_125multi_tensor_apply_kernelINS1_18TensorListMetadataILi3EEENS1_24PointwiseOpScalarFunctorIN3c107complexIdEELi3ELi3ELi0EEEJSt7dividesIS8_ES8_EEEvT_T0_DpT1_.has_dyn_sized_stack, 0
	.set _ZN2at6native12_GLOBAL__N_125multi_tensor_apply_kernelINS1_18TensorListMetadataILi3EEENS1_24PointwiseOpScalarFunctorIN3c107complexIdEELi3ELi3ELi0EEEJSt7dividesIS8_ES8_EEEvT_T0_DpT1_.has_recursion, 0
	.set _ZN2at6native12_GLOBAL__N_125multi_tensor_apply_kernelINS1_18TensorListMetadataILi3EEENS1_24PointwiseOpScalarFunctorIN3c107complexIdEELi3ELi3ELi0EEEJSt7dividesIS8_ES8_EEEvT_T0_DpT1_.has_indirect_call, 0
	.section	.AMDGPU.csdata,"",@progbits
; Kernel info:
; codeLenInByte = 13064
; TotalNumSgprs: 49
; NumVgprs: 77
; ScratchSize: 0
; MemoryBound: 1
; FloatMode: 240
; IeeeMode: 1
; LDSByteSize: 0 bytes/workgroup (compile time only)
; SGPRBlocks: 6
; VGPRBlocks: 19
; NumSGPRsForWavesPerEU: 49
; NumVGPRsForWavesPerEU: 77
; Occupancy: 3
; WaveLimiterHint : 0
; COMPUTE_PGM_RSRC2:SCRATCH_EN: 0
; COMPUTE_PGM_RSRC2:USER_SGPR: 6
; COMPUTE_PGM_RSRC2:TRAP_HANDLER: 0
; COMPUTE_PGM_RSRC2:TGID_X_EN: 1
; COMPUTE_PGM_RSRC2:TGID_Y_EN: 0
; COMPUTE_PGM_RSRC2:TGID_Z_EN: 0
; COMPUTE_PGM_RSRC2:TIDIG_COMP_CNT: 0
	.section	.text._ZN2at6native12_GLOBAL__N_125multi_tensor_apply_kernelINS1_18TensorListMetadataILi3EEENS1_24PointwiseOpScalarFunctorIN3c107complexIfEELi3ELi3ELi0EEEJSt7dividesIS8_ES8_EEEvT_T0_DpT1_,"axG",@progbits,_ZN2at6native12_GLOBAL__N_125multi_tensor_apply_kernelINS1_18TensorListMetadataILi3EEENS1_24PointwiseOpScalarFunctorIN3c107complexIfEELi3ELi3ELi0EEEJSt7dividesIS8_ES8_EEEvT_T0_DpT1_,comdat
	.globl	_ZN2at6native12_GLOBAL__N_125multi_tensor_apply_kernelINS1_18TensorListMetadataILi3EEENS1_24PointwiseOpScalarFunctorIN3c107complexIfEELi3ELi3ELi0EEEJSt7dividesIS8_ES8_EEEvT_T0_DpT1_ ; -- Begin function _ZN2at6native12_GLOBAL__N_125multi_tensor_apply_kernelINS1_18TensorListMetadataILi3EEENS1_24PointwiseOpScalarFunctorIN3c107complexIfEELi3ELi3ELi0EEEJSt7dividesIS8_ES8_EEEvT_T0_DpT1_
	.p2align	8
	.type	_ZN2at6native12_GLOBAL__N_125multi_tensor_apply_kernelINS1_18TensorListMetadataILi3EEENS1_24PointwiseOpScalarFunctorIN3c107complexIfEELi3ELi3ELi0EEEJSt7dividesIS8_ES8_EEEvT_T0_DpT1_,@function
_ZN2at6native12_GLOBAL__N_125multi_tensor_apply_kernelINS1_18TensorListMetadataILi3EEENS1_24PointwiseOpScalarFunctorIN3c107complexIfEELi3ELi3ELi0EEEJSt7dividesIS8_ES8_EEEvT_T0_DpT1_: ; @_ZN2at6native12_GLOBAL__N_125multi_tensor_apply_kernelINS1_18TensorListMetadataILi3EEENS1_24PointwiseOpScalarFunctorIN3c107complexIfEELi3ELi3ELi0EEEJSt7dividesIS8_ES8_EEEvT_T0_DpT1_
; %bb.0:
	v_mov_b32_e32 v1, s6
	global_load_ubyte v1, v1, s[4:5] offset:1536
	s_add_u32 s0, s4, s6
	s_mul_hi_u32 s1, s6, 3
	s_mul_i32 s6, s6, 3
	s_addc_u32 s2, s5, 0
	s_add_u32 s0, s0, s6
	s_addc_u32 s1, s2, s1
	s_load_dword s8, s[0:1], 0x740
	s_load_dwordx2 s[16:17], s[4:5], 0xc50
	s_mov_b32 s11, 0
	s_mov_b32 s13, s11
	s_waitcnt lgkmcnt(0)
	s_ashr_i32 s9, s8, 31
	s_lshl_b64 s[20:21], s[8:9], 19
	s_waitcnt vmcnt(0)
	v_readfirstlane_b32 s0, v1
	s_lshl_b32 s10, s0, 3
	s_load_dwordx2 s[6:7], s[4:5], s10 offset:0x0
	s_load_dwordx2 s[2:3], s[4:5], s10 offset:0x180
	;; [unrolled: 1-line block ×4, first 2 shown]
	s_waitcnt lgkmcnt(0)
	s_add_u32 s33, s6, s20
	s_addc_u32 s36, s7, s21
	s_add_u32 s37, s2, s20
	s_addc_u32 s38, s3, s21
	;; [unrolled: 2-line block ×3, first 2 shown]
	s_or_b32 s12, s39, s37
	s_and_b32 s10, s33, 31
	s_and_b32 s12, s12, 31
	s_cmp_eq_u32 s12, 0
	s_cselect_b64 s[22:23], -1, 0
	s_lshl_b64 s[8:9], s[8:9], 16
	s_sub_u32 s18, s14, s8
	s_subb_u32 s19, s15, s9
	s_and_b32 s12, s14, 3
	s_or_b64 s[8:9], s[10:11], s[12:13]
	s_cmp_eq_u64 s[8:9], 0
	s_cselect_b64 s[8:9], -1, 0
	s_and_b64 s[10:11], s[22:23], s[8:9]
	s_mov_b64 s[8:9], -1
	s_and_b64 vcc, exec, s[10:11]
	s_cbranch_vccnz .LBB74_109
; %bb.1:
	v_cmp_lt_i64_e64 s[8:9], s[18:19], 1
	s_and_b64 vcc, exec, s[8:9]
	s_cbranch_vccnz .LBB74_108
; %bb.2:
	v_mov_b32_e32 v1, 0x10000
	s_load_dword s10, s[4:5], 0xc64
	v_mov_b32_e32 v2, 0
	v_cmp_lt_i64_e32 vcc, s[18:19], v[1:2]
	v_mov_b32_e32 v3, 0
	s_and_b64 s[8:9], vcc, exec
	s_cselect_b32 s23, s19, 0
	s_cselect_b32 s22, s18, 0x10000
	v_cmp_lt_u64_e32 vcc, s[18:19], v[1:2]
	s_waitcnt lgkmcnt(0)
	s_and_b32 s12, s10, 0xffff
	v_lshlrev_b32_e32 v2, 3, v0
	v_mad_u64_u32 v[3:4], s[10:11], s12, 24, v[2:3]
	s_and_b64 s[8:9], vcc, exec
	v_mov_b32_e32 v7, s7
	v_add_co_u32_e32 v25, vcc, s6, v3
	v_addc_co_u32_e32 v26, vcc, v7, v4, vcc
	v_mov_b32_e32 v7, s3
	v_add_co_u32_e32 v27, vcc, s2, v3
	s_cselect_b32 s25, s19, 0
	s_cselect_b32 s24, s18, 0x10000
	s_lshl_b32 s13, s12, 1
	s_and_b32 s8, s17, 0x7fffffff
	v_addc_co_u32_e32 v28, vcc, v7, v4, vcc
	s_cmp_lg_u32 s8, 0
	v_mov_b32_e32 v7, s1
	v_add_co_u32_e32 v29, vcc, s0, v3
	s_cselect_b64 s[8:9], -1, 0
	v_addc_co_u32_e32 v30, vcc, v7, v4, vcc
	s_lshl_b32 s10, s12, 4
	v_add_co_u32_e32 v3, vcc, s10, v2
	v_addc_co_u32_e64 v4, s[10:11], 0, 0, vcc
	v_mov_b32_e32 v7, s7
	v_add_co_u32_e32 v31, vcc, s6, v3
	v_addc_co_u32_e32 v32, vcc, v7, v4, vcc
	v_mov_b32_e32 v7, s3
	v_add_co_u32_e32 v33, vcc, s2, v3
	v_addc_co_u32_e32 v34, vcc, v7, v4, vcc
	;; [unrolled: 3-line block ×6, first 2 shown]
	v_add_co_u32_e32 v43, vcc, s12, v0
	v_cmp_neq_f32_e64 s[10:11], s16, 1.0
	v_lshlrev_b32_e32 v1, 3, v43
	s_or_b64 s[26:27], s[10:11], s[8:9]
	v_addc_co_u32_e64 v44, s[8:9], 0, 0, vcc
	v_mov_b32_e32 v2, s7
	v_add_co_u32_e32 v45, vcc, s6, v1
	v_addc_co_u32_e32 v46, vcc, 0, v2, vcc
	v_mov_b32_e32 v2, s3
	v_add_co_u32_e32 v47, vcc, s2, v1
	v_addc_co_u32_e32 v48, vcc, 0, v2, vcc
	v_mov_b32_e32 v2, s1
	v_add_co_u32_e32 v49, vcc, s0, v1
	s_mul_i32 s14, s12, 3
	v_addc_co_u32_e32 v50, vcc, 0, v2, vcc
	v_add_co_u32_e32 v51, vcc, s14, v0
	v_addc_co_u32_e64 v52, s[0:1], 0, 0, vcc
	v_add_co_u32_e32 v53, vcc, s13, v0
	s_lshl_b32 s41, s12, 2
	s_lshl_b32 s42, s12, 5
	s_mov_b64 s[28:29], 0
	v_addc_co_u32_e64 v54, s[0:1], 0, 0, vcc
	s_branch .LBB74_4
.LBB74_3:                               ;   in Loop: Header=BB74_4 Depth=1
	s_or_b64 exec, exec, s[0:1]
	v_add_co_u32_e32 v37, vcc, s42, v37
	v_addc_co_u32_e32 v38, vcc, 0, v38, vcc
	v_add_co_u32_e32 v39, vcc, s42, v39
	v_addc_co_u32_e32 v40, vcc, 0, v40, vcc
	v_add_co_u32_e32 v41, vcc, s42, v41
	v_addc_co_u32_e32 v42, vcc, 0, v42, vcc
	v_add_co_u32_e32 v25, vcc, s42, v25
	v_addc_co_u32_e32 v26, vcc, 0, v26, vcc
	v_add_co_u32_e32 v27, vcc, s42, v27
	v_addc_co_u32_e32 v28, vcc, 0, v28, vcc
	v_add_co_u32_e32 v29, vcc, s42, v29
	v_addc_co_u32_e32 v30, vcc, 0, v30, vcc
	v_add_co_u32_e32 v31, vcc, s42, v31
	v_addc_co_u32_e32 v32, vcc, 0, v32, vcc
	v_add_co_u32_e32 v33, vcc, s42, v33
	v_addc_co_u32_e32 v34, vcc, 0, v34, vcc
	v_add_co_u32_e32 v35, vcc, s42, v35
	v_addc_co_u32_e32 v36, vcc, 0, v36, vcc
	v_add_co_u32_e32 v45, vcc, s42, v45
	v_addc_co_u32_e32 v46, vcc, 0, v46, vcc
	s_add_u32 s28, s28, s41
	v_add_co_u32_e32 v47, vcc, s42, v47
	v_mov_b32_e32 v1, s22
	s_addc_u32 s29, s29, 0
	v_addc_co_u32_e32 v48, vcc, 0, v48, vcc
	v_mov_b32_e32 v2, s23
	v_cmp_ge_i64_e32 vcc, s[28:29], v[1:2]
	v_add_co_u32_e64 v49, s[0:1], s42, v49
	v_addc_co_u32_e64 v50, s[0:1], 0, v50, s[0:1]
	s_cbranch_vccnz .LBB74_108
.LBB74_4:                               ; =>This Inner Loop Header: Depth=1
	v_mov_b32_e32 v2, s29
	v_add_co_u32_e32 v1, vcc, s28, v0
	v_addc_co_u32_e32 v2, vcc, 0, v2, vcc
	v_cmp_gt_u64_e64 s[0:1], s[24:25], v[1:2]
	v_mov_b32_e32 v22, 0
	v_mov_b32_e32 v21, 0
	;; [unrolled: 1-line block ×4, first 2 shown]
	s_and_saveexec_b64 s[2:3], s[0:1]
	s_cbranch_execz .LBB74_6
; %bb.5:                                ;   in Loop: Header=BB74_4 Depth=1
	v_mov_b32_e32 v4, s21
	v_add_co_u32_e32 v1, vcc, s20, v37
	v_addc_co_u32_e32 v2, vcc, v38, v4, vcc
	v_add_co_u32_e32 v3, vcc, s20, v39
	v_addc_co_u32_e32 v4, vcc, v40, v4, vcc
	global_load_dwordx2 v[1:2], v[1:2], off
	s_nop 0
	global_load_dwordx2 v[21:22], v[3:4], off
.LBB74_6:                               ;   in Loop: Header=BB74_4 Depth=1
	s_or_b64 exec, exec, s[2:3]
	v_mov_b32_e32 v18, 0
	v_mov_b32_e32 v24, 0
	;; [unrolled: 1-line block ×3, first 2 shown]
	s_and_saveexec_b64 s[2:3], s[0:1]
	s_cbranch_execz .LBB74_8
; %bb.7:                                ;   in Loop: Header=BB74_4 Depth=1
	v_mov_b32_e32 v4, s21
	v_add_co_u32_e32 v3, vcc, s20, v41
	v_addc_co_u32_e32 v4, vcc, v42, v4, vcc
	global_load_dwordx2 v[23:24], v[3:4], off
.LBB74_8:                               ;   in Loop: Header=BB74_4 Depth=1
	s_or_b64 exec, exec, s[2:3]
	v_mov_b32_e32 v4, s29
	v_add_co_u32_e32 v3, vcc, s28, v43
	v_addc_co_u32_e32 v4, vcc, v44, v4, vcc
	v_cmp_gt_u64_e64 s[2:3], s[24:25], v[3:4]
	v_mov_b32_e32 v17, 0
	v_mov_b32_e32 v4, 0
	;; [unrolled: 1-line block ×3, first 2 shown]
	s_and_saveexec_b64 s[6:7], s[2:3]
	s_cbranch_execz .LBB74_10
; %bb.9:                                ;   in Loop: Header=BB74_4 Depth=1
	v_mov_b32_e32 v6, s21
	v_add_co_u32_e32 v3, vcc, s20, v45
	v_addc_co_u32_e32 v4, vcc, v46, v6, vcc
	v_add_co_u32_e32 v5, vcc, s20, v47
	v_addc_co_u32_e32 v6, vcc, v48, v6, vcc
	global_load_dwordx2 v[3:4], v[3:4], off
	s_nop 0
	global_load_dwordx2 v[17:18], v[5:6], off
.LBB74_10:                              ;   in Loop: Header=BB74_4 Depth=1
	s_or_b64 exec, exec, s[6:7]
	v_mov_b32_e32 v14, 0
	v_mov_b32_e32 v20, 0
	;; [unrolled: 1-line block ×3, first 2 shown]
	s_and_saveexec_b64 s[6:7], s[2:3]
	s_cbranch_execz .LBB74_12
; %bb.11:                               ;   in Loop: Header=BB74_4 Depth=1
	v_mov_b32_e32 v6, s21
	v_add_co_u32_e32 v5, vcc, s20, v49
	v_addc_co_u32_e32 v6, vcc, v50, v6, vcc
	global_load_dwordx2 v[19:20], v[5:6], off
.LBB74_12:                              ;   in Loop: Header=BB74_4 Depth=1
	s_or_b64 exec, exec, s[6:7]
	v_mov_b32_e32 v6, s29
	v_add_co_u32_e32 v5, vcc, s28, v53
	v_addc_co_u32_e32 v6, vcc, v54, v6, vcc
	v_cmp_gt_u64_e64 s[6:7], s[24:25], v[5:6]
	v_mov_b32_e32 v13, 0
	v_mov_b32_e32 v6, 0
	;; [unrolled: 1-line block ×3, first 2 shown]
	s_and_saveexec_b64 s[8:9], s[6:7]
	s_cbranch_execz .LBB74_14
; %bb.13:                               ;   in Loop: Header=BB74_4 Depth=1
	v_mov_b32_e32 v8, s21
	v_add_co_u32_e32 v5, vcc, s20, v31
	v_addc_co_u32_e32 v6, vcc, v32, v8, vcc
	v_add_co_u32_e32 v7, vcc, s20, v33
	v_addc_co_u32_e32 v8, vcc, v34, v8, vcc
	global_load_dwordx2 v[5:6], v[5:6], off
	s_nop 0
	global_load_dwordx2 v[13:14], v[7:8], off
.LBB74_14:                              ;   in Loop: Header=BB74_4 Depth=1
	s_or_b64 exec, exec, s[8:9]
	v_mov_b32_e32 v10, 0
	v_mov_b32_e32 v16, 0
	;; [unrolled: 1-line block ×3, first 2 shown]
	s_and_saveexec_b64 s[8:9], s[6:7]
	s_cbranch_execz .LBB74_16
; %bb.15:                               ;   in Loop: Header=BB74_4 Depth=1
	v_mov_b32_e32 v8, s21
	v_add_co_u32_e32 v7, vcc, s20, v35
	v_addc_co_u32_e32 v8, vcc, v36, v8, vcc
	global_load_dwordx2 v[15:16], v[7:8], off
.LBB74_16:                              ;   in Loop: Header=BB74_4 Depth=1
	s_or_b64 exec, exec, s[8:9]
	v_mov_b32_e32 v8, s29
	v_add_co_u32_e32 v7, vcc, s28, v51
	v_addc_co_u32_e32 v8, vcc, v52, v8, vcc
	v_cmp_gt_u64_e64 s[8:9], s[24:25], v[7:8]
	v_mov_b32_e32 v9, 0
	v_mov_b32_e32 v8, 0
	;; [unrolled: 1-line block ×3, first 2 shown]
	s_and_saveexec_b64 s[10:11], s[8:9]
	s_cbranch_execz .LBB74_18
; %bb.17:                               ;   in Loop: Header=BB74_4 Depth=1
	v_mov_b32_e32 v10, s21
	v_add_co_u32_e32 v7, vcc, s20, v25
	v_addc_co_u32_e32 v8, vcc, v26, v10, vcc
	v_add_co_u32_e32 v9, vcc, s20, v27
	v_addc_co_u32_e32 v10, vcc, v28, v10, vcc
	global_load_dwordx2 v[7:8], v[7:8], off
	s_nop 0
	global_load_dwordx2 v[9:10], v[9:10], off
.LBB74_18:                              ;   in Loop: Header=BB74_4 Depth=1
	s_or_b64 exec, exec, s[10:11]
	v_mov_b32_e32 v12, 0
	v_mov_b32_e32 v11, 0
	s_and_saveexec_b64 s[10:11], s[8:9]
	s_cbranch_execz .LBB74_20
; %bb.19:                               ;   in Loop: Header=BB74_4 Depth=1
	v_mov_b32_e32 v12, s21
	v_add_co_u32_e32 v11, vcc, s20, v29
	v_addc_co_u32_e32 v12, vcc, v30, v12, vcc
	global_load_dwordx2 v[11:12], v[11:12], off
.LBB74_20:                              ;   in Loop: Header=BB74_4 Depth=1
	s_or_b64 exec, exec, s[10:11]
	s_waitcnt vmcnt(0)
	v_cmp_gt_f32_e32 vcc, 0, v23
	v_cndmask_b32_e64 v58, v23, -v23, vcc
	v_cmp_gt_f32_e32 vcc, 0, v24
	v_cndmask_b32_e64 v57, v24, -v24, vcc
	v_cmp_ge_f32_e64 s[10:11], v58, v57
	s_mov_b64 s[12:13], -1
	s_and_b64 vcc, exec, s[26:27]
                                        ; implicit-def: $vgpr56
                                        ; implicit-def: $vgpr55
	s_cbranch_vccz .LBB74_30
; %bb.21:                               ;   in Loop: Header=BB74_4 Depth=1
                                        ; implicit-def: $vgpr56
                                        ; implicit-def: $vgpr59
	s_and_saveexec_b64 s[12:13], s[10:11]
	s_xor_b64 s[14:15], exec, s[12:13]
	s_cbranch_execz .LBB74_27
; %bb.22:                               ;   in Loop: Header=BB74_4 Depth=1
	v_cmp_neq_f32_e32 vcc, 0, v23
	v_cmp_neq_f32_e64 s[12:13], 0, v24
	s_or_b64 s[12:13], s[12:13], vcc
                                        ; implicit-def: $vgpr56
                                        ; implicit-def: $vgpr59
	s_and_saveexec_b64 s[30:31], s[12:13]
	s_xor_b64 s[12:13], exec, s[30:31]
	s_cbranch_execz .LBB74_24
; %bb.23:                               ;   in Loop: Header=BB74_4 Depth=1
	v_div_scale_f32 v55, s[30:31], v23, v23, v24
	v_div_scale_f32 v56, vcc, v24, v23, v24
	v_rcp_f32_e32 v59, v55
	v_fma_f32 v60, -v55, v59, 1.0
	v_fmac_f32_e32 v59, v60, v59
	v_mul_f32_e32 v60, v56, v59
	v_fma_f32 v61, -v55, v60, v56
	v_fmac_f32_e32 v60, v61, v59
	v_fma_f32 v55, -v55, v60, v56
	v_div_fmas_f32 v55, v55, v59, v60
	v_div_fixup_f32 v55, v55, v23, v24
	v_fma_f32 v56, v24, v55, v23
	v_div_scale_f32 v59, s[30:31], v56, v56, 1.0
	v_div_scale_f32 v60, vcc, 1.0, v56, 1.0
	v_rcp_f32_e32 v61, v59
	v_fma_f32 v62, -v59, v61, 1.0
	v_fmac_f32_e32 v61, v62, v61
	v_mul_f32_e32 v62, v60, v61
	v_fma_f32 v63, -v59, v62, v60
	v_fmac_f32_e32 v62, v63, v61
	v_fma_f32 v59, -v59, v62, v60
	v_div_fmas_f32 v59, v59, v61, v62
	v_fma_f32 v60, v22, v55, v21
	v_fma_f32 v55, -v21, v55, v22
	v_div_fixup_f32 v56, v59, v56, 1.0
	v_mul_f32_e32 v59, v60, v56
	v_mul_f32_e32 v56, v55, v56
.LBB74_24:                              ;   in Loop: Header=BB74_4 Depth=1
	s_andn2_saveexec_b64 s[12:13], s[12:13]
	s_cbranch_execz .LBB74_26
; %bb.25:                               ;   in Loop: Header=BB74_4 Depth=1
	v_div_scale_f32 v55, s[30:31], v58, v58, v21
	v_rcp_f32_e32 v56, v55
	v_fma_f32 v59, -v55, v56, 1.0
	v_fmac_f32_e32 v56, v59, v56
	v_div_scale_f32 v59, vcc, v21, v58, v21
	v_mul_f32_e32 v60, v59, v56
	v_fma_f32 v61, -v55, v60, v59
	v_fmac_f32_e32 v60, v61, v56
	v_fma_f32 v55, -v55, v60, v59
	v_div_fmas_f32 v55, v55, v56, v60
	v_div_fixup_f32 v59, v55, v58, v21
	v_div_scale_f32 v55, s[30:31], v57, v57, v22
	v_rcp_f32_e32 v56, v55
	v_fma_f32 v60, -v55, v56, 1.0
	v_fmac_f32_e32 v56, v60, v56
	v_div_scale_f32 v60, vcc, v22, v57, v22
	v_mul_f32_e32 v61, v60, v56
	v_fma_f32 v62, -v55, v61, v60
	v_fmac_f32_e32 v61, v62, v56
	v_fma_f32 v55, -v55, v61, v60
	v_div_fmas_f32 v55, v55, v56, v61
	v_div_fixup_f32 v56, v55, v57, v22
.LBB74_26:                              ;   in Loop: Header=BB74_4 Depth=1
	s_or_b64 exec, exec, s[12:13]
.LBB74_27:                              ;   in Loop: Header=BB74_4 Depth=1
	s_andn2_saveexec_b64 s[12:13], s[14:15]
	s_cbranch_execz .LBB74_29
; %bb.28:                               ;   in Loop: Header=BB74_4 Depth=1
	v_div_scale_f32 v55, s[14:15], v24, v24, v23
	v_div_scale_f32 v56, vcc, v23, v24, v23
	v_rcp_f32_e32 v59, v55
	v_fma_f32 v60, -v55, v59, 1.0
	v_fmac_f32_e32 v59, v60, v59
	v_mul_f32_e32 v60, v56, v59
	v_fma_f32 v61, -v55, v60, v56
	v_fmac_f32_e32 v60, v61, v59
	v_fma_f32 v55, -v55, v60, v56
	v_div_fmas_f32 v55, v55, v59, v60
	v_div_fixup_f32 v55, v55, v24, v23
	v_fma_f32 v56, v23, v55, v24
	v_div_scale_f32 v59, s[14:15], v56, v56, 1.0
	v_div_scale_f32 v60, vcc, 1.0, v56, 1.0
	v_rcp_f32_e32 v61, v59
	v_fma_f32 v62, -v59, v61, 1.0
	v_fmac_f32_e32 v61, v62, v61
	v_mul_f32_e32 v62, v60, v61
	v_fma_f32 v63, -v59, v62, v60
	v_fmac_f32_e32 v62, v63, v61
	v_fma_f32 v59, -v59, v62, v60
	v_div_fmas_f32 v59, v59, v61, v62
	v_fma_f32 v60, v21, v55, v22
	v_fma_f32 v55, v22, v55, -v21
	v_div_fixup_f32 v56, v59, v56, 1.0
	v_mul_f32_e32 v59, v60, v56
	v_mul_f32_e32 v56, v55, v56
.LBB74_29:                              ;   in Loop: Header=BB74_4 Depth=1
	s_or_b64 exec, exec, s[12:13]
	v_mul_f32_e32 v55, s17, v56
	v_mul_f32_e32 v56, s16, v56
	v_fma_f32 v55, v59, s16, -v55
	v_fmac_f32_e32 v56, s17, v59
	s_mov_b64 s[12:13], 0
.LBB74_30:                              ;   in Loop: Header=BB74_4 Depth=1
	s_and_b64 vcc, exec, s[12:13]
	s_cbranch_vccz .LBB74_40
; %bb.31:                               ;   in Loop: Header=BB74_4 Depth=1
                                        ; implicit-def: $vgpr56
                                        ; implicit-def: $vgpr55
	s_and_saveexec_b64 s[12:13], s[10:11]
	s_xor_b64 s[12:13], exec, s[12:13]
	s_cbranch_execz .LBB74_37
; %bb.32:                               ;   in Loop: Header=BB74_4 Depth=1
	v_cmp_neq_f32_e32 vcc, 0, v23
	v_cmp_neq_f32_e64 s[10:11], 0, v24
	s_or_b64 s[10:11], s[10:11], vcc
                                        ; implicit-def: $vgpr56
                                        ; implicit-def: $vgpr55
	s_and_saveexec_b64 s[14:15], s[10:11]
	s_xor_b64 s[10:11], exec, s[14:15]
	s_cbranch_execz .LBB74_34
; %bb.33:                               ;   in Loop: Header=BB74_4 Depth=1
	v_div_scale_f32 v55, s[14:15], v23, v23, v24
	v_div_scale_f32 v56, vcc, v24, v23, v24
	v_rcp_f32_e32 v57, v55
	v_fma_f32 v58, -v55, v57, 1.0
	v_fmac_f32_e32 v57, v58, v57
	v_mul_f32_e32 v58, v56, v57
	v_fma_f32 v59, -v55, v58, v56
	v_fmac_f32_e32 v58, v59, v57
	v_fma_f32 v55, -v55, v58, v56
	v_div_fmas_f32 v55, v55, v57, v58
	v_div_fixup_f32 v55, v55, v23, v24
	v_fmac_f32_e32 v23, v24, v55
	v_div_scale_f32 v24, s[14:15], v23, v23, 1.0
	v_div_scale_f32 v56, vcc, 1.0, v23, 1.0
	v_rcp_f32_e32 v57, v24
	v_fma_f32 v58, -v24, v57, 1.0
	v_fmac_f32_e32 v57, v58, v57
	v_mul_f32_e32 v58, v56, v57
	v_fma_f32 v59, -v24, v58, v56
	v_fmac_f32_e32 v58, v59, v57
	v_fma_f32 v24, -v24, v58, v56
	v_div_fmas_f32 v24, v24, v57, v58
	v_fma_f32 v56, v22, v55, v21
	v_fma_f32 v21, -v21, v55, v22
                                        ; implicit-def: $vgpr58
                                        ; implicit-def: $vgpr57
	v_div_fixup_f32 v22, v24, v23, 1.0
	v_mul_f32_e32 v55, v56, v22
	v_mul_f32_e32 v56, v21, v22
                                        ; implicit-def: $vgpr21
.LBB74_34:                              ;   in Loop: Header=BB74_4 Depth=1
	s_andn2_saveexec_b64 s[10:11], s[10:11]
	s_cbranch_execz .LBB74_36
; %bb.35:                               ;   in Loop: Header=BB74_4 Depth=1
	v_div_scale_f32 v23, s[14:15], v58, v58, v21
	v_rcp_f32_e32 v24, v23
	v_fma_f32 v55, -v23, v24, 1.0
	v_fmac_f32_e32 v24, v55, v24
	v_div_scale_f32 v55, vcc, v21, v58, v21
	v_mul_f32_e32 v56, v55, v24
	v_fma_f32 v59, -v23, v56, v55
	v_fmac_f32_e32 v56, v59, v24
	v_fma_f32 v23, -v23, v56, v55
	v_div_fmas_f32 v23, v23, v24, v56
	v_div_fixup_f32 v55, v23, v58, v21
	v_div_scale_f32 v21, s[14:15], v57, v57, v22
	v_rcp_f32_e32 v23, v21
	v_fma_f32 v24, -v21, v23, 1.0
	v_fmac_f32_e32 v23, v24, v23
	v_div_scale_f32 v24, vcc, v22, v57, v22
	v_mul_f32_e32 v56, v24, v23
	v_fma_f32 v58, -v21, v56, v24
	v_fmac_f32_e32 v56, v58, v23
	v_fma_f32 v21, -v21, v56, v24
	v_div_fmas_f32 v21, v21, v23, v56
	v_div_fixup_f32 v56, v21, v57, v22
.LBB74_36:                              ;   in Loop: Header=BB74_4 Depth=1
	s_or_b64 exec, exec, s[10:11]
                                        ; implicit-def: $vgpr24
                                        ; implicit-def: $vgpr21
.LBB74_37:                              ;   in Loop: Header=BB74_4 Depth=1
	s_andn2_saveexec_b64 s[10:11], s[12:13]
	s_cbranch_execz .LBB74_39
; %bb.38:                               ;   in Loop: Header=BB74_4 Depth=1
	v_div_scale_f32 v55, s[12:13], v24, v24, v23
	v_div_scale_f32 v56, vcc, v23, v24, v23
	v_rcp_f32_e32 v57, v55
	v_fma_f32 v58, -v55, v57, 1.0
	v_fmac_f32_e32 v57, v58, v57
	v_mul_f32_e32 v58, v56, v57
	v_fma_f32 v59, -v55, v58, v56
	v_fmac_f32_e32 v58, v59, v57
	v_fma_f32 v55, -v55, v58, v56
	v_div_fmas_f32 v55, v55, v57, v58
	v_div_fixup_f32 v55, v55, v24, v23
	v_fmac_f32_e32 v24, v23, v55
	v_div_scale_f32 v23, s[12:13], v24, v24, 1.0
	v_div_scale_f32 v56, vcc, 1.0, v24, 1.0
	v_rcp_f32_e32 v57, v23
	v_fma_f32 v58, -v23, v57, 1.0
	v_fmac_f32_e32 v57, v58, v57
	v_mul_f32_e32 v58, v56, v57
	v_fma_f32 v59, -v23, v58, v56
	v_fmac_f32_e32 v58, v59, v57
	v_fma_f32 v23, -v23, v58, v56
	v_div_fmas_f32 v23, v23, v57, v58
	v_fma_f32 v56, v21, v55, v22
	v_fma_f32 v21, v22, v55, -v21
	v_div_fixup_f32 v22, v23, v24, 1.0
	v_mul_f32_e32 v55, v56, v22
	v_mul_f32_e32 v56, v21, v22
.LBB74_39:                              ;   in Loop: Header=BB74_4 Depth=1
	s_or_b64 exec, exec, s[10:11]
.LBB74_40:                              ;   in Loop: Header=BB74_4 Depth=1
	v_cmp_gt_f32_e32 vcc, 0, v19
	v_cndmask_b32_e64 v23, v19, -v19, vcc
	v_cmp_gt_f32_e32 vcc, 0, v20
	v_cndmask_b32_e64 v24, v20, -v20, vcc
	v_cndmask_b32_e64 v21, 0, 1, s[26:27]
	v_cmp_ge_f32_e64 s[12:13], v23, v24
	v_cmp_ne_u32_e64 s[10:11], 1, v21
	s_andn2_b64 vcc, exec, s[26:27]
	s_mov_b64 s[14:15], -1
                                        ; implicit-def: $vgpr21
                                        ; implicit-def: $vgpr22
	s_cbranch_vccnz .LBB74_50
; %bb.41:                               ;   in Loop: Header=BB74_4 Depth=1
                                        ; implicit-def: $vgpr21
                                        ; implicit-def: $vgpr57
	s_and_saveexec_b64 s[14:15], s[12:13]
	s_xor_b64 s[30:31], exec, s[14:15]
	s_cbranch_execz .LBB74_47
; %bb.42:                               ;   in Loop: Header=BB74_4 Depth=1
	v_cmp_neq_f32_e32 vcc, 0, v19
	v_cmp_neq_f32_e64 s[14:15], 0, v20
	s_or_b64 s[14:15], s[14:15], vcc
                                        ; implicit-def: $vgpr21
                                        ; implicit-def: $vgpr57
	s_and_saveexec_b64 s[34:35], s[14:15]
	s_xor_b64 s[14:15], exec, s[34:35]
	s_cbranch_execz .LBB74_44
; %bb.43:                               ;   in Loop: Header=BB74_4 Depth=1
	v_div_scale_f32 v21, s[34:35], v19, v19, v20
	v_div_scale_f32 v22, vcc, v20, v19, v20
	v_rcp_f32_e32 v57, v21
	v_fma_f32 v58, -v21, v57, 1.0
	v_fmac_f32_e32 v57, v58, v57
	v_mul_f32_e32 v58, v22, v57
	v_fma_f32 v59, -v21, v58, v22
	v_fmac_f32_e32 v58, v59, v57
	v_fma_f32 v21, -v21, v58, v22
	v_div_fmas_f32 v21, v21, v57, v58
	v_div_fixup_f32 v21, v21, v19, v20
	v_fma_f32 v22, v20, v21, v19
	v_div_scale_f32 v57, s[34:35], v22, v22, 1.0
	v_div_scale_f32 v58, vcc, 1.0, v22, 1.0
	v_rcp_f32_e32 v59, v57
	v_fma_f32 v60, -v57, v59, 1.0
	v_fmac_f32_e32 v59, v60, v59
	v_mul_f32_e32 v60, v58, v59
	v_fma_f32 v61, -v57, v60, v58
	v_fmac_f32_e32 v60, v61, v59
	v_fma_f32 v57, -v57, v60, v58
	v_div_fmas_f32 v57, v57, v59, v60
	v_fma_f32 v58, v18, v21, v17
	v_fma_f32 v21, -v17, v21, v18
	v_div_fixup_f32 v22, v57, v22, 1.0
	v_mul_f32_e32 v57, v58, v22
	v_mul_f32_e32 v21, v21, v22
.LBB74_44:                              ;   in Loop: Header=BB74_4 Depth=1
	s_andn2_saveexec_b64 s[14:15], s[14:15]
	s_cbranch_execz .LBB74_46
; %bb.45:                               ;   in Loop: Header=BB74_4 Depth=1
	v_div_scale_f32 v21, s[34:35], v23, v23, v17
	v_rcp_f32_e32 v22, v21
	v_fma_f32 v57, -v21, v22, 1.0
	v_fmac_f32_e32 v22, v57, v22
	v_div_scale_f32 v57, vcc, v17, v23, v17
	v_mul_f32_e32 v58, v57, v22
	v_fma_f32 v59, -v21, v58, v57
	v_fmac_f32_e32 v58, v59, v22
	v_fma_f32 v21, -v21, v58, v57
	v_div_fmas_f32 v21, v21, v22, v58
	v_div_fixup_f32 v57, v21, v23, v17
	v_div_scale_f32 v21, s[34:35], v24, v24, v18
	v_rcp_f32_e32 v22, v21
	v_fma_f32 v58, -v21, v22, 1.0
	v_fmac_f32_e32 v22, v58, v22
	v_div_scale_f32 v58, vcc, v18, v24, v18
	v_mul_f32_e32 v59, v58, v22
	v_fma_f32 v60, -v21, v59, v58
	v_fmac_f32_e32 v59, v60, v22
	v_fma_f32 v21, -v21, v59, v58
	v_div_fmas_f32 v21, v21, v22, v59
	v_div_fixup_f32 v21, v21, v24, v18
.LBB74_46:                              ;   in Loop: Header=BB74_4 Depth=1
	s_or_b64 exec, exec, s[14:15]
.LBB74_47:                              ;   in Loop: Header=BB74_4 Depth=1
	s_andn2_saveexec_b64 s[14:15], s[30:31]
	s_cbranch_execz .LBB74_49
; %bb.48:                               ;   in Loop: Header=BB74_4 Depth=1
	v_div_scale_f32 v21, s[30:31], v20, v20, v19
	v_div_scale_f32 v22, vcc, v19, v20, v19
	v_rcp_f32_e32 v57, v21
	v_fma_f32 v58, -v21, v57, 1.0
	v_fmac_f32_e32 v57, v58, v57
	v_mul_f32_e32 v58, v22, v57
	v_fma_f32 v59, -v21, v58, v22
	v_fmac_f32_e32 v58, v59, v57
	v_fma_f32 v21, -v21, v58, v22
	v_div_fmas_f32 v21, v21, v57, v58
	v_div_fixup_f32 v21, v21, v20, v19
	v_fma_f32 v22, v19, v21, v20
	v_div_scale_f32 v57, s[30:31], v22, v22, 1.0
	v_div_scale_f32 v58, vcc, 1.0, v22, 1.0
	v_rcp_f32_e32 v59, v57
	v_fma_f32 v60, -v57, v59, 1.0
	v_fmac_f32_e32 v59, v60, v59
	v_mul_f32_e32 v60, v58, v59
	v_fma_f32 v61, -v57, v60, v58
	v_fmac_f32_e32 v60, v61, v59
	v_fma_f32 v57, -v57, v60, v58
	v_div_fmas_f32 v57, v57, v59, v60
	v_fma_f32 v58, v17, v21, v18
	v_fma_f32 v21, v18, v21, -v17
	v_div_fixup_f32 v22, v57, v22, 1.0
	v_mul_f32_e32 v57, v58, v22
	v_mul_f32_e32 v21, v21, v22
.LBB74_49:                              ;   in Loop: Header=BB74_4 Depth=1
	s_or_b64 exec, exec, s[14:15]
	v_mul_f32_e32 v22, s17, v21
	v_mul_f32_e32 v21, s16, v21
	v_fma_f32 v22, v57, s16, -v22
	v_fmac_f32_e32 v21, s17, v57
	s_mov_b64 s[14:15], 0
.LBB74_50:                              ;   in Loop: Header=BB74_4 Depth=1
	s_and_b64 vcc, exec, s[14:15]
	s_cbranch_vccz .LBB74_60
; %bb.51:                               ;   in Loop: Header=BB74_4 Depth=1
                                        ; implicit-def: $vgpr21
                                        ; implicit-def: $vgpr22
	s_and_saveexec_b64 s[14:15], s[12:13]
	s_xor_b64 s[14:15], exec, s[14:15]
	s_cbranch_execz .LBB74_57
; %bb.52:                               ;   in Loop: Header=BB74_4 Depth=1
	v_cmp_neq_f32_e32 vcc, 0, v19
	v_cmp_neq_f32_e64 s[12:13], 0, v20
	s_or_b64 s[12:13], s[12:13], vcc
                                        ; implicit-def: $vgpr21
                                        ; implicit-def: $vgpr22
	s_and_saveexec_b64 s[30:31], s[12:13]
	s_xor_b64 s[12:13], exec, s[30:31]
	s_cbranch_execz .LBB74_54
; %bb.53:                               ;   in Loop: Header=BB74_4 Depth=1
	v_div_scale_f32 v21, s[30:31], v19, v19, v20
	v_div_scale_f32 v22, vcc, v20, v19, v20
	v_rcp_f32_e32 v23, v21
	v_fma_f32 v24, -v21, v23, 1.0
	v_fmac_f32_e32 v23, v24, v23
	v_mul_f32_e32 v24, v22, v23
	v_fma_f32 v57, -v21, v24, v22
	v_fmac_f32_e32 v24, v57, v23
	v_fma_f32 v21, -v21, v24, v22
	v_div_fmas_f32 v21, v21, v23, v24
	v_div_fixup_f32 v21, v21, v19, v20
	v_fmac_f32_e32 v19, v20, v21
	v_div_scale_f32 v20, s[30:31], v19, v19, 1.0
	v_div_scale_f32 v22, vcc, 1.0, v19, 1.0
	v_rcp_f32_e32 v23, v20
	v_fma_f32 v24, -v20, v23, 1.0
	v_fmac_f32_e32 v23, v24, v23
	v_mul_f32_e32 v24, v22, v23
	v_fma_f32 v57, -v20, v24, v22
	v_fmac_f32_e32 v24, v57, v23
	v_fma_f32 v20, -v20, v24, v22
	v_div_fmas_f32 v20, v20, v23, v24
	v_fma_f32 v22, v18, v21, v17
	v_fma_f32 v17, -v17, v21, v18
                                        ; implicit-def: $vgpr23
                                        ; implicit-def: $vgpr24
	v_div_fixup_f32 v18, v20, v19, 1.0
	v_mul_f32_e32 v22, v22, v18
	v_mul_f32_e32 v21, v17, v18
                                        ; implicit-def: $vgpr17
.LBB74_54:                              ;   in Loop: Header=BB74_4 Depth=1
	s_andn2_saveexec_b64 s[30:31], s[12:13]
	s_cbranch_execz .LBB74_56
; %bb.55:                               ;   in Loop: Header=BB74_4 Depth=1
	v_div_scale_f32 v19, s[12:13], v23, v23, v17
	v_div_scale_f32 v20, s[12:13], v24, v24, v18
	v_div_scale_f32 v21, vcc, v17, v23, v17
	v_div_scale_f32 v22, s[12:13], v18, v24, v18
	v_rcp_f32_e32 v57, v19
	v_rcp_f32_e32 v58, v20
	v_fma_f32 v59, -v19, v57, 1.0
	v_fmac_f32_e32 v57, v59, v57
	v_fma_f32 v60, -v20, v58, 1.0
	v_fmac_f32_e32 v58, v60, v58
	v_mul_f32_e32 v59, v21, v57
	v_mul_f32_e32 v60, v22, v58
	v_fma_f32 v61, -v19, v59, v21
	v_fma_f32 v62, -v20, v60, v22
	v_fmac_f32_e32 v59, v61, v57
	v_fmac_f32_e32 v60, v62, v58
	v_fma_f32 v19, -v19, v59, v21
	v_fma_f32 v20, -v20, v60, v22
	v_div_fmas_f32 v19, v19, v57, v59
	s_mov_b64 vcc, s[12:13]
	v_div_fmas_f32 v20, v20, v58, v60
	v_div_fixup_f32 v22, v19, v23, v17
	v_div_fixup_f32 v21, v20, v24, v18
.LBB74_56:                              ;   in Loop: Header=BB74_4 Depth=1
	s_or_b64 exec, exec, s[30:31]
                                        ; implicit-def: $vgpr20
                                        ; implicit-def: $vgpr17
.LBB74_57:                              ;   in Loop: Header=BB74_4 Depth=1
	s_andn2_saveexec_b64 s[12:13], s[14:15]
	s_cbranch_execz .LBB74_59
; %bb.58:                               ;   in Loop: Header=BB74_4 Depth=1
	v_div_scale_f32 v21, s[14:15], v20, v20, v19
	v_div_scale_f32 v22, vcc, v19, v20, v19
	v_rcp_f32_e32 v23, v21
	v_fma_f32 v24, -v21, v23, 1.0
	v_fmac_f32_e32 v23, v24, v23
	v_mul_f32_e32 v24, v22, v23
	v_fma_f32 v57, -v21, v24, v22
	v_fmac_f32_e32 v24, v57, v23
	v_fma_f32 v21, -v21, v24, v22
	v_div_fmas_f32 v21, v21, v23, v24
	v_div_fixup_f32 v21, v21, v20, v19
	v_fmac_f32_e32 v20, v19, v21
	v_div_scale_f32 v19, s[14:15], v20, v20, 1.0
	v_div_scale_f32 v22, vcc, 1.0, v20, 1.0
	v_rcp_f32_e32 v23, v19
	v_fma_f32 v24, -v19, v23, 1.0
	v_fmac_f32_e32 v23, v24, v23
	v_mul_f32_e32 v24, v22, v23
	v_fma_f32 v57, -v19, v24, v22
	v_fmac_f32_e32 v24, v57, v23
	v_fma_f32 v19, -v19, v24, v22
	v_div_fmas_f32 v19, v19, v23, v24
	v_fma_f32 v22, v17, v21, v18
	v_fma_f32 v17, v18, v21, -v17
	v_div_fixup_f32 v18, v19, v20, 1.0
	v_mul_f32_e32 v22, v22, v18
	v_mul_f32_e32 v21, v17, v18
.LBB74_59:                              ;   in Loop: Header=BB74_4 Depth=1
	s_or_b64 exec, exec, s[12:13]
.LBB74_60:                              ;   in Loop: Header=BB74_4 Depth=1
	v_cmp_gt_f32_e32 vcc, 0, v15
	v_cndmask_b32_e64 v19, v15, -v15, vcc
	v_cmp_gt_f32_e32 vcc, 0, v16
	v_cndmask_b32_e64 v20, v16, -v16, vcc
	v_cmp_ge_f32_e64 s[12:13], v19, v20
	s_and_b64 vcc, exec, s[10:11]
	s_mov_b64 s[14:15], -1
                                        ; implicit-def: $vgpr17
                                        ; implicit-def: $vgpr18
	s_cbranch_vccnz .LBB74_70
; %bb.61:                               ;   in Loop: Header=BB74_4 Depth=1
                                        ; implicit-def: $vgpr17
                                        ; implicit-def: $vgpr23
	s_and_saveexec_b64 s[14:15], s[12:13]
	s_xor_b64 s[30:31], exec, s[14:15]
	s_cbranch_execz .LBB74_67
; %bb.62:                               ;   in Loop: Header=BB74_4 Depth=1
	v_cmp_neq_f32_e32 vcc, 0, v15
	v_cmp_neq_f32_e64 s[14:15], 0, v16
	s_or_b64 s[14:15], s[14:15], vcc
                                        ; implicit-def: $vgpr17
                                        ; implicit-def: $vgpr23
	s_and_saveexec_b64 s[34:35], s[14:15]
	s_xor_b64 s[14:15], exec, s[34:35]
	s_cbranch_execz .LBB74_64
; %bb.63:                               ;   in Loop: Header=BB74_4 Depth=1
	v_div_scale_f32 v17, s[34:35], v15, v15, v16
	v_div_scale_f32 v18, vcc, v16, v15, v16
	v_rcp_f32_e32 v23, v17
	v_fma_f32 v24, -v17, v23, 1.0
	v_fmac_f32_e32 v23, v24, v23
	v_mul_f32_e32 v24, v18, v23
	v_fma_f32 v57, -v17, v24, v18
	v_fmac_f32_e32 v24, v57, v23
	v_fma_f32 v17, -v17, v24, v18
	v_div_fmas_f32 v17, v17, v23, v24
	v_div_fixup_f32 v17, v17, v15, v16
	v_fma_f32 v18, v16, v17, v15
	v_div_scale_f32 v23, s[34:35], v18, v18, 1.0
	v_div_scale_f32 v24, vcc, 1.0, v18, 1.0
	v_rcp_f32_e32 v57, v23
	v_fma_f32 v58, -v23, v57, 1.0
	v_fmac_f32_e32 v57, v58, v57
	v_mul_f32_e32 v58, v24, v57
	v_fma_f32 v59, -v23, v58, v24
	v_fmac_f32_e32 v58, v59, v57
	v_fma_f32 v23, -v23, v58, v24
	v_div_fmas_f32 v23, v23, v57, v58
	v_fma_f32 v24, v14, v17, v13
	v_fma_f32 v17, -v13, v17, v14
	v_div_fixup_f32 v18, v23, v18, 1.0
	v_mul_f32_e32 v23, v24, v18
	v_mul_f32_e32 v17, v17, v18
.LBB74_64:                              ;   in Loop: Header=BB74_4 Depth=1
	s_andn2_saveexec_b64 s[34:35], s[14:15]
	s_cbranch_execz .LBB74_66
; %bb.65:                               ;   in Loop: Header=BB74_4 Depth=1
	v_div_scale_f32 v17, s[14:15], v19, v19, v13
	v_div_scale_f32 v18, s[14:15], v20, v20, v14
	v_div_scale_f32 v23, vcc, v13, v19, v13
	v_div_scale_f32 v24, s[14:15], v14, v20, v14
	v_rcp_f32_e32 v57, v17
	v_rcp_f32_e32 v58, v18
	v_fma_f32 v59, -v17, v57, 1.0
	v_fmac_f32_e32 v57, v59, v57
	v_fma_f32 v60, -v18, v58, 1.0
	v_fmac_f32_e32 v58, v60, v58
	v_mul_f32_e32 v59, v23, v57
	v_mul_f32_e32 v60, v24, v58
	v_fma_f32 v61, -v17, v59, v23
	v_fma_f32 v62, -v18, v60, v24
	v_fmac_f32_e32 v59, v61, v57
	v_fmac_f32_e32 v60, v62, v58
	v_fma_f32 v17, -v17, v59, v23
	v_fma_f32 v18, -v18, v60, v24
	v_div_fmas_f32 v17, v17, v57, v59
	s_mov_b64 vcc, s[14:15]
	v_div_fmas_f32 v18, v18, v58, v60
	v_div_fixup_f32 v23, v17, v19, v13
	v_div_fixup_f32 v17, v18, v20, v14
.LBB74_66:                              ;   in Loop: Header=BB74_4 Depth=1
	s_or_b64 exec, exec, s[34:35]
.LBB74_67:                              ;   in Loop: Header=BB74_4 Depth=1
	s_andn2_saveexec_b64 s[14:15], s[30:31]
	s_cbranch_execz .LBB74_69
; %bb.68:                               ;   in Loop: Header=BB74_4 Depth=1
	v_div_scale_f32 v17, s[30:31], v16, v16, v15
	v_div_scale_f32 v18, vcc, v15, v16, v15
	v_rcp_f32_e32 v23, v17
	v_fma_f32 v24, -v17, v23, 1.0
	v_fmac_f32_e32 v23, v24, v23
	v_mul_f32_e32 v24, v18, v23
	v_fma_f32 v57, -v17, v24, v18
	v_fmac_f32_e32 v24, v57, v23
	v_fma_f32 v17, -v17, v24, v18
	v_div_fmas_f32 v17, v17, v23, v24
	v_div_fixup_f32 v17, v17, v16, v15
	v_fma_f32 v18, v15, v17, v16
	v_div_scale_f32 v23, s[30:31], v18, v18, 1.0
	v_div_scale_f32 v24, vcc, 1.0, v18, 1.0
	v_rcp_f32_e32 v57, v23
	v_fma_f32 v58, -v23, v57, 1.0
	v_fmac_f32_e32 v57, v58, v57
	v_mul_f32_e32 v58, v24, v57
	v_fma_f32 v59, -v23, v58, v24
	v_fmac_f32_e32 v58, v59, v57
	v_fma_f32 v23, -v23, v58, v24
	v_div_fmas_f32 v23, v23, v57, v58
	v_fma_f32 v24, v13, v17, v14
	v_fma_f32 v17, v14, v17, -v13
	v_div_fixup_f32 v18, v23, v18, 1.0
	v_mul_f32_e32 v23, v24, v18
	v_mul_f32_e32 v17, v17, v18
.LBB74_69:                              ;   in Loop: Header=BB74_4 Depth=1
	s_or_b64 exec, exec, s[14:15]
	v_mul_f32_e32 v18, s17, v17
	v_mul_f32_e32 v17, s16, v17
	v_fma_f32 v18, v23, s16, -v18
	v_fmac_f32_e32 v17, s17, v23
	s_mov_b64 s[14:15], 0
.LBB74_70:                              ;   in Loop: Header=BB74_4 Depth=1
	s_and_b64 vcc, exec, s[14:15]
	s_cbranch_vccz .LBB74_80
; %bb.71:                               ;   in Loop: Header=BB74_4 Depth=1
                                        ; implicit-def: $vgpr17
                                        ; implicit-def: $vgpr18
	s_and_saveexec_b64 s[14:15], s[12:13]
	s_xor_b64 s[14:15], exec, s[14:15]
	s_cbranch_execz .LBB74_77
; %bb.72:                               ;   in Loop: Header=BB74_4 Depth=1
	v_cmp_neq_f32_e32 vcc, 0, v15
	v_cmp_neq_f32_e64 s[12:13], 0, v16
	s_or_b64 s[12:13], s[12:13], vcc
                                        ; implicit-def: $vgpr17
                                        ; implicit-def: $vgpr18
	s_and_saveexec_b64 s[30:31], s[12:13]
	s_xor_b64 s[12:13], exec, s[30:31]
	s_cbranch_execz .LBB74_74
; %bb.73:                               ;   in Loop: Header=BB74_4 Depth=1
	v_div_scale_f32 v17, s[30:31], v15, v15, v16
	v_div_scale_f32 v18, vcc, v16, v15, v16
	v_rcp_f32_e32 v19, v17
	v_fma_f32 v20, -v17, v19, 1.0
	v_fmac_f32_e32 v19, v20, v19
	v_mul_f32_e32 v20, v18, v19
	v_fma_f32 v23, -v17, v20, v18
	v_fmac_f32_e32 v20, v23, v19
	v_fma_f32 v17, -v17, v20, v18
	v_div_fmas_f32 v17, v17, v19, v20
	v_div_fixup_f32 v17, v17, v15, v16
	v_fmac_f32_e32 v15, v16, v17
	v_div_scale_f32 v16, s[30:31], v15, v15, 1.0
	v_div_scale_f32 v18, vcc, 1.0, v15, 1.0
	v_rcp_f32_e32 v19, v16
	v_fma_f32 v20, -v16, v19, 1.0
	v_fmac_f32_e32 v19, v20, v19
	v_mul_f32_e32 v20, v18, v19
	v_fma_f32 v23, -v16, v20, v18
	v_fmac_f32_e32 v20, v23, v19
	v_fma_f32 v16, -v16, v20, v18
	v_div_fmas_f32 v16, v16, v19, v20
	v_fma_f32 v18, v14, v17, v13
	v_fma_f32 v13, -v13, v17, v14
                                        ; implicit-def: $vgpr19
                                        ; implicit-def: $vgpr20
	v_div_fixup_f32 v14, v16, v15, 1.0
	v_mul_f32_e32 v18, v18, v14
	v_mul_f32_e32 v17, v13, v14
                                        ; implicit-def: $vgpr13
.LBB74_74:                              ;   in Loop: Header=BB74_4 Depth=1
	s_andn2_saveexec_b64 s[30:31], s[12:13]
	s_cbranch_execz .LBB74_76
; %bb.75:                               ;   in Loop: Header=BB74_4 Depth=1
	v_div_scale_f32 v15, s[12:13], v19, v19, v13
	v_div_scale_f32 v16, s[12:13], v20, v20, v14
	v_div_scale_f32 v17, vcc, v13, v19, v13
	v_div_scale_f32 v18, s[12:13], v14, v20, v14
	v_rcp_f32_e32 v23, v15
	v_rcp_f32_e32 v24, v16
	v_fma_f32 v57, -v15, v23, 1.0
	v_fmac_f32_e32 v23, v57, v23
	v_fma_f32 v58, -v16, v24, 1.0
	v_fmac_f32_e32 v24, v58, v24
	v_mul_f32_e32 v57, v17, v23
	v_mul_f32_e32 v58, v18, v24
	v_fma_f32 v59, -v15, v57, v17
	v_fma_f32 v60, -v16, v58, v18
	v_fmac_f32_e32 v57, v59, v23
	v_fmac_f32_e32 v58, v60, v24
	v_fma_f32 v15, -v15, v57, v17
	v_fma_f32 v16, -v16, v58, v18
	v_div_fmas_f32 v15, v15, v23, v57
	s_mov_b64 vcc, s[12:13]
	v_div_fmas_f32 v16, v16, v24, v58
	v_div_fixup_f32 v18, v15, v19, v13
	v_div_fixup_f32 v17, v16, v20, v14
.LBB74_76:                              ;   in Loop: Header=BB74_4 Depth=1
	s_or_b64 exec, exec, s[30:31]
                                        ; implicit-def: $vgpr16
                                        ; implicit-def: $vgpr13
.LBB74_77:                              ;   in Loop: Header=BB74_4 Depth=1
	s_andn2_saveexec_b64 s[12:13], s[14:15]
	s_cbranch_execz .LBB74_79
; %bb.78:                               ;   in Loop: Header=BB74_4 Depth=1
	v_div_scale_f32 v17, s[14:15], v16, v16, v15
	v_div_scale_f32 v18, vcc, v15, v16, v15
	v_rcp_f32_e32 v19, v17
	v_fma_f32 v20, -v17, v19, 1.0
	v_fmac_f32_e32 v19, v20, v19
	v_mul_f32_e32 v20, v18, v19
	v_fma_f32 v23, -v17, v20, v18
	v_fmac_f32_e32 v20, v23, v19
	v_fma_f32 v17, -v17, v20, v18
	v_div_fmas_f32 v17, v17, v19, v20
	v_div_fixup_f32 v17, v17, v16, v15
	v_fmac_f32_e32 v16, v15, v17
	v_div_scale_f32 v15, s[14:15], v16, v16, 1.0
	v_div_scale_f32 v18, vcc, 1.0, v16, 1.0
	v_rcp_f32_e32 v19, v15
	v_fma_f32 v20, -v15, v19, 1.0
	v_fmac_f32_e32 v19, v20, v19
	v_mul_f32_e32 v20, v18, v19
	v_fma_f32 v23, -v15, v20, v18
	v_fmac_f32_e32 v20, v23, v19
	v_fma_f32 v15, -v15, v20, v18
	v_div_fmas_f32 v15, v15, v19, v20
	v_fma_f32 v18, v13, v17, v14
	v_fma_f32 v13, v14, v17, -v13
	v_div_fixup_f32 v14, v15, v16, 1.0
	v_mul_f32_e32 v18, v18, v14
	v_mul_f32_e32 v17, v13, v14
.LBB74_79:                              ;   in Loop: Header=BB74_4 Depth=1
	s_or_b64 exec, exec, s[12:13]
.LBB74_80:                              ;   in Loop: Header=BB74_4 Depth=1
	v_cmp_gt_f32_e32 vcc, 0, v11
	v_cndmask_b32_e64 v13, v11, -v11, vcc
	v_cmp_gt_f32_e32 vcc, 0, v12
	v_cndmask_b32_e64 v14, v12, -v12, vcc
	v_cmp_ge_f32_e64 s[12:13], v13, v14
	s_and_b64 vcc, exec, s[10:11]
	s_mov_b64 s[10:11], -1
                                        ; implicit-def: $vgpr15
                                        ; implicit-def: $vgpr16
	s_cbranch_vccz .LBB74_86
; %bb.81:                               ;   in Loop: Header=BB74_4 Depth=1
	s_and_b64 vcc, exec, s[10:11]
	s_cbranch_vccnz .LBB74_95
.LBB74_82:                              ;   in Loop: Header=BB74_4 Depth=1
	s_and_saveexec_b64 s[10:11], s[0:1]
	s_xor_b64 s[0:1], exec, s[10:11]
	s_cbranch_execnz .LBB74_104
.LBB74_83:                              ;   in Loop: Header=BB74_4 Depth=1
	s_or_b64 exec, exec, s[0:1]
	s_and_saveexec_b64 s[0:1], s[2:3]
	s_cbranch_execnz .LBB74_105
.LBB74_84:                              ;   in Loop: Header=BB74_4 Depth=1
	s_or_b64 exec, exec, s[0:1]
	s_and_saveexec_b64 s[0:1], s[6:7]
	s_cbranch_execnz .LBB74_106
.LBB74_85:                              ;   in Loop: Header=BB74_4 Depth=1
	s_or_b64 exec, exec, s[0:1]
	s_and_saveexec_b64 s[0:1], s[8:9]
	s_cbranch_execz .LBB74_3
	s_branch .LBB74_107
.LBB74_86:                              ;   in Loop: Header=BB74_4 Depth=1
                                        ; implicit-def: $vgpr15
                                        ; implicit-def: $vgpr19
	s_and_saveexec_b64 s[10:11], s[12:13]
	s_xor_b64 s[14:15], exec, s[10:11]
	s_cbranch_execz .LBB74_92
; %bb.87:                               ;   in Loop: Header=BB74_4 Depth=1
	v_cmp_neq_f32_e32 vcc, 0, v11
	v_cmp_neq_f32_e64 s[10:11], 0, v12
	s_or_b64 s[10:11], s[10:11], vcc
                                        ; implicit-def: $vgpr15
                                        ; implicit-def: $vgpr19
	s_and_saveexec_b64 s[30:31], s[10:11]
	s_xor_b64 s[10:11], exec, s[30:31]
	s_cbranch_execz .LBB74_89
; %bb.88:                               ;   in Loop: Header=BB74_4 Depth=1
	v_div_scale_f32 v15, s[30:31], v11, v11, v12
	v_div_scale_f32 v16, vcc, v12, v11, v12
	v_rcp_f32_e32 v19, v15
	v_fma_f32 v20, -v15, v19, 1.0
	v_fmac_f32_e32 v19, v20, v19
	v_mul_f32_e32 v20, v16, v19
	v_fma_f32 v23, -v15, v20, v16
	v_fmac_f32_e32 v20, v23, v19
	v_fma_f32 v15, -v15, v20, v16
	v_div_fmas_f32 v15, v15, v19, v20
	v_div_fixup_f32 v15, v15, v11, v12
	v_fma_f32 v16, v12, v15, v11
	v_div_scale_f32 v19, s[30:31], v16, v16, 1.0
	v_div_scale_f32 v20, vcc, 1.0, v16, 1.0
	v_rcp_f32_e32 v23, v19
	v_fma_f32 v24, -v19, v23, 1.0
	v_fmac_f32_e32 v23, v24, v23
	v_mul_f32_e32 v24, v20, v23
	v_fma_f32 v57, -v19, v24, v20
	v_fmac_f32_e32 v24, v57, v23
	v_fma_f32 v19, -v19, v24, v20
	v_div_fmas_f32 v19, v19, v23, v24
	v_fma_f32 v20, v10, v15, v9
	v_fma_f32 v15, -v9, v15, v10
	v_div_fixup_f32 v16, v19, v16, 1.0
	v_mul_f32_e32 v19, v20, v16
	v_mul_f32_e32 v15, v15, v16
.LBB74_89:                              ;   in Loop: Header=BB74_4 Depth=1
	s_andn2_saveexec_b64 s[30:31], s[10:11]
	s_cbranch_execz .LBB74_91
; %bb.90:                               ;   in Loop: Header=BB74_4 Depth=1
	v_div_scale_f32 v15, s[10:11], v13, v13, v9
	v_div_scale_f32 v16, s[10:11], v14, v14, v10
	v_div_scale_f32 v19, vcc, v9, v13, v9
	v_div_scale_f32 v20, s[10:11], v10, v14, v10
	v_rcp_f32_e32 v23, v15
	v_rcp_f32_e32 v24, v16
	v_fma_f32 v57, -v15, v23, 1.0
	v_fmac_f32_e32 v23, v57, v23
	v_fma_f32 v58, -v16, v24, 1.0
	v_fmac_f32_e32 v24, v58, v24
	v_mul_f32_e32 v57, v19, v23
	v_mul_f32_e32 v58, v20, v24
	v_fma_f32 v59, -v15, v57, v19
	v_fma_f32 v60, -v16, v58, v20
	v_fmac_f32_e32 v57, v59, v23
	v_fmac_f32_e32 v58, v60, v24
	v_fma_f32 v15, -v15, v57, v19
	v_fma_f32 v16, -v16, v58, v20
	v_div_fmas_f32 v15, v15, v23, v57
	s_mov_b64 vcc, s[10:11]
	v_div_fmas_f32 v16, v16, v24, v58
	v_div_fixup_f32 v19, v15, v13, v9
	v_div_fixup_f32 v15, v16, v14, v10
.LBB74_91:                              ;   in Loop: Header=BB74_4 Depth=1
	s_or_b64 exec, exec, s[30:31]
.LBB74_92:                              ;   in Loop: Header=BB74_4 Depth=1
	s_andn2_saveexec_b64 s[10:11], s[14:15]
	s_cbranch_execz .LBB74_94
; %bb.93:                               ;   in Loop: Header=BB74_4 Depth=1
	v_div_scale_f32 v15, s[14:15], v12, v12, v11
	v_div_scale_f32 v16, vcc, v11, v12, v11
	v_rcp_f32_e32 v19, v15
	v_fma_f32 v20, -v15, v19, 1.0
	v_fmac_f32_e32 v19, v20, v19
	v_mul_f32_e32 v20, v16, v19
	v_fma_f32 v23, -v15, v20, v16
	v_fmac_f32_e32 v20, v23, v19
	v_fma_f32 v15, -v15, v20, v16
	v_div_fmas_f32 v15, v15, v19, v20
	v_div_fixup_f32 v15, v15, v12, v11
	v_fma_f32 v16, v11, v15, v12
	v_div_scale_f32 v19, s[14:15], v16, v16, 1.0
	v_div_scale_f32 v20, vcc, 1.0, v16, 1.0
	v_rcp_f32_e32 v23, v19
	v_fma_f32 v24, -v19, v23, 1.0
	v_fmac_f32_e32 v23, v24, v23
	v_mul_f32_e32 v24, v20, v23
	v_fma_f32 v57, -v19, v24, v20
	v_fmac_f32_e32 v24, v57, v23
	v_fma_f32 v19, -v19, v24, v20
	v_div_fmas_f32 v19, v19, v23, v24
	v_fma_f32 v20, v9, v15, v10
	v_fma_f32 v15, v10, v15, -v9
	v_div_fixup_f32 v16, v19, v16, 1.0
	v_mul_f32_e32 v19, v20, v16
	v_mul_f32_e32 v15, v15, v16
.LBB74_94:                              ;   in Loop: Header=BB74_4 Depth=1
	s_or_b64 exec, exec, s[10:11]
	v_mul_f32_e32 v16, s17, v15
	v_mul_f32_e32 v15, s16, v15
	v_fma_f32 v16, v19, s16, -v16
	v_fmac_f32_e32 v15, s17, v19
	s_branch .LBB74_82
.LBB74_95:                              ;   in Loop: Header=BB74_4 Depth=1
                                        ; implicit-def: $vgpr15
                                        ; implicit-def: $vgpr16
	s_and_saveexec_b64 s[10:11], s[12:13]
	s_xor_b64 s[12:13], exec, s[10:11]
	s_cbranch_execz .LBB74_101
; %bb.96:                               ;   in Loop: Header=BB74_4 Depth=1
	v_cmp_neq_f32_e32 vcc, 0, v11
	v_cmp_neq_f32_e64 s[10:11], 0, v12
	s_or_b64 s[10:11], s[10:11], vcc
                                        ; implicit-def: $vgpr15
                                        ; implicit-def: $vgpr16
	s_and_saveexec_b64 s[14:15], s[10:11]
	s_xor_b64 s[10:11], exec, s[14:15]
	s_cbranch_execz .LBB74_98
; %bb.97:                               ;   in Loop: Header=BB74_4 Depth=1
	v_div_scale_f32 v13, s[14:15], v11, v11, v12
	v_div_scale_f32 v14, vcc, v12, v11, v12
	v_rcp_f32_e32 v15, v13
	v_fma_f32 v16, -v13, v15, 1.0
	v_fmac_f32_e32 v15, v16, v15
	v_mul_f32_e32 v16, v14, v15
	v_fma_f32 v19, -v13, v16, v14
	v_fmac_f32_e32 v16, v19, v15
	v_fma_f32 v13, -v13, v16, v14
	v_div_fmas_f32 v13, v13, v15, v16
	v_div_fixup_f32 v13, v13, v11, v12
	v_fmac_f32_e32 v11, v12, v13
	v_div_scale_f32 v12, s[14:15], v11, v11, 1.0
	v_div_scale_f32 v14, vcc, 1.0, v11, 1.0
	v_rcp_f32_e32 v15, v12
	v_fma_f32 v16, -v12, v15, 1.0
	v_fmac_f32_e32 v15, v16, v15
	v_mul_f32_e32 v16, v14, v15
	v_fma_f32 v19, -v12, v16, v14
	v_fmac_f32_e32 v16, v19, v15
	v_fma_f32 v12, -v12, v16, v14
	v_div_fmas_f32 v12, v12, v15, v16
	v_fma_f32 v14, v10, v13, v9
	v_fma_f32 v9, -v9, v13, v10
                                        ; implicit-def: $vgpr13
	v_div_fixup_f32 v10, v12, v11, 1.0
	v_mul_f32_e32 v16, v14, v10
	v_mul_f32_e32 v15, v9, v10
                                        ; implicit-def: $vgpr9
                                        ; implicit-def: $vgpr14
.LBB74_98:                              ;   in Loop: Header=BB74_4 Depth=1
	s_andn2_saveexec_b64 s[14:15], s[10:11]
	s_cbranch_execz .LBB74_100
; %bb.99:                               ;   in Loop: Header=BB74_4 Depth=1
	v_div_scale_f32 v11, s[10:11], v13, v13, v9
	v_div_scale_f32 v12, s[10:11], v14, v14, v10
	v_div_scale_f32 v15, vcc, v9, v13, v9
	v_div_scale_f32 v16, s[10:11], v10, v14, v10
	v_rcp_f32_e32 v19, v11
	v_rcp_f32_e32 v20, v12
	v_fma_f32 v23, -v11, v19, 1.0
	v_fmac_f32_e32 v19, v23, v19
	v_fma_f32 v24, -v12, v20, 1.0
	v_fmac_f32_e32 v20, v24, v20
	v_mul_f32_e32 v23, v15, v19
	v_mul_f32_e32 v24, v16, v20
	v_fma_f32 v57, -v11, v23, v15
	v_fma_f32 v58, -v12, v24, v16
	v_fmac_f32_e32 v23, v57, v19
	v_fmac_f32_e32 v24, v58, v20
	v_fma_f32 v11, -v11, v23, v15
	v_fma_f32 v12, -v12, v24, v16
	v_div_fmas_f32 v11, v11, v19, v23
	s_mov_b64 vcc, s[10:11]
	v_div_fmas_f32 v12, v12, v20, v24
	v_div_fixup_f32 v16, v11, v13, v9
	v_div_fixup_f32 v15, v12, v14, v10
.LBB74_100:                             ;   in Loop: Header=BB74_4 Depth=1
	s_or_b64 exec, exec, s[14:15]
                                        ; implicit-def: $vgpr12
                                        ; implicit-def: $vgpr9
.LBB74_101:                             ;   in Loop: Header=BB74_4 Depth=1
	s_andn2_saveexec_b64 s[10:11], s[12:13]
	s_cbranch_execz .LBB74_103
; %bb.102:                              ;   in Loop: Header=BB74_4 Depth=1
	v_div_scale_f32 v13, s[12:13], v12, v12, v11
	v_div_scale_f32 v14, vcc, v11, v12, v11
	v_rcp_f32_e32 v15, v13
	v_fma_f32 v16, -v13, v15, 1.0
	v_fmac_f32_e32 v15, v16, v15
	v_mul_f32_e32 v16, v14, v15
	v_fma_f32 v19, -v13, v16, v14
	v_fmac_f32_e32 v16, v19, v15
	v_fma_f32 v13, -v13, v16, v14
	v_div_fmas_f32 v13, v13, v15, v16
	v_div_fixup_f32 v13, v13, v12, v11
	v_fmac_f32_e32 v12, v11, v13
	v_div_scale_f32 v11, s[12:13], v12, v12, 1.0
	v_div_scale_f32 v14, vcc, 1.0, v12, 1.0
	v_rcp_f32_e32 v15, v11
	v_fma_f32 v16, -v11, v15, 1.0
	v_fmac_f32_e32 v15, v16, v15
	v_mul_f32_e32 v16, v14, v15
	v_fma_f32 v19, -v11, v16, v14
	v_fmac_f32_e32 v16, v19, v15
	v_fma_f32 v11, -v11, v16, v14
	v_div_fmas_f32 v11, v11, v15, v16
	v_fma_f32 v14, v9, v13, v10
	v_fma_f32 v9, v10, v13, -v9
	v_div_fixup_f32 v10, v11, v12, 1.0
	v_mul_f32_e32 v16, v14, v10
	v_mul_f32_e32 v15, v9, v10
.LBB74_103:                             ;   in Loop: Header=BB74_4 Depth=1
	s_or_b64 exec, exec, s[10:11]
	s_and_saveexec_b64 s[10:11], s[0:1]
	s_xor_b64 s[0:1], exec, s[10:11]
	s_cbranch_execz .LBB74_83
.LBB74_104:                             ;   in Loop: Header=BB74_4 Depth=1
	v_mov_b32_e32 v10, s21
	v_add_co_u32_e32 v9, vcc, s20, v37
	v_add_f32_e32 v1, v1, v55
	v_add_f32_e32 v2, v2, v56
	v_addc_co_u32_e32 v10, vcc, v38, v10, vcc
	global_store_dwordx2 v[9:10], v[1:2], off
	s_or_b64 exec, exec, s[0:1]
	s_and_saveexec_b64 s[0:1], s[2:3]
	s_cbranch_execz .LBB74_84
.LBB74_105:                             ;   in Loop: Header=BB74_4 Depth=1
	v_add_f32_e32 v1, v3, v22
	v_add_f32_e32 v2, v4, v21
	v_mov_b32_e32 v4, s21
	v_add_co_u32_e32 v3, vcc, s20, v45
	v_addc_co_u32_e32 v4, vcc, v46, v4, vcc
	global_store_dwordx2 v[3:4], v[1:2], off
	s_or_b64 exec, exec, s[0:1]
	s_and_saveexec_b64 s[0:1], s[6:7]
	s_cbranch_execz .LBB74_85
.LBB74_106:                             ;   in Loop: Header=BB74_4 Depth=1
	v_mov_b32_e32 v4, s21
	v_add_co_u32_e32 v3, vcc, s20, v31
	v_add_f32_e32 v1, v5, v18
	v_add_f32_e32 v2, v6, v17
	v_addc_co_u32_e32 v4, vcc, v32, v4, vcc
	global_store_dwordx2 v[3:4], v[1:2], off
	s_or_b64 exec, exec, s[0:1]
	s_and_saveexec_b64 s[0:1], s[8:9]
	s_cbranch_execz .LBB74_3
.LBB74_107:                             ;   in Loop: Header=BB74_4 Depth=1
	v_mov_b32_e32 v4, s21
	v_add_co_u32_e32 v3, vcc, s20, v25
	v_add_f32_e32 v1, v7, v16
	v_add_f32_e32 v2, v8, v15
	v_addc_co_u32_e32 v4, vcc, v26, v4, vcc
	global_store_dwordx2 v[3:4], v[1:2], off
	s_branch .LBB74_3
.LBB74_108:
	s_mov_b64 s[8:9], 0
.LBB74_109:
	s_andn2_b64 vcc, exec, s[8:9]
	s_cbranch_vccnz .LBB74_193
; %bb.110:
	v_mov_b32_e32 v1, 0x10000
	v_mov_b32_e32 v2, 0
	v_cmp_lt_i64_e32 vcc, s[18:19], v[1:2]
	v_mov_b32_e32 v2, 0
	s_and_b64 s[0:1], vcc, exec
	s_cselect_b32 s7, s19, 0
	s_cselect_b32 s6, s18, 0x10000
	v_lshlrev_b32_e32 v1, 2, v0
	v_cmp_gt_i64_e32 vcc, s[6:7], v[1:2]
	s_and_saveexec_b64 s[0:1], vcc
	s_cbranch_execz .LBB74_193
; %bb.111:
	s_load_dword s4, s[4:5], 0xc64
	s_and_b32 s2, s17, 0x7fffffff
	s_cmp_lg_u32 s2, 0
	v_cmp_neq_f32_e64 s[0:1], s16, 1.0
	s_cselect_b64 s[2:3], -1, 0
	s_waitcnt lgkmcnt(0)
	s_and_b32 s18, s4, 0xffff
	v_mov_b32_e32 v1, v2
	s_or_b64 s[8:9], s[0:1], s[2:3]
	v_lshlrev_b32_e32 v28, 5, v0
	s_lshl_b32 s19, s18, 5
	s_mov_b64 s[10:11], 0
	s_branch .LBB74_114
.LBB74_112:                             ;   in Loop: Header=BB74_114 Depth=1
	s_or_b64 exec, exec, s[0:1]
.LBB74_113:                             ;   in Loop: Header=BB74_114 Depth=1
	v_add_co_u32_e32 v0, vcc, s18, v0
	s_add_u32 s39, s39, s19
	s_waitcnt vmcnt(0)
	v_add_f32_e32 v8, v8, v32
	v_add_f32_e32 v9, v9, v31
	;; [unrolled: 1-line block ×4, first 2 shown]
	v_addc_co_u32_e32 v1, vcc, 0, v1, vcc
	s_addc_u32 s40, s40, 0
	global_store_dwordx4 v[26:27], v[6:9], off
	s_add_u32 s33, s33, s19
	v_lshlrev_b64 v[6:7], 2, v[0:1]
	s_addc_u32 s36, s36, 0
	s_add_u32 s37, s37, s19
	v_cmp_le_i64_e32 vcc, s[6:7], v[6:7]
	s_addc_u32 s38, s38, 0
	v_add_f32_e32 v2, v2, v19
	v_add_f32_e32 v3, v3, v18
	v_add_f32_e32 v4, v4, v21
	v_add_f32_e32 v5, v5, v20
	s_or_b64 s[10:11], vcc, s[10:11]
	global_store_dwordx4 v[26:27], v[2:5], off offset:16
	s_andn2_b64 exec, exec, s[10:11]
	s_cbranch_execz .LBB74_193
.LBB74_114:                             ; =>This Inner Loop Header: Depth=1
	v_mov_b32_e32 v3, s40
	v_add_co_u32_e32 v2, vcc, s39, v28
	v_addc_co_u32_e32 v3, vcc, 0, v3, vcc
	global_load_dwordx4 v[22:25], v[2:3], off
	global_load_dwordx4 v[14:17], v[2:3], off offset:16
	v_mov_b32_e32 v2, s36
	v_add_co_u32_e32 v26, vcc, s33, v28
	v_addc_co_u32_e32 v27, vcc, 0, v2, vcc
	v_mov_b32_e32 v3, s38
	v_add_co_u32_e32 v29, vcc, s37, v28
	v_addc_co_u32_e32 v30, vcc, 0, v3, vcc
	global_load_dwordx4 v[10:13], v[29:30], off offset:16
	global_load_dwordx4 v[18:21], v[29:30], off
	global_load_dwordx4 v[2:5], v[26:27], off offset:16
	global_load_dwordx4 v[6:9], v[26:27], off
	s_mov_b64 s[2:3], -1
	s_and_b64 vcc, exec, s[8:9]
                                        ; implicit-def: $vgpr29
                                        ; implicit-def: $vgpr30
	s_waitcnt vmcnt(5)
	v_cmp_gt_f32_e64 s[0:1], 0, v22
	v_cndmask_b32_e64 v31, v22, -v22, s[0:1]
	v_cmp_gt_f32_e64 s[0:1], 0, v23
	v_cndmask_b32_e64 v32, v23, -v23, s[0:1]
	v_cmp_ge_f32_e64 s[0:1], v31, v32
	s_cbranch_vccz .LBB74_124
; %bb.115:                              ;   in Loop: Header=BB74_114 Depth=1
                                        ; implicit-def: $vgpr29
                                        ; implicit-def: $vgpr33
	s_and_saveexec_b64 s[2:3], s[0:1]
	s_xor_b64 s[4:5], exec, s[2:3]
	s_cbranch_execz .LBB74_121
; %bb.116:                              ;   in Loop: Header=BB74_114 Depth=1
	v_cmp_neq_f32_e32 vcc, 0, v22
	v_cmp_neq_f32_e64 s[2:3], 0, v23
	s_or_b64 s[2:3], vcc, s[2:3]
                                        ; implicit-def: $vgpr29
                                        ; implicit-def: $vgpr33
	s_and_saveexec_b64 s[12:13], s[2:3]
	s_xor_b64 s[2:3], exec, s[12:13]
	s_cbranch_execz .LBB74_118
; %bb.117:                              ;   in Loop: Header=BB74_114 Depth=1
	v_div_scale_f32 v29, s[12:13], v22, v22, v23
	v_div_scale_f32 v30, vcc, v23, v22, v23
	v_rcp_f32_e32 v33, v29
	v_fma_f32 v34, -v29, v33, 1.0
	v_fmac_f32_e32 v33, v34, v33
	v_mul_f32_e32 v34, v30, v33
	v_fma_f32 v35, -v29, v34, v30
	v_fmac_f32_e32 v34, v35, v33
	v_fma_f32 v29, -v29, v34, v30
	v_div_fmas_f32 v29, v29, v33, v34
	v_div_fixup_f32 v29, v29, v22, v23
	v_fma_f32 v30, v23, v29, v22
	v_div_scale_f32 v33, s[12:13], v30, v30, 1.0
	v_div_scale_f32 v34, vcc, 1.0, v30, 1.0
	v_rcp_f32_e32 v35, v33
	v_fma_f32 v36, -v33, v35, 1.0
	v_fmac_f32_e32 v35, v36, v35
	v_mul_f32_e32 v36, v34, v35
	v_fma_f32 v37, -v33, v36, v34
	v_fmac_f32_e32 v36, v37, v35
	v_fma_f32 v33, -v33, v36, v34
	v_div_fmas_f32 v33, v33, v35, v36
	s_waitcnt vmcnt(2)
	v_fma_f32 v34, v19, v29, v18
	v_fma_f32 v29, -v18, v29, v19
	v_div_fixup_f32 v30, v33, v30, 1.0
	v_mul_f32_e32 v33, v34, v30
	v_mul_f32_e32 v29, v29, v30
.LBB74_118:                             ;   in Loop: Header=BB74_114 Depth=1
	s_andn2_saveexec_b64 s[12:13], s[2:3]
	s_cbranch_execz .LBB74_120
; %bb.119:                              ;   in Loop: Header=BB74_114 Depth=1
	s_waitcnt vmcnt(2)
	v_div_scale_f32 v29, s[2:3], v31, v31, v18
	v_div_scale_f32 v30, s[2:3], v32, v32, v19
	v_div_scale_f32 v33, vcc, v18, v31, v18
	v_div_scale_f32 v34, s[2:3], v19, v32, v19
	v_rcp_f32_e32 v35, v29
	v_rcp_f32_e32 v36, v30
	v_fma_f32 v37, -v29, v35, 1.0
	v_fmac_f32_e32 v35, v37, v35
	v_fma_f32 v38, -v30, v36, 1.0
	v_fmac_f32_e32 v36, v38, v36
	v_mul_f32_e32 v37, v33, v35
	v_mul_f32_e32 v38, v34, v36
	v_fma_f32 v39, -v29, v37, v33
	v_fma_f32 v40, -v30, v38, v34
	v_fmac_f32_e32 v37, v39, v35
	v_fmac_f32_e32 v38, v40, v36
	v_fma_f32 v29, -v29, v37, v33
	v_fma_f32 v30, -v30, v38, v34
	v_div_fmas_f32 v29, v29, v35, v37
	s_mov_b64 vcc, s[2:3]
	v_div_fmas_f32 v30, v30, v36, v38
	v_div_fixup_f32 v33, v29, v31, v18
	v_div_fixup_f32 v29, v30, v32, v19
.LBB74_120:                             ;   in Loop: Header=BB74_114 Depth=1
	s_or_b64 exec, exec, s[12:13]
.LBB74_121:                             ;   in Loop: Header=BB74_114 Depth=1
	s_andn2_saveexec_b64 s[2:3], s[4:5]
	s_cbranch_execz .LBB74_123
; %bb.122:                              ;   in Loop: Header=BB74_114 Depth=1
	v_div_scale_f32 v29, s[4:5], v23, v23, v22
	v_div_scale_f32 v30, vcc, v22, v23, v22
	v_rcp_f32_e32 v33, v29
	v_fma_f32 v34, -v29, v33, 1.0
	v_fmac_f32_e32 v33, v34, v33
	v_mul_f32_e32 v34, v30, v33
	v_fma_f32 v35, -v29, v34, v30
	v_fmac_f32_e32 v34, v35, v33
	v_fma_f32 v29, -v29, v34, v30
	v_div_fmas_f32 v29, v29, v33, v34
	v_div_fixup_f32 v29, v29, v23, v22
	v_fma_f32 v30, v22, v29, v23
	v_div_scale_f32 v33, s[4:5], v30, v30, 1.0
	v_div_scale_f32 v34, vcc, 1.0, v30, 1.0
	v_rcp_f32_e32 v35, v33
	v_fma_f32 v36, -v33, v35, 1.0
	v_fmac_f32_e32 v35, v36, v35
	v_mul_f32_e32 v36, v34, v35
	v_fma_f32 v37, -v33, v36, v34
	v_fmac_f32_e32 v36, v37, v35
	v_fma_f32 v33, -v33, v36, v34
	v_div_fmas_f32 v33, v33, v35, v36
	s_waitcnt vmcnt(2)
	v_fma_f32 v34, v18, v29, v19
	v_fma_f32 v29, v19, v29, -v18
	v_div_fixup_f32 v30, v33, v30, 1.0
	v_mul_f32_e32 v33, v34, v30
	v_mul_f32_e32 v29, v29, v30
.LBB74_123:                             ;   in Loop: Header=BB74_114 Depth=1
	s_or_b64 exec, exec, s[2:3]
	v_mul_f32_e32 v30, s17, v29
	v_mul_f32_e32 v29, s16, v29
	v_fma_f32 v30, v33, s16, -v30
	v_fmac_f32_e32 v29, s17, v33
	s_mov_b64 s[2:3], 0
.LBB74_124:                             ;   in Loop: Header=BB74_114 Depth=1
	s_and_b64 vcc, exec, s[2:3]
	s_cbranch_vccz .LBB74_134
; %bb.125:                              ;   in Loop: Header=BB74_114 Depth=1
                                        ; implicit-def: $vgpr29
                                        ; implicit-def: $vgpr30
	s_and_saveexec_b64 s[2:3], s[0:1]
	s_xor_b64 s[2:3], exec, s[2:3]
	s_cbranch_execz .LBB74_131
; %bb.126:                              ;   in Loop: Header=BB74_114 Depth=1
	v_cmp_neq_f32_e32 vcc, 0, v22
	v_cmp_neq_f32_e64 s[0:1], 0, v23
	s_or_b64 s[0:1], vcc, s[0:1]
                                        ; implicit-def: $vgpr29
                                        ; implicit-def: $vgpr30
	s_and_saveexec_b64 s[4:5], s[0:1]
	s_xor_b64 s[0:1], exec, s[4:5]
	s_cbranch_execz .LBB74_128
; %bb.127:                              ;   in Loop: Header=BB74_114 Depth=1
	v_div_scale_f32 v29, s[4:5], v22, v22, v23
	v_div_scale_f32 v30, vcc, v23, v22, v23
	v_rcp_f32_e32 v31, v29
	v_fma_f32 v32, -v29, v31, 1.0
	v_fmac_f32_e32 v31, v32, v31
	v_mul_f32_e32 v32, v30, v31
	v_fma_f32 v33, -v29, v32, v30
	v_fmac_f32_e32 v32, v33, v31
	v_fma_f32 v29, -v29, v32, v30
	v_div_fmas_f32 v29, v29, v31, v32
	v_div_fixup_f32 v29, v29, v22, v23
	v_fma_f32 v30, v23, v29, v22
	v_div_scale_f32 v31, s[4:5], v30, v30, 1.0
	v_div_scale_f32 v32, vcc, 1.0, v30, 1.0
	v_rcp_f32_e32 v33, v31
	v_fma_f32 v34, -v31, v33, 1.0
	v_fmac_f32_e32 v33, v34, v33
	v_mul_f32_e32 v34, v32, v33
	v_fma_f32 v35, -v31, v34, v32
	v_fmac_f32_e32 v34, v35, v33
	v_fma_f32 v31, -v31, v34, v32
	v_div_fmas_f32 v31, v31, v33, v34
	s_waitcnt vmcnt(2)
	v_fma_f32 v32, v19, v29, v18
	v_fma_f32 v29, -v18, v29, v19
	v_div_fixup_f32 v31, v31, v30, 1.0
	v_mul_f32_e32 v30, v32, v31
	v_mul_f32_e32 v29, v29, v31
                                        ; implicit-def: $vgpr31
                                        ; implicit-def: $vgpr32
.LBB74_128:                             ;   in Loop: Header=BB74_114 Depth=1
	s_andn2_saveexec_b64 s[4:5], s[0:1]
	s_cbranch_execz .LBB74_130
; %bb.129:                              ;   in Loop: Header=BB74_114 Depth=1
	s_waitcnt vmcnt(2)
	v_div_scale_f32 v29, s[0:1], v31, v31, v18
	v_div_scale_f32 v30, s[0:1], v32, v32, v19
	v_div_scale_f32 v33, vcc, v18, v31, v18
	v_div_scale_f32 v34, s[0:1], v19, v32, v19
	v_rcp_f32_e32 v35, v29
	v_rcp_f32_e32 v36, v30
	v_fma_f32 v37, -v29, v35, 1.0
	v_fmac_f32_e32 v35, v37, v35
	v_fma_f32 v38, -v30, v36, 1.0
	v_fmac_f32_e32 v36, v38, v36
	v_mul_f32_e32 v37, v33, v35
	v_mul_f32_e32 v38, v34, v36
	v_fma_f32 v39, -v29, v37, v33
	v_fma_f32 v40, -v30, v38, v34
	v_fmac_f32_e32 v37, v39, v35
	v_fmac_f32_e32 v38, v40, v36
	v_fma_f32 v29, -v29, v37, v33
	v_fma_f32 v30, -v30, v38, v34
	v_div_fmas_f32 v29, v29, v35, v37
	s_mov_b64 vcc, s[0:1]
	v_div_fmas_f32 v33, v30, v36, v38
	v_div_fixup_f32 v30, v29, v31, v18
	v_div_fixup_f32 v29, v33, v32, v19
.LBB74_130:                             ;   in Loop: Header=BB74_114 Depth=1
	s_or_b64 exec, exec, s[4:5]
.LBB74_131:                             ;   in Loop: Header=BB74_114 Depth=1
	s_andn2_saveexec_b64 s[0:1], s[2:3]
	s_cbranch_execz .LBB74_133
; %bb.132:                              ;   in Loop: Header=BB74_114 Depth=1
	v_div_scale_f32 v29, s[2:3], v23, v23, v22
	v_div_scale_f32 v30, vcc, v22, v23, v22
	v_rcp_f32_e32 v31, v29
	v_fma_f32 v32, -v29, v31, 1.0
	v_fmac_f32_e32 v31, v32, v31
	v_mul_f32_e32 v32, v30, v31
	v_fma_f32 v33, -v29, v32, v30
	v_fmac_f32_e32 v32, v33, v31
	v_fma_f32 v29, -v29, v32, v30
	v_div_fmas_f32 v29, v29, v31, v32
	v_div_fixup_f32 v29, v29, v23, v22
	v_fma_f32 v22, v22, v29, v23
	v_div_scale_f32 v23, s[2:3], v22, v22, 1.0
	v_div_scale_f32 v30, vcc, 1.0, v22, 1.0
	v_rcp_f32_e32 v31, v23
	v_fma_f32 v32, -v23, v31, 1.0
	v_fmac_f32_e32 v31, v32, v31
	v_mul_f32_e32 v32, v30, v31
	v_fma_f32 v33, -v23, v32, v30
	v_fmac_f32_e32 v32, v33, v31
	v_fma_f32 v23, -v23, v32, v30
	v_div_fmas_f32 v23, v23, v31, v32
	s_waitcnt vmcnt(2)
	v_fma_f32 v30, v18, v29, v19
	v_fma_f32 v18, v19, v29, -v18
	v_div_fixup_f32 v19, v23, v22, 1.0
	v_mul_f32_e32 v30, v30, v19
	v_mul_f32_e32 v29, v18, v19
.LBB74_133:                             ;   in Loop: Header=BB74_114 Depth=1
	s_or_b64 exec, exec, s[0:1]
.LBB74_134:                             ;   in Loop: Header=BB74_114 Depth=1
	v_cmp_gt_f32_e32 vcc, 0, v24
	v_cndmask_b32_e64 v22, v24, -v24, vcc
	v_cmp_gt_f32_e32 vcc, 0, v25
	s_waitcnt vmcnt(2)
	v_cndmask_b32_e64 v18, v25, -v25, vcc
	v_cndmask_b32_e64 v19, 0, 1, s[8:9]
	v_cmp_ge_f32_e64 s[2:3], v22, v18
	v_cmp_ne_u32_e64 s[0:1], 1, v19
	s_andn2_b64 vcc, exec, s[8:9]
	s_mov_b64 s[4:5], -1
                                        ; implicit-def: $vgpr31
                                        ; implicit-def: $vgpr32
	s_cbranch_vccnz .LBB74_144
; %bb.135:                              ;   in Loop: Header=BB74_114 Depth=1
                                        ; implicit-def: $vgpr23
                                        ; implicit-def: $vgpr19
	s_and_saveexec_b64 s[4:5], s[2:3]
	s_xor_b64 s[12:13], exec, s[4:5]
	s_cbranch_execz .LBB74_141
; %bb.136:                              ;   in Loop: Header=BB74_114 Depth=1
	v_cmp_neq_f32_e32 vcc, 0, v24
	v_cmp_neq_f32_e64 s[4:5], 0, v25
	s_or_b64 s[4:5], vcc, s[4:5]
                                        ; implicit-def: $vgpr23
                                        ; implicit-def: $vgpr19
	s_and_saveexec_b64 s[14:15], s[4:5]
	s_xor_b64 s[4:5], exec, s[14:15]
	s_cbranch_execz .LBB74_138
; %bb.137:                              ;   in Loop: Header=BB74_114 Depth=1
	v_div_scale_f32 v19, s[14:15], v24, v24, v25
	v_div_scale_f32 v23, vcc, v25, v24, v25
	v_rcp_f32_e32 v31, v19
	v_fma_f32 v32, -v19, v31, 1.0
	v_fmac_f32_e32 v31, v32, v31
	v_mul_f32_e32 v32, v23, v31
	v_fma_f32 v33, -v19, v32, v23
	v_fmac_f32_e32 v32, v33, v31
	v_fma_f32 v19, -v19, v32, v23
	v_div_fmas_f32 v19, v19, v31, v32
	v_div_fixup_f32 v19, v19, v24, v25
	v_fma_f32 v23, v25, v19, v24
	v_div_scale_f32 v31, s[14:15], v23, v23, 1.0
	v_div_scale_f32 v32, vcc, 1.0, v23, 1.0
	v_rcp_f32_e32 v33, v31
	v_fma_f32 v34, -v31, v33, 1.0
	v_fmac_f32_e32 v33, v34, v33
	v_mul_f32_e32 v34, v32, v33
	v_fma_f32 v35, -v31, v34, v32
	v_fmac_f32_e32 v34, v35, v33
	v_fma_f32 v31, -v31, v34, v32
	v_div_fmas_f32 v31, v31, v33, v34
	v_fma_f32 v32, v21, v19, v20
	v_fma_f32 v33, -v20, v19, v21
	v_div_fixup_f32 v23, v31, v23, 1.0
	v_mul_f32_e32 v19, v32, v23
	v_mul_f32_e32 v23, v33, v23
.LBB74_138:                             ;   in Loop: Header=BB74_114 Depth=1
	s_andn2_saveexec_b64 s[14:15], s[4:5]
	s_cbranch_execz .LBB74_140
; %bb.139:                              ;   in Loop: Header=BB74_114 Depth=1
	v_div_scale_f32 v19, s[4:5], v22, v22, v20
	v_div_scale_f32 v23, s[4:5], v18, v18, v21
	v_div_scale_f32 v31, vcc, v20, v22, v20
	v_div_scale_f32 v32, s[4:5], v21, v18, v21
	v_rcp_f32_e32 v33, v19
	v_rcp_f32_e32 v34, v23
	v_fma_f32 v35, -v19, v33, 1.0
	v_fmac_f32_e32 v33, v35, v33
	v_fma_f32 v36, -v23, v34, 1.0
	v_fmac_f32_e32 v34, v36, v34
	v_mul_f32_e32 v35, v31, v33
	v_mul_f32_e32 v36, v32, v34
	v_fma_f32 v37, -v19, v35, v31
	v_fma_f32 v38, -v23, v36, v32
	v_fmac_f32_e32 v35, v37, v33
	v_fmac_f32_e32 v36, v38, v34
	v_fma_f32 v19, -v19, v35, v31
	v_fma_f32 v23, -v23, v36, v32
	v_div_fmas_f32 v19, v19, v33, v35
	s_mov_b64 vcc, s[4:5]
	v_div_fmas_f32 v23, v23, v34, v36
	v_div_fixup_f32 v19, v19, v22, v20
	v_div_fixup_f32 v23, v23, v18, v21
.LBB74_140:                             ;   in Loop: Header=BB74_114 Depth=1
	s_or_b64 exec, exec, s[14:15]
.LBB74_141:                             ;   in Loop: Header=BB74_114 Depth=1
	s_andn2_saveexec_b64 s[4:5], s[12:13]
	s_cbranch_execz .LBB74_143
; %bb.142:                              ;   in Loop: Header=BB74_114 Depth=1
	v_div_scale_f32 v19, s[12:13], v25, v25, v24
	v_div_scale_f32 v23, vcc, v24, v25, v24
	v_rcp_f32_e32 v31, v19
	v_fma_f32 v32, -v19, v31, 1.0
	v_fmac_f32_e32 v31, v32, v31
	v_mul_f32_e32 v32, v23, v31
	v_fma_f32 v33, -v19, v32, v23
	v_fmac_f32_e32 v32, v33, v31
	v_fma_f32 v19, -v19, v32, v23
	v_div_fmas_f32 v19, v19, v31, v32
	v_div_fixup_f32 v19, v19, v25, v24
	v_fma_f32 v23, v24, v19, v25
	v_div_scale_f32 v31, s[12:13], v23, v23, 1.0
	v_div_scale_f32 v32, vcc, 1.0, v23, 1.0
	v_rcp_f32_e32 v33, v31
	v_fma_f32 v34, -v31, v33, 1.0
	v_fmac_f32_e32 v33, v34, v33
	v_mul_f32_e32 v34, v32, v33
	v_fma_f32 v35, -v31, v34, v32
	v_fmac_f32_e32 v34, v35, v33
	v_fma_f32 v31, -v31, v34, v32
	v_div_fmas_f32 v31, v31, v33, v34
	v_fma_f32 v32, v20, v19, v21
	v_fma_f32 v33, v21, v19, -v20
	v_div_fixup_f32 v23, v31, v23, 1.0
	v_mul_f32_e32 v19, v32, v23
	v_mul_f32_e32 v23, v33, v23
.LBB74_143:                             ;   in Loop: Header=BB74_114 Depth=1
	s_or_b64 exec, exec, s[4:5]
	v_mul_f32_e32 v31, s17, v23
	v_fma_f32 v32, v19, s16, -v31
	v_mul_f32_e32 v31, s16, v23
	v_fmac_f32_e32 v31, s17, v19
	s_mov_b64 s[4:5], 0
.LBB74_144:                             ;   in Loop: Header=BB74_114 Depth=1
	s_and_b64 vcc, exec, s[4:5]
	s_cbranch_vccz .LBB74_154
; %bb.145:                              ;   in Loop: Header=BB74_114 Depth=1
                                        ; implicit-def: $vgpr31
                                        ; implicit-def: $vgpr32
	s_and_saveexec_b64 s[4:5], s[2:3]
	s_xor_b64 s[4:5], exec, s[4:5]
	s_cbranch_execz .LBB74_151
; %bb.146:                              ;   in Loop: Header=BB74_114 Depth=1
	v_cmp_neq_f32_e32 vcc, 0, v24
	v_cmp_neq_f32_e64 s[2:3], 0, v25
	s_or_b64 s[2:3], vcc, s[2:3]
                                        ; implicit-def: $vgpr31
                                        ; implicit-def: $vgpr32
	s_and_saveexec_b64 s[12:13], s[2:3]
	s_xor_b64 s[2:3], exec, s[12:13]
	s_cbranch_execz .LBB74_148
; %bb.147:                              ;   in Loop: Header=BB74_114 Depth=1
	v_div_scale_f32 v18, s[12:13], v24, v24, v25
	v_div_scale_f32 v19, vcc, v25, v24, v25
	v_rcp_f32_e32 v22, v18
	v_fma_f32 v23, -v18, v22, 1.0
	v_fmac_f32_e32 v22, v23, v22
	v_mul_f32_e32 v23, v19, v22
	v_fma_f32 v31, -v18, v23, v19
	v_fmac_f32_e32 v23, v31, v22
	v_fma_f32 v18, -v18, v23, v19
	v_div_fmas_f32 v18, v18, v22, v23
	v_div_fixup_f32 v18, v18, v24, v25
	v_fmac_f32_e32 v24, v25, v18
	v_div_scale_f32 v19, s[12:13], v24, v24, 1.0
	v_div_scale_f32 v22, vcc, 1.0, v24, 1.0
	v_rcp_f32_e32 v23, v19
	v_fma_f32 v25, -v19, v23, 1.0
	v_fmac_f32_e32 v23, v25, v23
	v_mul_f32_e32 v25, v22, v23
	v_fma_f32 v31, -v19, v25, v22
	v_fmac_f32_e32 v25, v31, v23
	v_fma_f32 v19, -v19, v25, v22
	v_div_fmas_f32 v19, v19, v23, v25
	v_fma_f32 v22, v21, v18, v20
	v_fma_f32 v18, -v20, v18, v21
	v_div_fixup_f32 v19, v19, v24, 1.0
	v_mul_f32_e32 v32, v22, v19
	v_mul_f32_e32 v31, v18, v19
                                        ; implicit-def: $vgpr18_vgpr19_vgpr20_vgpr21
                                        ; implicit-def: $vgpr22
                                        ; implicit-def: $vgpr18
.LBB74_148:                             ;   in Loop: Header=BB74_114 Depth=1
	s_andn2_saveexec_b64 s[12:13], s[2:3]
	s_cbranch_execz .LBB74_150
; %bb.149:                              ;   in Loop: Header=BB74_114 Depth=1
	v_div_scale_f32 v19, s[2:3], v22, v22, v20
	v_div_scale_f32 v23, s[2:3], v18, v18, v21
	v_div_scale_f32 v24, vcc, v20, v22, v20
	v_div_scale_f32 v25, s[2:3], v21, v18, v21
	v_rcp_f32_e32 v31, v19
	v_rcp_f32_e32 v32, v23
	v_fma_f32 v33, -v19, v31, 1.0
	v_fmac_f32_e32 v31, v33, v31
	v_fma_f32 v34, -v23, v32, 1.0
	v_fmac_f32_e32 v32, v34, v32
	v_mul_f32_e32 v33, v24, v31
	v_mul_f32_e32 v34, v25, v32
	v_fma_f32 v35, -v19, v33, v24
	v_fma_f32 v36, -v23, v34, v25
	v_fmac_f32_e32 v33, v35, v31
	v_fmac_f32_e32 v34, v36, v32
	v_fma_f32 v19, -v19, v33, v24
	v_fma_f32 v23, -v23, v34, v25
	v_div_fmas_f32 v19, v19, v31, v33
	s_mov_b64 vcc, s[2:3]
	v_div_fmas_f32 v23, v23, v32, v34
	v_div_fixup_f32 v32, v19, v22, v20
	v_div_fixup_f32 v31, v23, v18, v21
.LBB74_150:                             ;   in Loop: Header=BB74_114 Depth=1
	s_or_b64 exec, exec, s[12:13]
                                        ; implicit-def: $vgpr22_vgpr23_vgpr24_vgpr25
                                        ; implicit-def: $vgpr18_vgpr19_vgpr20_vgpr21
.LBB74_151:                             ;   in Loop: Header=BB74_114 Depth=1
	s_andn2_saveexec_b64 s[2:3], s[4:5]
	s_cbranch_execz .LBB74_153
; %bb.152:                              ;   in Loop: Header=BB74_114 Depth=1
	v_div_scale_f32 v18, s[4:5], v25, v25, v24
	v_div_scale_f32 v19, vcc, v24, v25, v24
	v_rcp_f32_e32 v22, v18
	v_fma_f32 v23, -v18, v22, 1.0
	v_fmac_f32_e32 v22, v23, v22
	v_mul_f32_e32 v23, v19, v22
	v_fma_f32 v31, -v18, v23, v19
	v_fmac_f32_e32 v23, v31, v22
	v_fma_f32 v18, -v18, v23, v19
	v_div_fmas_f32 v18, v18, v22, v23
	v_div_fixup_f32 v18, v18, v25, v24
	v_fmac_f32_e32 v25, v24, v18
	v_div_scale_f32 v19, s[4:5], v25, v25, 1.0
	v_div_scale_f32 v22, vcc, 1.0, v25, 1.0
	v_rcp_f32_e32 v23, v19
	v_fma_f32 v24, -v19, v23, 1.0
	v_fmac_f32_e32 v23, v24, v23
	v_mul_f32_e32 v24, v22, v23
	v_fma_f32 v31, -v19, v24, v22
	v_fmac_f32_e32 v24, v31, v23
	v_fma_f32 v19, -v19, v24, v22
	v_div_fmas_f32 v19, v19, v23, v24
	v_fma_f32 v22, v20, v18, v21
	v_fma_f32 v18, v21, v18, -v20
	v_div_fixup_f32 v19, v19, v25, 1.0
	v_mul_f32_e32 v32, v22, v19
	v_mul_f32_e32 v31, v18, v19
.LBB74_153:                             ;   in Loop: Header=BB74_114 Depth=1
	s_or_b64 exec, exec, s[2:3]
.LBB74_154:                             ;   in Loop: Header=BB74_114 Depth=1
	v_cmp_gt_f32_e32 vcc, 0, v14
	v_cndmask_b32_e64 v20, v14, -v14, vcc
	v_cmp_gt_f32_e32 vcc, 0, v15
	v_cndmask_b32_e64 v21, v15, -v15, vcc
	v_cmp_ge_f32_e64 s[2:3], v20, v21
	s_and_b64 vcc, exec, s[0:1]
	s_mov_b64 s[4:5], -1
                                        ; implicit-def: $vgpr18
                                        ; implicit-def: $vgpr19
	s_cbranch_vccnz .LBB74_164
; %bb.155:                              ;   in Loop: Header=BB74_114 Depth=1
                                        ; implicit-def: $vgpr18
                                        ; implicit-def: $vgpr22
	s_and_saveexec_b64 s[4:5], s[2:3]
	s_xor_b64 s[12:13], exec, s[4:5]
	s_cbranch_execz .LBB74_161
; %bb.156:                              ;   in Loop: Header=BB74_114 Depth=1
	v_cmp_neq_f32_e32 vcc, 0, v14
	v_cmp_neq_f32_e64 s[4:5], 0, v15
	s_or_b64 s[4:5], vcc, s[4:5]
                                        ; implicit-def: $vgpr18
                                        ; implicit-def: $vgpr22
	s_and_saveexec_b64 s[14:15], s[4:5]
	s_xor_b64 s[4:5], exec, s[14:15]
	s_cbranch_execz .LBB74_158
; %bb.157:                              ;   in Loop: Header=BB74_114 Depth=1
	v_div_scale_f32 v18, s[14:15], v14, v14, v15
	v_div_scale_f32 v19, vcc, v15, v14, v15
	v_rcp_f32_e32 v22, v18
	v_fma_f32 v23, -v18, v22, 1.0
	v_fmac_f32_e32 v22, v23, v22
	v_mul_f32_e32 v23, v19, v22
	v_fma_f32 v24, -v18, v23, v19
	v_fmac_f32_e32 v23, v24, v22
	v_fma_f32 v18, -v18, v23, v19
	v_div_fmas_f32 v18, v18, v22, v23
	v_div_fixup_f32 v18, v18, v14, v15
	v_fma_f32 v19, v15, v18, v14
	v_div_scale_f32 v22, s[14:15], v19, v19, 1.0
	v_div_scale_f32 v23, vcc, 1.0, v19, 1.0
	v_rcp_f32_e32 v24, v22
	v_fma_f32 v25, -v22, v24, 1.0
	v_fmac_f32_e32 v24, v25, v24
	v_mul_f32_e32 v25, v23, v24
	v_fma_f32 v33, -v22, v25, v23
	v_fmac_f32_e32 v25, v33, v24
	v_fma_f32 v22, -v22, v25, v23
	v_div_fmas_f32 v22, v22, v24, v25
	v_fma_f32 v23, v11, v18, v10
	v_fma_f32 v18, -v10, v18, v11
	v_div_fixup_f32 v19, v22, v19, 1.0
	v_mul_f32_e32 v22, v23, v19
	v_mul_f32_e32 v18, v18, v19
.LBB74_158:                             ;   in Loop: Header=BB74_114 Depth=1
	s_andn2_saveexec_b64 s[14:15], s[4:5]
	s_cbranch_execz .LBB74_160
; %bb.159:                              ;   in Loop: Header=BB74_114 Depth=1
	v_div_scale_f32 v18, s[4:5], v20, v20, v10
	v_div_scale_f32 v19, s[4:5], v21, v21, v11
	v_div_scale_f32 v22, vcc, v10, v20, v10
	v_div_scale_f32 v23, s[4:5], v11, v21, v11
	v_rcp_f32_e32 v24, v18
	v_rcp_f32_e32 v25, v19
	v_fma_f32 v33, -v18, v24, 1.0
	v_fmac_f32_e32 v24, v33, v24
	v_fma_f32 v34, -v19, v25, 1.0
	v_fmac_f32_e32 v25, v34, v25
	v_mul_f32_e32 v33, v22, v24
	v_mul_f32_e32 v34, v23, v25
	v_fma_f32 v35, -v18, v33, v22
	v_fma_f32 v36, -v19, v34, v23
	v_fmac_f32_e32 v33, v35, v24
	v_fmac_f32_e32 v34, v36, v25
	v_fma_f32 v18, -v18, v33, v22
	v_fma_f32 v19, -v19, v34, v23
	v_div_fmas_f32 v18, v18, v24, v33
	s_mov_b64 vcc, s[4:5]
	v_div_fmas_f32 v19, v19, v25, v34
	v_div_fixup_f32 v22, v18, v20, v10
	v_div_fixup_f32 v18, v19, v21, v11
.LBB74_160:                             ;   in Loop: Header=BB74_114 Depth=1
	s_or_b64 exec, exec, s[14:15]
.LBB74_161:                             ;   in Loop: Header=BB74_114 Depth=1
	s_andn2_saveexec_b64 s[4:5], s[12:13]
	s_cbranch_execz .LBB74_163
; %bb.162:                              ;   in Loop: Header=BB74_114 Depth=1
	v_div_scale_f32 v18, s[12:13], v15, v15, v14
	v_div_scale_f32 v19, vcc, v14, v15, v14
	v_rcp_f32_e32 v22, v18
	v_fma_f32 v23, -v18, v22, 1.0
	v_fmac_f32_e32 v22, v23, v22
	v_mul_f32_e32 v23, v19, v22
	v_fma_f32 v24, -v18, v23, v19
	v_fmac_f32_e32 v23, v24, v22
	v_fma_f32 v18, -v18, v23, v19
	v_div_fmas_f32 v18, v18, v22, v23
	v_div_fixup_f32 v18, v18, v15, v14
	v_fma_f32 v19, v14, v18, v15
	v_div_scale_f32 v22, s[12:13], v19, v19, 1.0
	v_div_scale_f32 v23, vcc, 1.0, v19, 1.0
	v_rcp_f32_e32 v24, v22
	v_fma_f32 v25, -v22, v24, 1.0
	v_fmac_f32_e32 v24, v25, v24
	v_mul_f32_e32 v25, v23, v24
	v_fma_f32 v33, -v22, v25, v23
	v_fmac_f32_e32 v25, v33, v24
	v_fma_f32 v22, -v22, v25, v23
	v_div_fmas_f32 v22, v22, v24, v25
	v_fma_f32 v23, v10, v18, v11
	v_fma_f32 v18, v11, v18, -v10
	v_div_fixup_f32 v19, v22, v19, 1.0
	v_mul_f32_e32 v22, v23, v19
	v_mul_f32_e32 v18, v18, v19
.LBB74_163:                             ;   in Loop: Header=BB74_114 Depth=1
	s_or_b64 exec, exec, s[4:5]
	v_mul_f32_e32 v19, s17, v18
	v_mul_f32_e32 v18, s16, v18
	v_fma_f32 v19, v22, s16, -v19
	v_fmac_f32_e32 v18, s17, v22
	s_mov_b64 s[4:5], 0
.LBB74_164:                             ;   in Loop: Header=BB74_114 Depth=1
	s_and_b64 vcc, exec, s[4:5]
	s_cbranch_vccz .LBB74_174
; %bb.165:                              ;   in Loop: Header=BB74_114 Depth=1
                                        ; implicit-def: $vgpr18
                                        ; implicit-def: $vgpr19
	s_and_saveexec_b64 s[4:5], s[2:3]
	s_xor_b64 s[4:5], exec, s[4:5]
	s_cbranch_execz .LBB74_171
; %bb.166:                              ;   in Loop: Header=BB74_114 Depth=1
	v_cmp_neq_f32_e32 vcc, 0, v14
	v_cmp_neq_f32_e64 s[2:3], 0, v15
	s_or_b64 s[2:3], vcc, s[2:3]
                                        ; implicit-def: $vgpr18
                                        ; implicit-def: $vgpr19
	s_and_saveexec_b64 s[12:13], s[2:3]
	s_xor_b64 s[2:3], exec, s[12:13]
	s_cbranch_execz .LBB74_168
; %bb.167:                              ;   in Loop: Header=BB74_114 Depth=1
	v_div_scale_f32 v18, s[12:13], v14, v14, v15
	v_div_scale_f32 v19, vcc, v15, v14, v15
	v_rcp_f32_e32 v20, v18
	v_fma_f32 v21, -v18, v20, 1.0
	v_fmac_f32_e32 v20, v21, v20
	v_mul_f32_e32 v21, v19, v20
	v_fma_f32 v22, -v18, v21, v19
	v_fmac_f32_e32 v21, v22, v20
	v_fma_f32 v18, -v18, v21, v19
	v_div_fmas_f32 v18, v18, v20, v21
	v_div_fixup_f32 v18, v18, v14, v15
	v_fma_f32 v19, v15, v18, v14
	v_div_scale_f32 v20, s[12:13], v19, v19, 1.0
	v_div_scale_f32 v21, vcc, 1.0, v19, 1.0
	v_rcp_f32_e32 v22, v20
	v_fma_f32 v23, -v20, v22, 1.0
	v_fmac_f32_e32 v22, v23, v22
	v_mul_f32_e32 v23, v21, v22
	v_fma_f32 v24, -v20, v23, v21
	v_fmac_f32_e32 v23, v24, v22
	v_fma_f32 v20, -v20, v23, v21
	v_div_fmas_f32 v20, v20, v22, v23
	v_fma_f32 v21, v11, v18, v10
	v_fma_f32 v18, -v10, v18, v11
	v_div_fixup_f32 v20, v20, v19, 1.0
	v_mul_f32_e32 v19, v21, v20
	v_mul_f32_e32 v18, v18, v20
                                        ; implicit-def: $vgpr20
                                        ; implicit-def: $vgpr21
.LBB74_168:                             ;   in Loop: Header=BB74_114 Depth=1
	s_andn2_saveexec_b64 s[12:13], s[2:3]
	s_cbranch_execz .LBB74_170
; %bb.169:                              ;   in Loop: Header=BB74_114 Depth=1
	v_div_scale_f32 v18, s[2:3], v20, v20, v10
	v_div_scale_f32 v19, s[2:3], v21, v21, v11
	v_div_scale_f32 v22, vcc, v10, v20, v10
	v_div_scale_f32 v23, s[2:3], v11, v21, v11
	v_rcp_f32_e32 v24, v18
	v_rcp_f32_e32 v25, v19
	v_fma_f32 v33, -v18, v24, 1.0
	v_fmac_f32_e32 v24, v33, v24
	v_fma_f32 v34, -v19, v25, 1.0
	v_fmac_f32_e32 v25, v34, v25
	v_mul_f32_e32 v33, v22, v24
	v_mul_f32_e32 v34, v23, v25
	v_fma_f32 v35, -v18, v33, v22
	v_fma_f32 v36, -v19, v34, v23
	v_fmac_f32_e32 v33, v35, v24
	v_fmac_f32_e32 v34, v36, v25
	v_fma_f32 v18, -v18, v33, v22
	v_fma_f32 v19, -v19, v34, v23
	v_div_fmas_f32 v18, v18, v24, v33
	s_mov_b64 vcc, s[2:3]
	v_div_fmas_f32 v22, v19, v25, v34
	v_div_fixup_f32 v19, v18, v20, v10
	v_div_fixup_f32 v18, v22, v21, v11
.LBB74_170:                             ;   in Loop: Header=BB74_114 Depth=1
	s_or_b64 exec, exec, s[12:13]
.LBB74_171:                             ;   in Loop: Header=BB74_114 Depth=1
	s_andn2_saveexec_b64 s[2:3], s[4:5]
	s_cbranch_execz .LBB74_173
; %bb.172:                              ;   in Loop: Header=BB74_114 Depth=1
	v_div_scale_f32 v18, s[4:5], v15, v15, v14
	v_div_scale_f32 v19, vcc, v14, v15, v14
	v_rcp_f32_e32 v20, v18
	v_fma_f32 v21, -v18, v20, 1.0
	v_fmac_f32_e32 v20, v21, v20
	v_mul_f32_e32 v21, v19, v20
	v_fma_f32 v22, -v18, v21, v19
	v_fmac_f32_e32 v21, v22, v20
	v_fma_f32 v18, -v18, v21, v19
	v_div_fmas_f32 v18, v18, v20, v21
	v_div_fixup_f32 v18, v18, v15, v14
	v_fma_f32 v14, v14, v18, v15
	v_div_scale_f32 v15, s[4:5], v14, v14, 1.0
	v_div_scale_f32 v19, vcc, 1.0, v14, 1.0
	v_rcp_f32_e32 v20, v15
	v_fma_f32 v21, -v15, v20, 1.0
	v_fmac_f32_e32 v20, v21, v20
	v_mul_f32_e32 v21, v19, v20
	v_fma_f32 v22, -v15, v21, v19
	v_fmac_f32_e32 v21, v22, v20
	v_fma_f32 v15, -v15, v21, v19
	v_div_fmas_f32 v15, v15, v20, v21
	v_fma_f32 v19, v10, v18, v11
	v_fma_f32 v10, v11, v18, -v10
	v_div_fixup_f32 v11, v15, v14, 1.0
	v_mul_f32_e32 v19, v19, v11
	v_mul_f32_e32 v18, v10, v11
.LBB74_173:                             ;   in Loop: Header=BB74_114 Depth=1
	s_or_b64 exec, exec, s[2:3]
.LBB74_174:                             ;   in Loop: Header=BB74_114 Depth=1
	v_cmp_gt_f32_e32 vcc, 0, v16
	v_cndmask_b32_e64 v14, v16, -v16, vcc
	v_cmp_gt_f32_e32 vcc, 0, v17
	v_cndmask_b32_e64 v10, v17, -v17, vcc
	v_cmp_ge_f32_e64 s[2:3], v14, v10
	s_and_b64 vcc, exec, s[0:1]
	s_mov_b64 s[0:1], -1
                                        ; implicit-def: $vgpr20
                                        ; implicit-def: $vgpr21
	s_cbranch_vccnz .LBB74_184
; %bb.175:                              ;   in Loop: Header=BB74_114 Depth=1
                                        ; implicit-def: $vgpr15
                                        ; implicit-def: $vgpr11
	s_and_saveexec_b64 s[0:1], s[2:3]
	s_xor_b64 s[4:5], exec, s[0:1]
	s_cbranch_execz .LBB74_181
; %bb.176:                              ;   in Loop: Header=BB74_114 Depth=1
	v_cmp_neq_f32_e32 vcc, 0, v16
	v_cmp_neq_f32_e64 s[0:1], 0, v17
	s_or_b64 s[0:1], vcc, s[0:1]
                                        ; implicit-def: $vgpr15
                                        ; implicit-def: $vgpr11
	s_and_saveexec_b64 s[12:13], s[0:1]
	s_xor_b64 s[0:1], exec, s[12:13]
	s_cbranch_execz .LBB74_178
; %bb.177:                              ;   in Loop: Header=BB74_114 Depth=1
	v_div_scale_f32 v11, s[12:13], v16, v16, v17
	v_div_scale_f32 v15, vcc, v17, v16, v17
	v_rcp_f32_e32 v20, v11
	v_fma_f32 v21, -v11, v20, 1.0
	v_fmac_f32_e32 v20, v21, v20
	v_mul_f32_e32 v21, v15, v20
	v_fma_f32 v22, -v11, v21, v15
	v_fmac_f32_e32 v21, v22, v20
	v_fma_f32 v11, -v11, v21, v15
	v_div_fmas_f32 v11, v11, v20, v21
	v_div_fixup_f32 v11, v11, v16, v17
	v_fma_f32 v15, v17, v11, v16
	v_div_scale_f32 v20, s[12:13], v15, v15, 1.0
	v_div_scale_f32 v21, vcc, 1.0, v15, 1.0
	v_rcp_f32_e32 v22, v20
	v_fma_f32 v23, -v20, v22, 1.0
	v_fmac_f32_e32 v22, v23, v22
	v_mul_f32_e32 v23, v21, v22
	v_fma_f32 v24, -v20, v23, v21
	v_fmac_f32_e32 v23, v24, v22
	v_fma_f32 v20, -v20, v23, v21
	v_div_fmas_f32 v20, v20, v22, v23
	v_fma_f32 v21, v13, v11, v12
	v_fma_f32 v22, -v12, v11, v13
	v_div_fixup_f32 v15, v20, v15, 1.0
	v_mul_f32_e32 v11, v21, v15
	v_mul_f32_e32 v15, v22, v15
.LBB74_178:                             ;   in Loop: Header=BB74_114 Depth=1
	s_andn2_saveexec_b64 s[12:13], s[0:1]
	s_cbranch_execz .LBB74_180
; %bb.179:                              ;   in Loop: Header=BB74_114 Depth=1
	v_div_scale_f32 v11, s[0:1], v14, v14, v12
	v_div_scale_f32 v15, s[0:1], v10, v10, v13
	v_div_scale_f32 v20, vcc, v12, v14, v12
	v_div_scale_f32 v21, s[0:1], v13, v10, v13
	v_rcp_f32_e32 v22, v11
	v_rcp_f32_e32 v23, v15
	v_fma_f32 v24, -v11, v22, 1.0
	v_fmac_f32_e32 v22, v24, v22
	v_fma_f32 v25, -v15, v23, 1.0
	v_fmac_f32_e32 v23, v25, v23
	v_mul_f32_e32 v24, v20, v22
	v_mul_f32_e32 v25, v21, v23
	v_fma_f32 v33, -v11, v24, v20
	v_fma_f32 v34, -v15, v25, v21
	v_fmac_f32_e32 v24, v33, v22
	v_fmac_f32_e32 v25, v34, v23
	v_fma_f32 v11, -v11, v24, v20
	v_fma_f32 v15, -v15, v25, v21
	v_div_fmas_f32 v11, v11, v22, v24
	s_mov_b64 vcc, s[0:1]
	v_div_fmas_f32 v15, v15, v23, v25
	v_div_fixup_f32 v11, v11, v14, v12
	v_div_fixup_f32 v15, v15, v10, v13
.LBB74_180:                             ;   in Loop: Header=BB74_114 Depth=1
	s_or_b64 exec, exec, s[12:13]
.LBB74_181:                             ;   in Loop: Header=BB74_114 Depth=1
	s_andn2_saveexec_b64 s[0:1], s[4:5]
	s_cbranch_execz .LBB74_183
; %bb.182:                              ;   in Loop: Header=BB74_114 Depth=1
	v_div_scale_f32 v11, s[4:5], v17, v17, v16
	v_div_scale_f32 v15, vcc, v16, v17, v16
	v_rcp_f32_e32 v20, v11
	v_fma_f32 v21, -v11, v20, 1.0
	v_fmac_f32_e32 v20, v21, v20
	v_mul_f32_e32 v21, v15, v20
	v_fma_f32 v22, -v11, v21, v15
	v_fmac_f32_e32 v21, v22, v20
	v_fma_f32 v11, -v11, v21, v15
	v_div_fmas_f32 v11, v11, v20, v21
	v_div_fixup_f32 v11, v11, v17, v16
	v_fma_f32 v15, v16, v11, v17
	v_div_scale_f32 v20, s[4:5], v15, v15, 1.0
	v_div_scale_f32 v21, vcc, 1.0, v15, 1.0
	v_rcp_f32_e32 v22, v20
	v_fma_f32 v23, -v20, v22, 1.0
	v_fmac_f32_e32 v22, v23, v22
	v_mul_f32_e32 v23, v21, v22
	v_fma_f32 v24, -v20, v23, v21
	v_fmac_f32_e32 v23, v24, v22
	v_fma_f32 v20, -v20, v23, v21
	v_div_fmas_f32 v20, v20, v22, v23
	v_fma_f32 v21, v12, v11, v13
	v_fma_f32 v22, v13, v11, -v12
	v_div_fixup_f32 v15, v20, v15, 1.0
	v_mul_f32_e32 v11, v21, v15
	v_mul_f32_e32 v15, v22, v15
.LBB74_183:                             ;   in Loop: Header=BB74_114 Depth=1
	s_or_b64 exec, exec, s[0:1]
	v_mul_f32_e32 v20, s17, v15
	v_fma_f32 v21, v11, s16, -v20
	v_mul_f32_e32 v20, s16, v15
	v_fmac_f32_e32 v20, s17, v11
	s_mov_b64 s[0:1], 0
.LBB74_184:                             ;   in Loop: Header=BB74_114 Depth=1
	s_and_b64 vcc, exec, s[0:1]
	s_cbranch_vccz .LBB74_113
; %bb.185:                              ;   in Loop: Header=BB74_114 Depth=1
                                        ; implicit-def: $vgpr20
                                        ; implicit-def: $vgpr21
	s_and_saveexec_b64 s[0:1], s[2:3]
	s_xor_b64 s[2:3], exec, s[0:1]
	s_cbranch_execz .LBB74_191
; %bb.186:                              ;   in Loop: Header=BB74_114 Depth=1
	v_cmp_neq_f32_e32 vcc, 0, v16
	v_cmp_neq_f32_e64 s[0:1], 0, v17
	s_or_b64 s[0:1], vcc, s[0:1]
                                        ; implicit-def: $vgpr20
                                        ; implicit-def: $vgpr21
	s_and_saveexec_b64 s[4:5], s[0:1]
	s_xor_b64 s[0:1], exec, s[4:5]
	s_cbranch_execz .LBB74_188
; %bb.187:                              ;   in Loop: Header=BB74_114 Depth=1
	v_div_scale_f32 v10, s[4:5], v16, v16, v17
	v_div_scale_f32 v11, vcc, v17, v16, v17
	v_rcp_f32_e32 v14, v10
	v_fma_f32 v15, -v10, v14, 1.0
	v_fmac_f32_e32 v14, v15, v14
	v_mul_f32_e32 v15, v11, v14
	v_fma_f32 v20, -v10, v15, v11
	v_fmac_f32_e32 v15, v20, v14
	v_fma_f32 v10, -v10, v15, v11
	v_div_fmas_f32 v10, v10, v14, v15
	v_div_fixup_f32 v10, v10, v16, v17
	v_fmac_f32_e32 v16, v17, v10
	v_div_scale_f32 v11, s[4:5], v16, v16, 1.0
	v_div_scale_f32 v14, vcc, 1.0, v16, 1.0
	v_rcp_f32_e32 v15, v11
	v_fma_f32 v17, -v11, v15, 1.0
	v_fmac_f32_e32 v15, v17, v15
	v_mul_f32_e32 v17, v14, v15
	v_fma_f32 v20, -v11, v17, v14
	v_fmac_f32_e32 v17, v20, v15
	v_fma_f32 v11, -v11, v17, v14
	v_div_fmas_f32 v11, v11, v15, v17
	v_fma_f32 v14, v13, v10, v12
	v_fma_f32 v10, -v12, v10, v13
	v_div_fixup_f32 v11, v11, v16, 1.0
	v_mul_f32_e32 v21, v14, v11
	v_mul_f32_e32 v20, v10, v11
                                        ; implicit-def: $vgpr10_vgpr11_vgpr12_vgpr13
                                        ; implicit-def: $vgpr14
                                        ; implicit-def: $vgpr10
.LBB74_188:                             ;   in Loop: Header=BB74_114 Depth=1
	s_andn2_saveexec_b64 s[4:5], s[0:1]
	s_cbranch_execz .LBB74_190
; %bb.189:                              ;   in Loop: Header=BB74_114 Depth=1
	v_div_scale_f32 v11, s[0:1], v14, v14, v12
	v_div_scale_f32 v15, s[0:1], v10, v10, v13
	v_div_scale_f32 v16, vcc, v12, v14, v12
	v_div_scale_f32 v17, s[0:1], v13, v10, v13
	v_rcp_f32_e32 v20, v11
	v_rcp_f32_e32 v21, v15
	v_fma_f32 v22, -v11, v20, 1.0
	v_fmac_f32_e32 v20, v22, v20
	v_fma_f32 v23, -v15, v21, 1.0
	v_fmac_f32_e32 v21, v23, v21
	v_mul_f32_e32 v22, v16, v20
	v_mul_f32_e32 v23, v17, v21
	v_fma_f32 v24, -v11, v22, v16
	v_fma_f32 v25, -v15, v23, v17
	v_fmac_f32_e32 v22, v24, v20
	v_fmac_f32_e32 v23, v25, v21
	v_fma_f32 v11, -v11, v22, v16
	v_fma_f32 v15, -v15, v23, v17
	v_div_fmas_f32 v11, v11, v20, v22
	s_mov_b64 vcc, s[0:1]
	v_div_fmas_f32 v15, v15, v21, v23
	v_div_fixup_f32 v21, v11, v14, v12
	v_div_fixup_f32 v20, v15, v10, v13
.LBB74_190:                             ;   in Loop: Header=BB74_114 Depth=1
	s_or_b64 exec, exec, s[4:5]
                                        ; implicit-def: $vgpr14_vgpr15_vgpr16_vgpr17
                                        ; implicit-def: $vgpr10_vgpr11_vgpr12_vgpr13
.LBB74_191:                             ;   in Loop: Header=BB74_114 Depth=1
	s_andn2_saveexec_b64 s[0:1], s[2:3]
	s_cbranch_execz .LBB74_112
; %bb.192:                              ;   in Loop: Header=BB74_114 Depth=1
	v_div_scale_f32 v10, s[2:3], v17, v17, v16
	v_div_scale_f32 v11, vcc, v16, v17, v16
	v_rcp_f32_e32 v14, v10
	v_fma_f32 v15, -v10, v14, 1.0
	v_fmac_f32_e32 v14, v15, v14
	v_mul_f32_e32 v15, v11, v14
	v_fma_f32 v20, -v10, v15, v11
	v_fmac_f32_e32 v15, v20, v14
	v_fma_f32 v10, -v10, v15, v11
	v_div_fmas_f32 v10, v10, v14, v15
	v_div_fixup_f32 v10, v10, v17, v16
	v_fmac_f32_e32 v17, v16, v10
	v_div_scale_f32 v11, s[2:3], v17, v17, 1.0
	v_div_scale_f32 v14, vcc, 1.0, v17, 1.0
	v_rcp_f32_e32 v15, v11
	v_fma_f32 v16, -v11, v15, 1.0
	v_fmac_f32_e32 v15, v16, v15
	v_mul_f32_e32 v16, v14, v15
	v_fma_f32 v20, -v11, v16, v14
	v_fmac_f32_e32 v16, v20, v15
	v_fma_f32 v11, -v11, v16, v14
	v_div_fmas_f32 v11, v11, v15, v16
	v_fma_f32 v14, v12, v10, v13
	v_fma_f32 v10, v13, v10, -v12
	v_div_fixup_f32 v11, v11, v17, 1.0
	v_mul_f32_e32 v21, v14, v11
	v_mul_f32_e32 v20, v10, v11
	s_branch .LBB74_112
.LBB74_193:
	s_endpgm
	.section	.rodata,"a",@progbits
	.p2align	6, 0x0
	.amdhsa_kernel _ZN2at6native12_GLOBAL__N_125multi_tensor_apply_kernelINS1_18TensorListMetadataILi3EEENS1_24PointwiseOpScalarFunctorIN3c107complexIfEELi3ELi3ELi0EEEJSt7dividesIS8_ES8_EEEvT_T0_DpT1_
		.amdhsa_group_segment_fixed_size 0
		.amdhsa_private_segment_fixed_size 0
		.amdhsa_kernarg_size 3416
		.amdhsa_user_sgpr_count 6
		.amdhsa_user_sgpr_private_segment_buffer 1
		.amdhsa_user_sgpr_dispatch_ptr 0
		.amdhsa_user_sgpr_queue_ptr 0
		.amdhsa_user_sgpr_kernarg_segment_ptr 1
		.amdhsa_user_sgpr_dispatch_id 0
		.amdhsa_user_sgpr_flat_scratch_init 0
		.amdhsa_user_sgpr_private_segment_size 0
		.amdhsa_uses_dynamic_stack 0
		.amdhsa_system_sgpr_private_segment_wavefront_offset 0
		.amdhsa_system_sgpr_workgroup_id_x 1
		.amdhsa_system_sgpr_workgroup_id_y 0
		.amdhsa_system_sgpr_workgroup_id_z 0
		.amdhsa_system_sgpr_workgroup_info 0
		.amdhsa_system_vgpr_workitem_id 0
		.amdhsa_next_free_vgpr 64
		.amdhsa_next_free_sgpr 43
		.amdhsa_reserve_vcc 1
		.amdhsa_reserve_flat_scratch 0
		.amdhsa_float_round_mode_32 0
		.amdhsa_float_round_mode_16_64 0
		.amdhsa_float_denorm_mode_32 3
		.amdhsa_float_denorm_mode_16_64 3
		.amdhsa_dx10_clamp 1
		.amdhsa_ieee_mode 1
		.amdhsa_fp16_overflow 0
		.amdhsa_exception_fp_ieee_invalid_op 0
		.amdhsa_exception_fp_denorm_src 0
		.amdhsa_exception_fp_ieee_div_zero 0
		.amdhsa_exception_fp_ieee_overflow 0
		.amdhsa_exception_fp_ieee_underflow 0
		.amdhsa_exception_fp_ieee_inexact 0
		.amdhsa_exception_int_div_zero 0
	.end_amdhsa_kernel
	.section	.text._ZN2at6native12_GLOBAL__N_125multi_tensor_apply_kernelINS1_18TensorListMetadataILi3EEENS1_24PointwiseOpScalarFunctorIN3c107complexIfEELi3ELi3ELi0EEEJSt7dividesIS8_ES8_EEEvT_T0_DpT1_,"axG",@progbits,_ZN2at6native12_GLOBAL__N_125multi_tensor_apply_kernelINS1_18TensorListMetadataILi3EEENS1_24PointwiseOpScalarFunctorIN3c107complexIfEELi3ELi3ELi0EEEJSt7dividesIS8_ES8_EEEvT_T0_DpT1_,comdat
.Lfunc_end74:
	.size	_ZN2at6native12_GLOBAL__N_125multi_tensor_apply_kernelINS1_18TensorListMetadataILi3EEENS1_24PointwiseOpScalarFunctorIN3c107complexIfEELi3ELi3ELi0EEEJSt7dividesIS8_ES8_EEEvT_T0_DpT1_, .Lfunc_end74-_ZN2at6native12_GLOBAL__N_125multi_tensor_apply_kernelINS1_18TensorListMetadataILi3EEENS1_24PointwiseOpScalarFunctorIN3c107complexIfEELi3ELi3ELi0EEEJSt7dividesIS8_ES8_EEEvT_T0_DpT1_
                                        ; -- End function
	.set _ZN2at6native12_GLOBAL__N_125multi_tensor_apply_kernelINS1_18TensorListMetadataILi3EEENS1_24PointwiseOpScalarFunctorIN3c107complexIfEELi3ELi3ELi0EEEJSt7dividesIS8_ES8_EEEvT_T0_DpT1_.num_vgpr, 64
	.set _ZN2at6native12_GLOBAL__N_125multi_tensor_apply_kernelINS1_18TensorListMetadataILi3EEENS1_24PointwiseOpScalarFunctorIN3c107complexIfEELi3ELi3ELi0EEEJSt7dividesIS8_ES8_EEEvT_T0_DpT1_.num_agpr, 0
	.set _ZN2at6native12_GLOBAL__N_125multi_tensor_apply_kernelINS1_18TensorListMetadataILi3EEENS1_24PointwiseOpScalarFunctorIN3c107complexIfEELi3ELi3ELi0EEEJSt7dividesIS8_ES8_EEEvT_T0_DpT1_.numbered_sgpr, 43
	.set _ZN2at6native12_GLOBAL__N_125multi_tensor_apply_kernelINS1_18TensorListMetadataILi3EEENS1_24PointwiseOpScalarFunctorIN3c107complexIfEELi3ELi3ELi0EEEJSt7dividesIS8_ES8_EEEvT_T0_DpT1_.num_named_barrier, 0
	.set _ZN2at6native12_GLOBAL__N_125multi_tensor_apply_kernelINS1_18TensorListMetadataILi3EEENS1_24PointwiseOpScalarFunctorIN3c107complexIfEELi3ELi3ELi0EEEJSt7dividesIS8_ES8_EEEvT_T0_DpT1_.private_seg_size, 0
	.set _ZN2at6native12_GLOBAL__N_125multi_tensor_apply_kernelINS1_18TensorListMetadataILi3EEENS1_24PointwiseOpScalarFunctorIN3c107complexIfEELi3ELi3ELi0EEEJSt7dividesIS8_ES8_EEEvT_T0_DpT1_.uses_vcc, 1
	.set _ZN2at6native12_GLOBAL__N_125multi_tensor_apply_kernelINS1_18TensorListMetadataILi3EEENS1_24PointwiseOpScalarFunctorIN3c107complexIfEELi3ELi3ELi0EEEJSt7dividesIS8_ES8_EEEvT_T0_DpT1_.uses_flat_scratch, 0
	.set _ZN2at6native12_GLOBAL__N_125multi_tensor_apply_kernelINS1_18TensorListMetadataILi3EEENS1_24PointwiseOpScalarFunctorIN3c107complexIfEELi3ELi3ELi0EEEJSt7dividesIS8_ES8_EEEvT_T0_DpT1_.has_dyn_sized_stack, 0
	.set _ZN2at6native12_GLOBAL__N_125multi_tensor_apply_kernelINS1_18TensorListMetadataILi3EEENS1_24PointwiseOpScalarFunctorIN3c107complexIfEELi3ELi3ELi0EEEJSt7dividesIS8_ES8_EEEvT_T0_DpT1_.has_recursion, 0
	.set _ZN2at6native12_GLOBAL__N_125multi_tensor_apply_kernelINS1_18TensorListMetadataILi3EEENS1_24PointwiseOpScalarFunctorIN3c107complexIfEELi3ELi3ELi0EEEJSt7dividesIS8_ES8_EEEvT_T0_DpT1_.has_indirect_call, 0
	.section	.AMDGPU.csdata,"",@progbits
; Kernel info:
; codeLenInByte = 11404
; TotalNumSgprs: 47
; NumVgprs: 64
; ScratchSize: 0
; MemoryBound: 1
; FloatMode: 240
; IeeeMode: 1
; LDSByteSize: 0 bytes/workgroup (compile time only)
; SGPRBlocks: 5
; VGPRBlocks: 15
; NumSGPRsForWavesPerEU: 47
; NumVGPRsForWavesPerEU: 64
; Occupancy: 4
; WaveLimiterHint : 0
; COMPUTE_PGM_RSRC2:SCRATCH_EN: 0
; COMPUTE_PGM_RSRC2:USER_SGPR: 6
; COMPUTE_PGM_RSRC2:TRAP_HANDLER: 0
; COMPUTE_PGM_RSRC2:TGID_X_EN: 1
; COMPUTE_PGM_RSRC2:TGID_Y_EN: 0
; COMPUTE_PGM_RSRC2:TGID_Z_EN: 0
; COMPUTE_PGM_RSRC2:TIDIG_COMP_CNT: 0
	.section	.text._ZN2at6native12_GLOBAL__N_125multi_tensor_apply_kernelINS1_18TensorListMetadataILi3EEENS1_24PointwiseOpScalarFunctorIN3c104HalfELi3ELi3ELi0EEEJSt7dividesIfEfEEEvT_T0_DpT1_,"axG",@progbits,_ZN2at6native12_GLOBAL__N_125multi_tensor_apply_kernelINS1_18TensorListMetadataILi3EEENS1_24PointwiseOpScalarFunctorIN3c104HalfELi3ELi3ELi0EEEJSt7dividesIfEfEEEvT_T0_DpT1_,comdat
	.globl	_ZN2at6native12_GLOBAL__N_125multi_tensor_apply_kernelINS1_18TensorListMetadataILi3EEENS1_24PointwiseOpScalarFunctorIN3c104HalfELi3ELi3ELi0EEEJSt7dividesIfEfEEEvT_T0_DpT1_ ; -- Begin function _ZN2at6native12_GLOBAL__N_125multi_tensor_apply_kernelINS1_18TensorListMetadataILi3EEENS1_24PointwiseOpScalarFunctorIN3c104HalfELi3ELi3ELi0EEEJSt7dividesIfEfEEEvT_T0_DpT1_
	.p2align	8
	.type	_ZN2at6native12_GLOBAL__N_125multi_tensor_apply_kernelINS1_18TensorListMetadataILi3EEENS1_24PointwiseOpScalarFunctorIN3c104HalfELi3ELi3ELi0EEEJSt7dividesIfEfEEEvT_T0_DpT1_,@function
_ZN2at6native12_GLOBAL__N_125multi_tensor_apply_kernelINS1_18TensorListMetadataILi3EEENS1_24PointwiseOpScalarFunctorIN3c104HalfELi3ELi3ELi0EEEJSt7dividesIfEfEEEvT_T0_DpT1_: ; @_ZN2at6native12_GLOBAL__N_125multi_tensor_apply_kernelINS1_18TensorListMetadataILi3EEENS1_24PointwiseOpScalarFunctorIN3c104HalfELi3ELi3ELi0EEEJSt7dividesIfEfEEEvT_T0_DpT1_
; %bb.0:
	v_mov_b32_e32 v1, s6
	global_load_ubyte v1, v1, s[4:5] offset:1536
	s_add_u32 s0, s4, s6
	s_mul_hi_u32 s1, s6, 3
	s_mul_i32 s6, s6, 3
	s_addc_u32 s2, s5, 0
	s_add_u32 s0, s0, s6
	s_addc_u32 s1, s2, s1
	s_load_dword s10, s[0:1], 0x740
	s_load_dword s24, s[4:5], 0xc4c
	s_mov_b32 s1, 0
	s_mov_b32 s17, s1
	s_waitcnt lgkmcnt(0)
	s_ashr_i32 s11, s10, 31
	s_lshl_b64 s[14:15], s[10:11], 17
	s_waitcnt vmcnt(0)
	v_readfirstlane_b32 s0, v1
	s_lshl_b32 s0, s0, 3
	s_load_dwordx2 s[8:9], s[4:5], s0 offset:0x0
	s_load_dwordx2 s[18:19], s[4:5], s0 offset:0x480
	;; [unrolled: 1-line block ×4, first 2 shown]
	s_waitcnt lgkmcnt(0)
	s_add_u32 s25, s8, s14
	s_addc_u32 s26, s9, s15
	s_and_b32 s0, s25, 7
	s_add_u32 s27, s6, s14
	s_addc_u32 s28, s7, s15
	s_add_u32 s29, s2, s14
	s_addc_u32 s30, s3, s15
	s_or_b32 s12, s29, s27
	s_and_b32 s12, s12, 7
	s_cmp_eq_u32 s12, 0
	s_cselect_b64 s[20:21], -1, 0
	s_lshl_b64 s[10:11], s[10:11], 16
	s_sub_u32 s12, s18, s10
	s_subb_u32 s13, s19, s11
	s_and_b32 s16, s18, 3
	s_or_b64 s[0:1], s[0:1], s[16:17]
	s_cmp_eq_u64 s[0:1], 0
	s_cselect_b64 s[0:1], -1, 0
	s_and_b64 s[10:11], s[20:21], s[0:1]
	s_mov_b64 s[0:1], -1
	s_and_b64 vcc, exec, s[10:11]
	s_cbranch_vccnz .LBB75_29
; %bb.1:
	v_cmp_lt_i64_e64 s[0:1], s[12:13], 1
	s_and_b64 vcc, exec, s[0:1]
	s_cbranch_vccnz .LBB75_28
; %bb.2:
	v_mov_b32_e32 v1, 0x10000
	s_load_dword s10, s[4:5], 0xc5c
	v_mov_b32_e32 v2, 0
	v_cmp_lt_i64_e32 vcc, s[12:13], v[1:2]
	v_mov_b32_e32 v18, 0
	s_and_b64 s[0:1], vcc, exec
	s_cselect_b32 s17, s13, 0
	s_cselect_b32 s16, s12, 0x10000
	s_waitcnt lgkmcnt(0)
	s_and_b32 s10, s10, 0xffff
	v_lshlrev_b32_e32 v17, 1, v0
	v_mad_u64_u32 v[5:6], s[0:1], s10, 6, v[17:18]
	v_cmp_lt_u64_e32 vcc, s[12:13], v[1:2]
	v_mov_b32_e32 v2, s9
	s_and_b64 s[0:1], vcc, exec
	v_add_co_u32_e32 v1, vcc, s8, v5
	v_addc_co_u32_e32 v2, vcc, v2, v6, vcc
	v_mov_b32_e32 v4, s7
	v_add_co_u32_e32 v3, vcc, s6, v5
	v_addc_co_u32_e32 v4, vcc, v4, v6, vcc
	v_mov_b32_e32 v7, s3
	v_add_co_u32_e32 v5, vcc, s2, v5
	s_cselect_b32 s19, s13, 0
	s_cselect_b32 s18, s12, 0x10000
	s_lshl_b32 s31, s10, 2
	v_addc_co_u32_e32 v6, vcc, v7, v6, vcc
	v_add_co_u32_e32 v11, vcc, s31, v17
	v_addc_co_u32_e64 v12, s[0:1], 0, 0, vcc
	v_mov_b32_e32 v8, s9
	v_add_co_u32_e32 v7, vcc, s8, v11
	v_addc_co_u32_e32 v8, vcc, v8, v12, vcc
	v_mov_b32_e32 v10, s7
	v_add_co_u32_e32 v9, vcc, s6, v11
	v_addc_co_u32_e32 v10, vcc, v10, v12, vcc
	v_mov_b32_e32 v13, s3
	v_add_co_u32_e32 v11, vcc, s2, v11
	v_addc_co_u32_e32 v12, vcc, v13, v12, vcc
	v_mov_b32_e32 v14, s9
	v_add_co_u32_e32 v13, vcc, s8, v17
	v_addc_co_u32_e32 v14, vcc, 0, v14, vcc
	v_mov_b32_e32 v16, s7
	v_add_co_u32_e32 v15, vcc, s6, v17
	v_addc_co_u32_e32 v16, vcc, 0, v16, vcc
	v_mov_b32_e32 v18, s3
	v_add_co_u32_e32 v17, vcc, s2, v17
	v_addc_co_u32_e32 v18, vcc, 0, v18, vcc
	v_add_co_u32_e32 v19, vcc, s10, v0
	v_lshlrev_b32_e32 v25, 1, v19
	s_lshl_b32 s22, s10, 1
	s_mul_i32 s23, s10, 3
	s_lshl_b32 s33, s10, 3
	v_addc_co_u32_e64 v20, s[10:11], 0, 0, vcc
	v_mov_b32_e32 v22, s9
	v_add_co_u32_e32 v21, vcc, s8, v25
	v_addc_co_u32_e32 v22, vcc, 0, v22, vcc
	v_mov_b32_e32 v24, s7
	v_add_co_u32_e32 v23, vcc, s6, v25
	v_addc_co_u32_e32 v24, vcc, 0, v24, vcc
	;; [unrolled: 3-line block ×3, first 2 shown]
	v_add_co_u32_e32 v27, vcc, s23, v0
	v_addc_co_u32_e64 v28, s[2:3], 0, 0, vcc
	v_add_co_u32_e32 v29, vcc, s22, v0
	v_cmp_eq_f32_e64 s[0:1], s24, 1.0
	s_mov_b64 s[20:21], 0
	v_addc_co_u32_e64 v30, s[2:3], 0, 0, vcc
	s_branch .LBB75_4
.LBB75_3:                               ;   in Loop: Header=BB75_4 Depth=1
	s_or_b64 exec, exec, s[2:3]
	v_add_co_u32_e32 v13, vcc, s33, v13
	v_addc_co_u32_e32 v14, vcc, 0, v14, vcc
	v_add_co_u32_e32 v15, vcc, s33, v15
	v_addc_co_u32_e32 v16, vcc, 0, v16, vcc
	;; [unrolled: 2-line block ×10, first 2 shown]
	s_add_u32 s20, s20, s31
	v_add_co_u32_e32 v23, vcc, s33, v23
	v_mov_b32_e32 v32, s17
	s_addc_u32 s21, s21, 0
	v_addc_co_u32_e32 v24, vcc, 0, v24, vcc
	v_mov_b32_e32 v31, s16
	v_cmp_lt_i64_e32 vcc, s[20:21], v[31:32]
	v_add_co_u32_e64 v25, s[2:3], s33, v25
	v_addc_co_u32_e64 v26, s[2:3], 0, v26, s[2:3]
	s_cbranch_vccz .LBB75_28
.LBB75_4:                               ; =>This Inner Loop Header: Depth=1
	v_mov_b32_e32 v32, s21
	v_add_co_u32_e32 v31, vcc, s20, v0
	v_addc_co_u32_e32 v32, vcc, 0, v32, vcc
	v_cmp_gt_u64_e32 vcc, s[18:19], v[31:32]
	v_mov_b32_e32 v33, 0
	v_mov_b32_e32 v32, 0
	s_and_saveexec_b64 s[6:7], vcc
	s_cbranch_execz .LBB75_6
; %bb.5:                                ;   in Loop: Header=BB75_4 Depth=1
	v_mov_b32_e32 v34, s15
	v_add_co_u32_e64 v31, s[2:3], s14, v15
	v_addc_co_u32_e64 v32, s[2:3], v16, v34, s[2:3]
	v_add_co_u32_e64 v33, s[2:3], s14, v13
	v_addc_co_u32_e64 v34, s[2:3], v14, v34, s[2:3]
	global_load_ushort v35, v[33:34], off
	global_load_ushort v36, v[31:32], off
	s_waitcnt vmcnt(1)
	v_cvt_f32_f16_e32 v32, v35
	s_waitcnt vmcnt(0)
	v_cvt_f32_f16_e32 v33, v36
.LBB75_6:                               ;   in Loop: Header=BB75_4 Depth=1
	s_or_b64 exec, exec, s[6:7]
	v_mov_b32_e32 v31, 0
	v_mov_b32_e32 v37, 0
	s_and_saveexec_b64 s[6:7], vcc
	s_cbranch_execz .LBB75_8
; %bb.7:                                ;   in Loop: Header=BB75_4 Depth=1
	v_mov_b32_e32 v35, s15
	v_add_co_u32_e64 v34, s[2:3], s14, v17
	v_addc_co_u32_e64 v35, s[2:3], v18, v35, s[2:3]
	global_load_ushort v34, v[34:35], off
	s_waitcnt vmcnt(0)
	v_cvt_f32_f16_e32 v37, v34
.LBB75_8:                               ;   in Loop: Header=BB75_4 Depth=1
	s_or_b64 exec, exec, s[6:7]
	v_mov_b32_e32 v35, s21
	v_add_co_u32_e64 v34, s[2:3], s20, v19
	v_addc_co_u32_e64 v35, s[2:3], v20, v35, s[2:3]
	v_cmp_gt_u64_e64 s[2:3], s[18:19], v[34:35]
	v_mov_b32_e32 v35, 0
	s_and_saveexec_b64 s[8:9], s[2:3]
	s_cbranch_execz .LBB75_10
; %bb.9:                                ;   in Loop: Header=BB75_4 Depth=1
	v_mov_b32_e32 v31, s15
	v_add_co_u32_e64 v34, s[6:7], s14, v23
	v_addc_co_u32_e64 v35, s[6:7], v24, v31, s[6:7]
	v_add_co_u32_e64 v38, s[6:7], s14, v21
	v_addc_co_u32_e64 v39, s[6:7], v22, v31, s[6:7]
	global_load_ushort v31, v[38:39], off
	global_load_ushort v36, v[34:35], off
	s_waitcnt vmcnt(1)
	v_cvt_f32_f16_e32 v35, v31
	s_waitcnt vmcnt(0)
	v_cvt_f32_f16_e32 v31, v36
.LBB75_10:                              ;   in Loop: Header=BB75_4 Depth=1
	s_or_b64 exec, exec, s[8:9]
	v_mov_b32_e32 v34, 0
	v_mov_b32_e32 v39, 0
	s_and_saveexec_b64 s[8:9], s[2:3]
	s_cbranch_execz .LBB75_12
; %bb.11:                               ;   in Loop: Header=BB75_4 Depth=1
	v_mov_b32_e32 v36, s15
	v_add_co_u32_e64 v38, s[6:7], s14, v25
	v_addc_co_u32_e64 v39, s[6:7], v26, v36, s[6:7]
	global_load_ushort v36, v[38:39], off
	s_waitcnt vmcnt(0)
	v_cvt_f32_f16_e32 v39, v36
.LBB75_12:                              ;   in Loop: Header=BB75_4 Depth=1
	s_or_b64 exec, exec, s[8:9]
	v_mov_b32_e32 v36, s21
	v_add_co_u32_e64 v40, s[6:7], s20, v29
	v_addc_co_u32_e64 v41, s[6:7], v30, v36, s[6:7]
	v_cmp_gt_u64_e64 s[6:7], s[18:19], v[40:41]
	v_mov_b32_e32 v38, 0
	s_and_saveexec_b64 s[10:11], s[6:7]
	s_cbranch_execz .LBB75_14
; %bb.13:                               ;   in Loop: Header=BB75_4 Depth=1
	v_mov_b32_e32 v34, s15
	v_add_co_u32_e64 v40, s[8:9], s14, v9
	v_addc_co_u32_e64 v41, s[8:9], v10, v34, s[8:9]
	v_add_co_u32_e64 v42, s[8:9], s14, v7
	v_addc_co_u32_e64 v43, s[8:9], v8, v34, s[8:9]
	global_load_ushort v34, v[42:43], off
	global_load_ushort v36, v[40:41], off
	s_waitcnt vmcnt(1)
	v_cvt_f32_f16_e32 v38, v34
	s_waitcnt vmcnt(0)
	v_cvt_f32_f16_e32 v34, v36
.LBB75_14:                              ;   in Loop: Header=BB75_4 Depth=1
	s_or_b64 exec, exec, s[10:11]
	v_mov_b32_e32 v36, 0
	v_mov_b32_e32 v41, 0
	s_and_saveexec_b64 s[10:11], s[6:7]
	s_cbranch_execz .LBB75_16
; %bb.15:                               ;   in Loop: Header=BB75_4 Depth=1
	v_mov_b32_e32 v41, s15
	v_add_co_u32_e64 v40, s[8:9], s14, v11
	v_addc_co_u32_e64 v41, s[8:9], v12, v41, s[8:9]
	global_load_ushort v40, v[40:41], off
	s_waitcnt vmcnt(0)
	v_cvt_f32_f16_e32 v41, v40
.LBB75_16:                              ;   in Loop: Header=BB75_4 Depth=1
	s_or_b64 exec, exec, s[10:11]
	v_mov_b32_e32 v40, s21
	v_add_co_u32_e64 v42, s[8:9], s20, v27
	v_addc_co_u32_e64 v43, s[8:9], v28, v40, s[8:9]
	v_cmp_gt_u64_e64 s[8:9], s[18:19], v[42:43]
	v_mov_b32_e32 v40, 0
	s_and_saveexec_b64 s[22:23], s[8:9]
	s_cbranch_execnz .LBB75_22
; %bb.17:                               ;   in Loop: Header=BB75_4 Depth=1
	s_or_b64 exec, exec, s[22:23]
	v_mov_b32_e32 v42, 0
	s_and_saveexec_b64 s[22:23], s[8:9]
	s_cbranch_execnz .LBB75_23
.LBB75_18:                              ;   in Loop: Header=BB75_4 Depth=1
	s_or_b64 exec, exec, s[22:23]
	s_and_saveexec_b64 s[10:11], vcc
	s_cbranch_execnz .LBB75_24
.LBB75_19:                              ;   in Loop: Header=BB75_4 Depth=1
	s_or_b64 exec, exec, s[10:11]
	s_and_saveexec_b64 s[10:11], s[2:3]
	s_cbranch_execnz .LBB75_25
.LBB75_20:                              ;   in Loop: Header=BB75_4 Depth=1
	s_or_b64 exec, exec, s[10:11]
	s_and_saveexec_b64 s[2:3], s[6:7]
	s_cbranch_execnz .LBB75_26
.LBB75_21:                              ;   in Loop: Header=BB75_4 Depth=1
	s_or_b64 exec, exec, s[2:3]
	s_and_saveexec_b64 s[2:3], s[8:9]
	s_cbranch_execz .LBB75_3
	s_branch .LBB75_27
.LBB75_22:                              ;   in Loop: Header=BB75_4 Depth=1
	v_mov_b32_e32 v36, s15
	v_add_co_u32_e64 v42, s[10:11], s14, v3
	v_addc_co_u32_e64 v43, s[10:11], v4, v36, s[10:11]
	v_add_co_u32_e64 v44, s[10:11], s14, v1
	v_addc_co_u32_e64 v45, s[10:11], v2, v36, s[10:11]
	global_load_ushort v36, v[44:45], off
	global_load_ushort v46, v[42:43], off
	s_waitcnt vmcnt(1)
	v_cvt_f32_f16_e32 v40, v36
	s_waitcnt vmcnt(0)
	v_cvt_f32_f16_e32 v36, v46
	s_or_b64 exec, exec, s[22:23]
	v_mov_b32_e32 v42, 0
	s_and_saveexec_b64 s[22:23], s[8:9]
	s_cbranch_execz .LBB75_18
.LBB75_23:                              ;   in Loop: Header=BB75_4 Depth=1
	v_mov_b32_e32 v43, s15
	v_add_co_u32_e64 v42, s[10:11], s14, v5
	v_addc_co_u32_e64 v43, s[10:11], v6, v43, s[10:11]
	global_load_ushort v42, v[42:43], off
	s_waitcnt vmcnt(0)
	v_cvt_f32_f16_e32 v42, v42
	s_or_b64 exec, exec, s[22:23]
	s_and_saveexec_b64 s[10:11], vcc
	s_cbranch_execz .LBB75_19
.LBB75_24:                              ;   in Loop: Header=BB75_4 Depth=1
	v_div_scale_f32 v43, s[22:23], v37, v37, v33
	v_div_scale_f32 v44, vcc, v33, v37, v33
	v_rcp_f32_e32 v45, v43
	v_fma_f32 v46, -v43, v45, 1.0
	v_fmac_f32_e32 v45, v46, v45
	v_mul_f32_e32 v46, v44, v45
	v_fma_f32 v47, -v43, v46, v44
	v_fmac_f32_e32 v46, v47, v45
	v_fma_f32 v43, -v43, v46, v44
	v_div_fmas_f32 v43, v43, v45, v46
	v_mov_b32_e32 v44, s15
	v_div_fixup_f32 v33, v43, v37, v33
	v_add_f32_e32 v37, v32, v33
	v_fmac_f32_e32 v32, s24, v33
	v_cndmask_b32_e64 v32, v32, v37, s[0:1]
	v_cvt_f16_f32_e32 v37, v32
	v_add_co_u32_e32 v32, vcc, s14, v13
	v_addc_co_u32_e32 v33, vcc, v14, v44, vcc
	global_store_short v[32:33], v37, off
	s_or_b64 exec, exec, s[10:11]
	s_and_saveexec_b64 s[10:11], s[2:3]
	s_cbranch_execz .LBB75_20
.LBB75_25:                              ;   in Loop: Header=BB75_4 Depth=1
	v_div_scale_f32 v32, s[2:3], v39, v39, v31
	v_div_scale_f32 v33, vcc, v31, v39, v31
	v_rcp_f32_e32 v37, v32
	v_fma_f32 v43, -v32, v37, 1.0
	v_fmac_f32_e32 v37, v43, v37
	v_mul_f32_e32 v43, v33, v37
	v_fma_f32 v44, -v32, v43, v33
	v_fmac_f32_e32 v43, v44, v37
	v_fma_f32 v32, -v32, v43, v33
	v_div_fmas_f32 v32, v32, v37, v43
	v_mov_b32_e32 v33, s15
	v_div_fixup_f32 v31, v32, v39, v31
	v_add_f32_e32 v32, v35, v31
	v_fmac_f32_e32 v35, s24, v31
	v_cndmask_b32_e64 v31, v35, v32, s[0:1]
	v_cvt_f16_f32_e32 v35, v31
	v_add_co_u32_e32 v31, vcc, s14, v21
	v_addc_co_u32_e32 v32, vcc, v22, v33, vcc
	global_store_short v[31:32], v35, off
	s_or_b64 exec, exec, s[10:11]
	s_and_saveexec_b64 s[2:3], s[6:7]
	s_cbranch_execz .LBB75_21
.LBB75_26:                              ;   in Loop: Header=BB75_4 Depth=1
	v_div_scale_f32 v31, s[6:7], v41, v41, v34
	v_div_scale_f32 v32, vcc, v34, v41, v34
	v_rcp_f32_e32 v33, v31
	v_fma_f32 v35, -v31, v33, 1.0
	v_fmac_f32_e32 v33, v35, v33
	v_mul_f32_e32 v35, v32, v33
	v_fma_f32 v37, -v31, v35, v32
	v_fmac_f32_e32 v35, v37, v33
	v_fma_f32 v31, -v31, v35, v32
	v_div_fmas_f32 v31, v31, v33, v35
	v_mov_b32_e32 v32, s15
	v_div_fixup_f32 v31, v31, v41, v34
	v_add_f32_e32 v33, v38, v31
	v_fmac_f32_e32 v38, s24, v31
	v_cndmask_b32_e64 v31, v38, v33, s[0:1]
	v_cvt_f16_f32_e32 v33, v31
	v_add_co_u32_e32 v31, vcc, s14, v7
	v_addc_co_u32_e32 v32, vcc, v8, v32, vcc
	global_store_short v[31:32], v33, off
	s_or_b64 exec, exec, s[2:3]
	s_and_saveexec_b64 s[2:3], s[8:9]
	s_cbranch_execz .LBB75_3
.LBB75_27:                              ;   in Loop: Header=BB75_4 Depth=1
	v_div_scale_f32 v31, s[6:7], v42, v42, v36
	v_div_scale_f32 v32, vcc, v36, v42, v36
	v_rcp_f32_e32 v33, v31
	v_fma_f32 v34, -v31, v33, 1.0
	v_fmac_f32_e32 v33, v34, v33
	v_mul_f32_e32 v34, v32, v33
	v_fma_f32 v35, -v31, v34, v32
	v_fmac_f32_e32 v34, v35, v33
	v_fma_f32 v31, -v31, v34, v32
	v_div_fmas_f32 v31, v31, v33, v34
	v_mov_b32_e32 v32, s15
	v_div_fixup_f32 v31, v31, v42, v36
	v_add_f32_e32 v33, v40, v31
	v_fmac_f32_e32 v40, s24, v31
	v_cndmask_b32_e64 v31, v40, v33, s[0:1]
	v_cvt_f16_f32_e32 v33, v31
	v_add_co_u32_e32 v31, vcc, s14, v1
	v_addc_co_u32_e32 v32, vcc, v2, v32, vcc
	global_store_short v[31:32], v33, off
	s_branch .LBB75_3
.LBB75_28:
	s_mov_b64 s[0:1], 0
.LBB75_29:
	s_andn2_b64 vcc, exec, s[0:1]
	s_cbranch_vccnz .LBB75_33
; %bb.30:
	v_mov_b32_e32 v1, 0x10000
	v_mov_b32_e32 v2, 0
	v_cmp_lt_i64_e32 vcc, s[12:13], v[1:2]
	v_mov_b32_e32 v2, 0
	s_and_b64 s[0:1], vcc, exec
	s_cselect_b32 s11, s13, 0
	s_cselect_b32 s10, s12, 0x10000
	v_lshlrev_b32_e32 v1, 2, v0
	v_cmp_gt_i64_e32 vcc, s[10:11], v[1:2]
	s_and_saveexec_b64 s[0:1], vcc
	s_cbranch_execz .LBB75_33
; %bb.31:
	s_load_dword s2, s[4:5], 0xc5c
	v_mov_b32_e32 v1, v2
	v_cmp_eq_f32_e64 s[0:1], s24, 1.0
	s_mov_b32 s14, s24
	v_lshlrev_b32_e32 v4, 3, v0
	s_waitcnt lgkmcnt(0)
	s_and_b32 s15, s2, 0xffff
	s_lshl_b32 s16, s15, 3
	s_mov_b64 s[12:13], 0
.LBB75_32:                              ; =>This Inner Loop Header: Depth=1
	v_mov_b32_e32 v3, s26
	v_add_co_u32_e32 v2, vcc, s25, v4
	v_mov_b32_e32 v6, s28
	v_add_co_u32_e64 v5, s[2:3], s27, v4
	v_mov_b32_e32 v8, s30
	v_add_co_u32_e64 v7, s[4:5], s29, v4
	v_addc_co_u32_e32 v3, vcc, 0, v3, vcc
	v_addc_co_u32_e64 v6, vcc, 0, v6, s[2:3]
	v_addc_co_u32_e64 v8, vcc, 0, v8, s[4:5]
	global_load_dwordx2 v[11:12], v[5:6], off
	global_load_dwordx2 v[13:14], v[7:8], off
	;; [unrolled: 1-line block ×3, first 2 shown]
	v_add_co_u32_e64 v0, s[6:7], s15, v0
	v_addc_co_u32_e64 v1, s[6:7], 0, v1, s[6:7]
	v_lshlrev_b64 v[9:10], 2, v[0:1]
	s_add_u32 s25, s25, s16
	v_cmp_le_i64_e64 s[2:3], s[10:11], v[9:10]
	s_addc_u32 s26, s26, 0
	s_add_u32 s27, s27, s16
	s_addc_u32 s28, s28, 0
	s_add_u32 s29, s29, s16
	s_addc_u32 s30, s30, 0
	s_or_b64 s[12:13], s[2:3], s[12:13]
	s_waitcnt vmcnt(2)
	v_cvt_f32_f16_e32 v6, v11
	s_waitcnt vmcnt(1)
	v_cvt_f32_f16_e32 v7, v13
	v_cvt_f32_f16_sdwa v9, v12 dst_sel:DWORD dst_unused:UNUSED_PAD src0_sel:WORD_1
	v_cvt_f32_f16_sdwa v10, v14 dst_sel:DWORD dst_unused:UNUSED_PAD src0_sel:WORD_1
	v_cvt_f32_f16_e32 v12, v12
	v_cvt_f32_f16_e32 v14, v14
	v_cvt_f32_f16_sdwa v11, v11 dst_sel:DWORD dst_unused:UNUSED_PAD src0_sel:WORD_1
	v_cvt_f32_f16_sdwa v13, v13 dst_sel:DWORD dst_unused:UNUSED_PAD src0_sel:WORD_1
	v_div_scale_f32 v19, s[4:5], v7, v7, v6
	v_div_scale_f32 v20, s[4:5], v10, v10, v9
	;; [unrolled: 1-line block ×4, first 2 shown]
	v_div_scale_f32 v23, vcc, v6, v7, v6
	v_div_scale_f32 v24, s[4:5], v9, v10, v9
	v_div_scale_f32 v25, s[6:7], v12, v14, v12
	;; [unrolled: 1-line block ×3, first 2 shown]
	v_rcp_f32_e32 v27, v19
	s_waitcnt vmcnt(0)
	v_cvt_f32_f16_e32 v5, v15
	v_rcp_f32_e32 v28, v20
	v_cvt_f32_f16_sdwa v8, v16 dst_sel:DWORD dst_unused:UNUSED_PAD src0_sel:WORD_1
	v_rcp_f32_e32 v29, v21
	v_fma_f32 v31, -v19, v27, 1.0
	v_rcp_f32_e32 v30, v22
	v_fma_f32 v32, -v20, v28, 1.0
	v_fmac_f32_e32 v27, v31, v27
	v_fma_f32 v33, -v21, v29, 1.0
	v_fmac_f32_e32 v28, v32, v28
	v_mul_f32_e32 v31, v23, v27
	v_fma_f32 v34, -v22, v30, 1.0
	v_fmac_f32_e32 v29, v33, v29
	v_mul_f32_e32 v32, v24, v28
	v_fma_f32 v35, -v19, v31, v23
	v_fmac_f32_e32 v30, v34, v30
	v_mul_f32_e32 v33, v25, v29
	v_fma_f32 v36, -v20, v32, v24
	;; [unrolled: 3-line block ×3, first 2 shown]
	v_fmac_f32_e32 v32, v36, v28
	v_fma_f32 v19, -v19, v31, v23
	v_fma_f32 v38, -v22, v34, v26
	v_fmac_f32_e32 v33, v37, v29
	v_fma_f32 v20, -v20, v32, v24
	v_div_fmas_f32 v19, v19, v27, v31
	s_mov_b64 vcc, s[4:5]
	v_fmac_f32_e32 v34, v38, v30
	v_fma_f32 v21, -v21, v33, v25
	v_div_fmas_f32 v20, v20, v28, v32
	s_mov_b64 vcc, s[6:7]
	v_fma_f32 v22, -v22, v34, v26
	v_div_fmas_f32 v21, v21, v29, v33
	s_mov_b64 vcc, s[8:9]
	v_div_fmas_f32 v22, v22, v30, v34
	v_cvt_f32_f16_e32 v17, v16
	v_cvt_f32_f16_sdwa v18, v15 dst_sel:DWORD dst_unused:UNUSED_PAD src0_sel:WORD_1
	v_div_fixup_f32 v6, v19, v7, v6
	v_add_f32_e32 v5, v6, v5
	v_fma_mix_f32 v6, s24, v6, v15 op_sel_hi:[0,0,1]
	v_cndmask_b32_e64 v5, v6, v5, s[0:1]
	v_div_fixup_f32 v7, v20, v10, v9
	v_add_f32_e32 v6, v7, v8
	v_fma_mix_f32 v7, s24, v7, v16 op_sel:[0,0,1] op_sel_hi:[0,0,1]
	v_div_fixup_f32 v8, v21, v14, v12
	v_cndmask_b32_e64 v6, v7, v6, s[0:1]
	v_div_fixup_f32 v7, v22, v13, v11
	v_add_f32_e32 v9, v8, v17
	v_fma_mix_f32 v8, s14, v8, v16 op_sel_hi:[0,0,1]
	v_add_f32_e32 v10, v7, v18
	v_fma_mix_f32 v7, s24, v7, v15 op_sel:[0,0,1] op_sel_hi:[0,0,1]
	v_cndmask_b32_e64 v8, v8, v9, s[0:1]
	v_cndmask_b32_e64 v7, v7, v10, s[0:1]
	v_cvt_f16_f32_e32 v5, v5
	v_cvt_f16_f32_e32 v6, v6
	;; [unrolled: 1-line block ×4, first 2 shown]
	v_pack_b32_f16 v6, v8, v6
	v_pack_b32_f16 v5, v5, v7
	global_store_dwordx2 v[2:3], v[5:6], off
	s_andn2_b64 exec, exec, s[12:13]
	s_cbranch_execnz .LBB75_32
.LBB75_33:
	s_endpgm
	.section	.rodata,"a",@progbits
	.p2align	6, 0x0
	.amdhsa_kernel _ZN2at6native12_GLOBAL__N_125multi_tensor_apply_kernelINS1_18TensorListMetadataILi3EEENS1_24PointwiseOpScalarFunctorIN3c104HalfELi3ELi3ELi0EEEJSt7dividesIfEfEEEvT_T0_DpT1_
		.amdhsa_group_segment_fixed_size 0
		.amdhsa_private_segment_fixed_size 0
		.amdhsa_kernarg_size 3408
		.amdhsa_user_sgpr_count 6
		.amdhsa_user_sgpr_private_segment_buffer 1
		.amdhsa_user_sgpr_dispatch_ptr 0
		.amdhsa_user_sgpr_queue_ptr 0
		.amdhsa_user_sgpr_kernarg_segment_ptr 1
		.amdhsa_user_sgpr_dispatch_id 0
		.amdhsa_user_sgpr_flat_scratch_init 0
		.amdhsa_user_sgpr_private_segment_size 0
		.amdhsa_uses_dynamic_stack 0
		.amdhsa_system_sgpr_private_segment_wavefront_offset 0
		.amdhsa_system_sgpr_workgroup_id_x 1
		.amdhsa_system_sgpr_workgroup_id_y 0
		.amdhsa_system_sgpr_workgroup_id_z 0
		.amdhsa_system_sgpr_workgroup_info 0
		.amdhsa_system_vgpr_workitem_id 0
		.amdhsa_next_free_vgpr 48
		.amdhsa_next_free_sgpr 34
		.amdhsa_reserve_vcc 1
		.amdhsa_reserve_flat_scratch 0
		.amdhsa_float_round_mode_32 0
		.amdhsa_float_round_mode_16_64 0
		.amdhsa_float_denorm_mode_32 3
		.amdhsa_float_denorm_mode_16_64 3
		.amdhsa_dx10_clamp 1
		.amdhsa_ieee_mode 1
		.amdhsa_fp16_overflow 0
		.amdhsa_exception_fp_ieee_invalid_op 0
		.amdhsa_exception_fp_denorm_src 0
		.amdhsa_exception_fp_ieee_div_zero 0
		.amdhsa_exception_fp_ieee_overflow 0
		.amdhsa_exception_fp_ieee_underflow 0
		.amdhsa_exception_fp_ieee_inexact 0
		.amdhsa_exception_int_div_zero 0
	.end_amdhsa_kernel
	.section	.text._ZN2at6native12_GLOBAL__N_125multi_tensor_apply_kernelINS1_18TensorListMetadataILi3EEENS1_24PointwiseOpScalarFunctorIN3c104HalfELi3ELi3ELi0EEEJSt7dividesIfEfEEEvT_T0_DpT1_,"axG",@progbits,_ZN2at6native12_GLOBAL__N_125multi_tensor_apply_kernelINS1_18TensorListMetadataILi3EEENS1_24PointwiseOpScalarFunctorIN3c104HalfELi3ELi3ELi0EEEJSt7dividesIfEfEEEvT_T0_DpT1_,comdat
.Lfunc_end75:
	.size	_ZN2at6native12_GLOBAL__N_125multi_tensor_apply_kernelINS1_18TensorListMetadataILi3EEENS1_24PointwiseOpScalarFunctorIN3c104HalfELi3ELi3ELi0EEEJSt7dividesIfEfEEEvT_T0_DpT1_, .Lfunc_end75-_ZN2at6native12_GLOBAL__N_125multi_tensor_apply_kernelINS1_18TensorListMetadataILi3EEENS1_24PointwiseOpScalarFunctorIN3c104HalfELi3ELi3ELi0EEEJSt7dividesIfEfEEEvT_T0_DpT1_
                                        ; -- End function
	.set _ZN2at6native12_GLOBAL__N_125multi_tensor_apply_kernelINS1_18TensorListMetadataILi3EEENS1_24PointwiseOpScalarFunctorIN3c104HalfELi3ELi3ELi0EEEJSt7dividesIfEfEEEvT_T0_DpT1_.num_vgpr, 48
	.set _ZN2at6native12_GLOBAL__N_125multi_tensor_apply_kernelINS1_18TensorListMetadataILi3EEENS1_24PointwiseOpScalarFunctorIN3c104HalfELi3ELi3ELi0EEEJSt7dividesIfEfEEEvT_T0_DpT1_.num_agpr, 0
	.set _ZN2at6native12_GLOBAL__N_125multi_tensor_apply_kernelINS1_18TensorListMetadataILi3EEENS1_24PointwiseOpScalarFunctorIN3c104HalfELi3ELi3ELi0EEEJSt7dividesIfEfEEEvT_T0_DpT1_.numbered_sgpr, 34
	.set _ZN2at6native12_GLOBAL__N_125multi_tensor_apply_kernelINS1_18TensorListMetadataILi3EEENS1_24PointwiseOpScalarFunctorIN3c104HalfELi3ELi3ELi0EEEJSt7dividesIfEfEEEvT_T0_DpT1_.num_named_barrier, 0
	.set _ZN2at6native12_GLOBAL__N_125multi_tensor_apply_kernelINS1_18TensorListMetadataILi3EEENS1_24PointwiseOpScalarFunctorIN3c104HalfELi3ELi3ELi0EEEJSt7dividesIfEfEEEvT_T0_DpT1_.private_seg_size, 0
	.set _ZN2at6native12_GLOBAL__N_125multi_tensor_apply_kernelINS1_18TensorListMetadataILi3EEENS1_24PointwiseOpScalarFunctorIN3c104HalfELi3ELi3ELi0EEEJSt7dividesIfEfEEEvT_T0_DpT1_.uses_vcc, 1
	.set _ZN2at6native12_GLOBAL__N_125multi_tensor_apply_kernelINS1_18TensorListMetadataILi3EEENS1_24PointwiseOpScalarFunctorIN3c104HalfELi3ELi3ELi0EEEJSt7dividesIfEfEEEvT_T0_DpT1_.uses_flat_scratch, 0
	.set _ZN2at6native12_GLOBAL__N_125multi_tensor_apply_kernelINS1_18TensorListMetadataILi3EEENS1_24PointwiseOpScalarFunctorIN3c104HalfELi3ELi3ELi0EEEJSt7dividesIfEfEEEvT_T0_DpT1_.has_dyn_sized_stack, 0
	.set _ZN2at6native12_GLOBAL__N_125multi_tensor_apply_kernelINS1_18TensorListMetadataILi3EEENS1_24PointwiseOpScalarFunctorIN3c104HalfELi3ELi3ELi0EEEJSt7dividesIfEfEEEvT_T0_DpT1_.has_recursion, 0
	.set _ZN2at6native12_GLOBAL__N_125multi_tensor_apply_kernelINS1_18TensorListMetadataILi3EEENS1_24PointwiseOpScalarFunctorIN3c104HalfELi3ELi3ELi0EEEJSt7dividesIfEfEEEvT_T0_DpT1_.has_indirect_call, 0
	.section	.AMDGPU.csdata,"",@progbits
; Kernel info:
; codeLenInByte = 2660
; TotalNumSgprs: 38
; NumVgprs: 48
; ScratchSize: 0
; MemoryBound: 0
; FloatMode: 240
; IeeeMode: 1
; LDSByteSize: 0 bytes/workgroup (compile time only)
; SGPRBlocks: 4
; VGPRBlocks: 11
; NumSGPRsForWavesPerEU: 38
; NumVGPRsForWavesPerEU: 48
; Occupancy: 5
; WaveLimiterHint : 0
; COMPUTE_PGM_RSRC2:SCRATCH_EN: 0
; COMPUTE_PGM_RSRC2:USER_SGPR: 6
; COMPUTE_PGM_RSRC2:TRAP_HANDLER: 0
; COMPUTE_PGM_RSRC2:TGID_X_EN: 1
; COMPUTE_PGM_RSRC2:TGID_Y_EN: 0
; COMPUTE_PGM_RSRC2:TGID_Z_EN: 0
; COMPUTE_PGM_RSRC2:TIDIG_COMP_CNT: 0
	.section	.text._ZN2at6native12_GLOBAL__N_125multi_tensor_apply_kernelINS1_18TensorListMetadataILi3EEENS1_24PointwiseOpScalarFunctorIN3c108BFloat16ELi3ELi3ELi0EEEJSt7dividesIfEfEEEvT_T0_DpT1_,"axG",@progbits,_ZN2at6native12_GLOBAL__N_125multi_tensor_apply_kernelINS1_18TensorListMetadataILi3EEENS1_24PointwiseOpScalarFunctorIN3c108BFloat16ELi3ELi3ELi0EEEJSt7dividesIfEfEEEvT_T0_DpT1_,comdat
	.globl	_ZN2at6native12_GLOBAL__N_125multi_tensor_apply_kernelINS1_18TensorListMetadataILi3EEENS1_24PointwiseOpScalarFunctorIN3c108BFloat16ELi3ELi3ELi0EEEJSt7dividesIfEfEEEvT_T0_DpT1_ ; -- Begin function _ZN2at6native12_GLOBAL__N_125multi_tensor_apply_kernelINS1_18TensorListMetadataILi3EEENS1_24PointwiseOpScalarFunctorIN3c108BFloat16ELi3ELi3ELi0EEEJSt7dividesIfEfEEEvT_T0_DpT1_
	.p2align	8
	.type	_ZN2at6native12_GLOBAL__N_125multi_tensor_apply_kernelINS1_18TensorListMetadataILi3EEENS1_24PointwiseOpScalarFunctorIN3c108BFloat16ELi3ELi3ELi0EEEJSt7dividesIfEfEEEvT_T0_DpT1_,@function
_ZN2at6native12_GLOBAL__N_125multi_tensor_apply_kernelINS1_18TensorListMetadataILi3EEENS1_24PointwiseOpScalarFunctorIN3c108BFloat16ELi3ELi3ELi0EEEJSt7dividesIfEfEEEvT_T0_DpT1_: ; @_ZN2at6native12_GLOBAL__N_125multi_tensor_apply_kernelINS1_18TensorListMetadataILi3EEENS1_24PointwiseOpScalarFunctorIN3c108BFloat16ELi3ELi3ELi0EEEJSt7dividesIfEfEEEvT_T0_DpT1_
; %bb.0:
	v_mov_b32_e32 v1, s6
	global_load_ubyte v1, v1, s[4:5] offset:1536
	s_add_u32 s0, s4, s6
	s_mul_hi_u32 s2, s6, 3
	s_mul_i32 s6, s6, 3
	s_addc_u32 s7, s5, 0
	s_add_u32 s6, s0, s6
	s_addc_u32 s7, s7, s2
	s_load_dword s30, s[4:5], 0xc4c
	s_load_dword s8, s[6:7], 0x740
	s_mov_b32 s1, 0
	s_mov_b32 s3, s1
	s_waitcnt lgkmcnt(0)
	s_ashr_i32 s9, s8, 31
	s_lshl_b64 s[18:19], s[8:9], 17
	s_waitcnt vmcnt(0)
	v_readfirstlane_b32 s0, v1
	s_lshl_b32 s0, s0, 3
	s_load_dwordx2 s[6:7], s[4:5], s0 offset:0x480
	s_load_dwordx2 s[12:13], s[4:5], s0 offset:0x0
	;; [unrolled: 1-line block ×4, first 2 shown]
	s_waitcnt lgkmcnt(0)
	s_and_b32 s0, s12, 7
	s_add_u32 s2, s14, s18
	s_or_b32 s2, s16, s2
	s_and_b32 s2, s2, 7
	s_cmp_eq_u32 s2, 0
	s_cselect_b64 s[10:11], -1, 0
	s_lshl_b64 s[8:9], s[8:9], 16
	s_sub_u32 s20, s6, s8
	s_subb_u32 s21, s7, s9
	s_and_b32 s2, s6, 3
	s_or_b64 s[0:1], s[0:1], s[2:3]
	s_cmp_eq_u64 s[0:1], 0
	s_cselect_b64 s[0:1], -1, 0
	s_and_b64 s[2:3], s[10:11], s[0:1]
	s_mov_b64 s[0:1], -1
	s_and_b64 vcc, exec, s[2:3]
	s_cbranch_vccnz .LBB76_29
; %bb.1:
	v_cmp_lt_i64_e64 s[0:1], s[20:21], 1
	s_and_b64 vcc, exec, s[0:1]
	s_cbranch_vccnz .LBB76_28
; %bb.2:
	v_mov_b32_e32 v1, 0x10000
	s_load_dword s2, s[4:5], 0xc5c
	v_mov_b32_e32 v2, 0
	v_cmp_lt_i64_e32 vcc, s[20:21], v[1:2]
	v_mov_b32_e32 v18, 0
	s_and_b64 s[0:1], vcc, exec
	s_cselect_b32 s23, s21, 0
	s_cselect_b32 s22, s20, 0x10000
	s_waitcnt lgkmcnt(0)
	s_and_b32 s2, s2, 0xffff
	v_lshlrev_b32_e32 v17, 1, v0
	v_mad_u64_u32 v[5:6], s[0:1], s2, 6, v[17:18]
	v_cmp_lt_u64_e32 vcc, s[20:21], v[1:2]
	v_mov_b32_e32 v2, s13
	s_and_b64 s[0:1], vcc, exec
	v_add_co_u32_e32 v1, vcc, s12, v5
	v_addc_co_u32_e32 v2, vcc, v2, v6, vcc
	v_mov_b32_e32 v4, s15
	v_add_co_u32_e32 v3, vcc, s14, v5
	v_addc_co_u32_e32 v4, vcc, v4, v6, vcc
	v_mov_b32_e32 v7, s17
	v_add_co_u32_e32 v5, vcc, s16, v5
	s_cselect_b32 s25, s21, 0
	s_cselect_b32 s24, s20, 0x10000
	s_lshl_b32 s31, s2, 2
	v_addc_co_u32_e32 v6, vcc, v7, v6, vcc
	v_add_co_u32_e32 v11, vcc, s31, v17
	v_addc_co_u32_e64 v12, s[0:1], 0, 0, vcc
	v_mov_b32_e32 v8, s13
	v_add_co_u32_e32 v7, vcc, s12, v11
	v_addc_co_u32_e32 v8, vcc, v8, v12, vcc
	v_mov_b32_e32 v10, s15
	v_add_co_u32_e32 v9, vcc, s14, v11
	v_addc_co_u32_e32 v10, vcc, v10, v12, vcc
	;; [unrolled: 3-line block ×6, first 2 shown]
	v_add_co_u32_e32 v19, vcc, s2, v0
	v_lshlrev_b32_e32 v25, 1, v19
	s_lshl_b32 s6, s2, 1
	s_mul_i32 s7, s2, 3
	s_lshl_b32 s33, s2, 3
	v_addc_co_u32_e64 v20, s[2:3], 0, 0, vcc
	v_mov_b32_e32 v22, s13
	v_add_co_u32_e32 v21, vcc, s12, v25
	v_addc_co_u32_e32 v22, vcc, 0, v22, vcc
	v_mov_b32_e32 v24, s15
	v_add_co_u32_e32 v23, vcc, s14, v25
	v_addc_co_u32_e32 v24, vcc, 0, v24, vcc
	;; [unrolled: 3-line block ×3, first 2 shown]
	v_add_co_u32_e32 v27, vcc, s7, v0
	v_addc_co_u32_e64 v28, s[2:3], 0, 0, vcc
	v_add_co_u32_e32 v29, vcc, s6, v0
	v_cmp_eq_f32_e64 s[0:1], s30, 1.0
	s_mov_b64 s[26:27], 0
	s_movk_i32 s34, 0x7fff
	v_addc_co_u32_e64 v30, s[2:3], 0, 0, vcc
	v_mov_b32_e32 v31, 0x7fc0
	s_branch .LBB76_4
.LBB76_3:                               ;   in Loop: Header=BB76_4 Depth=1
	s_or_b64 exec, exec, s[2:3]
	v_add_co_u32_e32 v13, vcc, s33, v13
	v_addc_co_u32_e32 v14, vcc, 0, v14, vcc
	v_add_co_u32_e32 v15, vcc, s33, v15
	v_addc_co_u32_e32 v16, vcc, 0, v16, vcc
	;; [unrolled: 2-line block ×10, first 2 shown]
	s_add_u32 s26, s26, s31
	v_add_co_u32_e32 v23, vcc, s33, v23
	v_mov_b32_e32 v33, s23
	s_addc_u32 s27, s27, 0
	v_addc_co_u32_e32 v24, vcc, 0, v24, vcc
	v_mov_b32_e32 v32, s22
	v_cmp_lt_i64_e32 vcc, s[26:27], v[32:33]
	v_add_co_u32_e64 v25, s[2:3], s33, v25
	v_addc_co_u32_e64 v26, s[2:3], 0, v26, s[2:3]
	s_cbranch_vccz .LBB76_28
.LBB76_4:                               ; =>This Inner Loop Header: Depth=1
	v_mov_b32_e32 v33, s27
	v_add_co_u32_e32 v32, vcc, s26, v0
	v_addc_co_u32_e32 v33, vcc, 0, v33, vcc
	v_cmp_gt_u64_e32 vcc, s[24:25], v[32:33]
	v_mov_b32_e32 v35, 0
	v_mov_b32_e32 v34, 0
	s_and_saveexec_b64 s[6:7], vcc
	s_cbranch_execz .LBB76_6
; %bb.5:                                ;   in Loop: Header=BB76_4 Depth=1
	v_mov_b32_e32 v35, s19
	v_add_co_u32_e64 v32, s[2:3], s18, v13
	v_addc_co_u32_e64 v33, s[2:3], v14, v35, s[2:3]
	v_add_co_u32_e64 v34, s[2:3], s18, v15
	v_addc_co_u32_e64 v35, s[2:3], v16, v35, s[2:3]
	global_load_ushort v36, v[34:35], off
	global_load_ushort v37, v[32:33], off
	s_waitcnt vmcnt(1)
	v_lshlrev_b32_e32 v35, 16, v36
	s_waitcnt vmcnt(0)
	v_lshlrev_b32_e32 v34, 16, v37
.LBB76_6:                               ;   in Loop: Header=BB76_4 Depth=1
	s_or_b64 exec, exec, s[6:7]
	v_mov_b32_e32 v32, 0
	v_mov_b32_e32 v39, 0
	s_and_saveexec_b64 s[6:7], vcc
	s_cbranch_execz .LBB76_8
; %bb.7:                                ;   in Loop: Header=BB76_4 Depth=1
	v_mov_b32_e32 v33, s19
	v_add_co_u32_e64 v36, s[2:3], s18, v17
	v_addc_co_u32_e64 v37, s[2:3], v18, v33, s[2:3]
	global_load_ushort v33, v[36:37], off
	s_waitcnt vmcnt(0)
	v_lshlrev_b32_e32 v39, 16, v33
.LBB76_8:                               ;   in Loop: Header=BB76_4 Depth=1
	s_or_b64 exec, exec, s[6:7]
	v_mov_b32_e32 v33, s27
	v_add_co_u32_e64 v36, s[2:3], s26, v19
	v_addc_co_u32_e64 v37, s[2:3], v20, v33, s[2:3]
	v_cmp_gt_u64_e64 s[2:3], s[24:25], v[36:37]
	v_mov_b32_e32 v37, 0
	s_and_saveexec_b64 s[8:9], s[2:3]
	s_cbranch_execz .LBB76_10
; %bb.9:                                ;   in Loop: Header=BB76_4 Depth=1
	v_mov_b32_e32 v37, s19
	v_add_co_u32_e64 v32, s[6:7], s18, v21
	v_addc_co_u32_e64 v33, s[6:7], v22, v37, s[6:7]
	v_add_co_u32_e64 v36, s[6:7], s18, v23
	v_addc_co_u32_e64 v37, s[6:7], v24, v37, s[6:7]
	global_load_ushort v38, v[36:37], off
	global_load_ushort v40, v[32:33], off
	s_waitcnt vmcnt(1)
	v_lshlrev_b32_e32 v32, 16, v38
	s_waitcnt vmcnt(0)
	v_lshlrev_b32_e32 v37, 16, v40
.LBB76_10:                              ;   in Loop: Header=BB76_4 Depth=1
	s_or_b64 exec, exec, s[8:9]
	v_mov_b32_e32 v33, 0
	v_mov_b32_e32 v41, 0
	s_and_saveexec_b64 s[8:9], s[2:3]
	s_cbranch_execz .LBB76_12
; %bb.11:                               ;   in Loop: Header=BB76_4 Depth=1
	v_mov_b32_e32 v36, s19
	v_add_co_u32_e64 v40, s[6:7], s18, v25
	v_addc_co_u32_e64 v41, s[6:7], v26, v36, s[6:7]
	global_load_ushort v36, v[40:41], off
	s_waitcnt vmcnt(0)
	v_lshlrev_b32_e32 v41, 16, v36
.LBB76_12:                              ;   in Loop: Header=BB76_4 Depth=1
	s_or_b64 exec, exec, s[8:9]
	v_mov_b32_e32 v36, s27
	v_add_co_u32_e64 v42, s[6:7], s26, v29
	v_addc_co_u32_e64 v43, s[6:7], v30, v36, s[6:7]
	v_cmp_gt_u64_e64 s[6:7], s[24:25], v[42:43]
	v_mov_b32_e32 v38, 0
	s_and_saveexec_b64 s[10:11], s[6:7]
	s_cbranch_execz .LBB76_14
; %bb.13:                               ;   in Loop: Header=BB76_4 Depth=1
	v_mov_b32_e32 v33, s19
	v_add_co_u32_e64 v42, s[8:9], s18, v7
	v_addc_co_u32_e64 v43, s[8:9], v8, v33, s[8:9]
	v_add_co_u32_e64 v44, s[8:9], s18, v9
	v_addc_co_u32_e64 v45, s[8:9], v10, v33, s[8:9]
	global_load_ushort v33, v[44:45], off
	global_load_ushort v36, v[42:43], off
	s_waitcnt vmcnt(1)
	v_lshlrev_b32_e32 v33, 16, v33
	s_waitcnt vmcnt(0)
	v_lshlrev_b32_e32 v38, 16, v36
.LBB76_14:                              ;   in Loop: Header=BB76_4 Depth=1
	s_or_b64 exec, exec, s[10:11]
	v_mov_b32_e32 v36, 0
	v_mov_b32_e32 v42, 0
	s_and_saveexec_b64 s[10:11], s[6:7]
	s_cbranch_execz .LBB76_16
; %bb.15:                               ;   in Loop: Header=BB76_4 Depth=1
	v_mov_b32_e32 v40, s19
	v_add_co_u32_e64 v42, s[8:9], s18, v11
	v_addc_co_u32_e64 v43, s[8:9], v12, v40, s[8:9]
	global_load_ushort v40, v[42:43], off
	s_waitcnt vmcnt(0)
	v_lshlrev_b32_e32 v42, 16, v40
.LBB76_16:                              ;   in Loop: Header=BB76_4 Depth=1
	s_or_b64 exec, exec, s[10:11]
	v_mov_b32_e32 v40, s27
	v_add_co_u32_e64 v43, s[8:9], s26, v27
	v_addc_co_u32_e64 v44, s[8:9], v28, v40, s[8:9]
	v_cmp_gt_u64_e64 s[8:9], s[24:25], v[43:44]
	v_mov_b32_e32 v40, 0
	s_and_saveexec_b64 s[28:29], s[8:9]
	s_cbranch_execnz .LBB76_22
; %bb.17:                               ;   in Loop: Header=BB76_4 Depth=1
	s_or_b64 exec, exec, s[28:29]
	v_mov_b32_e32 v43, 0
	s_and_saveexec_b64 s[28:29], s[8:9]
	s_cbranch_execnz .LBB76_23
.LBB76_18:                              ;   in Loop: Header=BB76_4 Depth=1
	s_or_b64 exec, exec, s[28:29]
	s_and_saveexec_b64 s[28:29], vcc
	s_cbranch_execnz .LBB76_24
.LBB76_19:                              ;   in Loop: Header=BB76_4 Depth=1
	s_or_b64 exec, exec, s[28:29]
	s_and_saveexec_b64 s[10:11], s[2:3]
	s_cbranch_execnz .LBB76_25
.LBB76_20:                              ;   in Loop: Header=BB76_4 Depth=1
	s_or_b64 exec, exec, s[10:11]
	s_and_saveexec_b64 s[2:3], s[6:7]
	s_cbranch_execnz .LBB76_26
.LBB76_21:                              ;   in Loop: Header=BB76_4 Depth=1
	s_or_b64 exec, exec, s[2:3]
	s_and_saveexec_b64 s[2:3], s[8:9]
	s_cbranch_execz .LBB76_3
	s_branch .LBB76_27
.LBB76_22:                              ;   in Loop: Header=BB76_4 Depth=1
	v_mov_b32_e32 v36, s19
	v_add_co_u32_e64 v43, s[10:11], s18, v1
	v_addc_co_u32_e64 v44, s[10:11], v2, v36, s[10:11]
	v_add_co_u32_e64 v45, s[10:11], s18, v3
	v_addc_co_u32_e64 v46, s[10:11], v4, v36, s[10:11]
	global_load_ushort v36, v[45:46], off
	global_load_ushort v40, v[43:44], off
	s_waitcnt vmcnt(1)
	v_lshlrev_b32_e32 v36, 16, v36
	s_waitcnt vmcnt(0)
	v_lshlrev_b32_e32 v40, 16, v40
	s_or_b64 exec, exec, s[28:29]
	v_mov_b32_e32 v43, 0
	s_and_saveexec_b64 s[28:29], s[8:9]
	s_cbranch_execz .LBB76_18
.LBB76_23:                              ;   in Loop: Header=BB76_4 Depth=1
	v_mov_b32_e32 v44, s19
	v_add_co_u32_e64 v43, s[10:11], s18, v5
	v_addc_co_u32_e64 v44, s[10:11], v6, v44, s[10:11]
	global_load_ushort v43, v[43:44], off
	s_waitcnt vmcnt(0)
	v_lshlrev_b32_e32 v43, 16, v43
	s_or_b64 exec, exec, s[28:29]
	s_and_saveexec_b64 s[28:29], vcc
	s_cbranch_execz .LBB76_19
.LBB76_24:                              ;   in Loop: Header=BB76_4 Depth=1
	v_div_scale_f32 v44, s[10:11], v39, v39, v35
	v_div_scale_f32 v45, vcc, v35, v39, v35
	v_rcp_f32_e32 v46, v44
	v_fma_f32 v47, -v44, v46, 1.0
	v_fmac_f32_e32 v46, v47, v46
	v_mul_f32_e32 v47, v45, v46
	v_fma_f32 v48, -v44, v47, v45
	v_fmac_f32_e32 v47, v48, v46
	v_fma_f32 v44, -v44, v47, v45
	v_div_fmas_f32 v45, v44, v46, v47
	v_mov_b32_e32 v46, s19
	v_add_co_u32_e64 v44, s[10:11], s18, v13
	v_div_fixup_f32 v35, v45, v39, v35
	v_add_f32_e32 v39, v34, v35
	v_fmac_f32_e32 v34, s30, v35
	v_cndmask_b32_e64 v34, v34, v39, s[0:1]
	v_bfe_u32 v35, v34, 16, 1
	v_cmp_o_f32_e32 vcc, v34, v34
	v_add3_u32 v34, v34, v35, s34
	v_cndmask_b32_sdwa v34, v31, v34, vcc dst_sel:DWORD dst_unused:UNUSED_PAD src0_sel:DWORD src1_sel:WORD_1
	v_addc_co_u32_e64 v45, vcc, v14, v46, s[10:11]
	global_store_short v[44:45], v34, off
	s_or_b64 exec, exec, s[28:29]
	s_and_saveexec_b64 s[10:11], s[2:3]
	s_cbranch_execz .LBB76_20
.LBB76_25:                              ;   in Loop: Header=BB76_4 Depth=1
	v_div_scale_f32 v34, s[2:3], v41, v41, v32
	v_div_scale_f32 v35, vcc, v32, v41, v32
	v_rcp_f32_e32 v39, v34
	v_fma_f32 v44, -v34, v39, 1.0
	v_fmac_f32_e32 v39, v44, v39
	v_mul_f32_e32 v44, v35, v39
	v_fma_f32 v45, -v34, v44, v35
	v_fmac_f32_e32 v44, v45, v39
	v_fma_f32 v34, -v34, v44, v35
	v_div_fmas_f32 v39, v34, v39, v44
	v_mov_b32_e32 v35, s19
	v_add_co_u32_e32 v34, vcc, s18, v21
	v_addc_co_u32_e32 v35, vcc, v22, v35, vcc
	v_div_fixup_f32 v32, v39, v41, v32
	v_add_f32_e32 v39, v37, v32
	v_fmac_f32_e32 v37, s30, v32
	v_cndmask_b32_e64 v32, v37, v39, s[0:1]
	v_bfe_u32 v37, v32, 16, 1
	v_cmp_o_f32_e32 vcc, v32, v32
	v_add3_u32 v32, v32, v37, s34
	v_cndmask_b32_sdwa v32, v31, v32, vcc dst_sel:DWORD dst_unused:UNUSED_PAD src0_sel:DWORD src1_sel:WORD_1
	global_store_short v[34:35], v32, off
	s_or_b64 exec, exec, s[10:11]
	s_and_saveexec_b64 s[2:3], s[6:7]
	s_cbranch_execz .LBB76_21
.LBB76_26:                              ;   in Loop: Header=BB76_4 Depth=1
	v_div_scale_f32 v32, s[6:7], v42, v42, v33
	v_div_scale_f32 v34, vcc, v33, v42, v33
	v_rcp_f32_e32 v35, v32
	v_fma_f32 v37, -v32, v35, 1.0
	v_fmac_f32_e32 v35, v37, v35
	v_mul_f32_e32 v37, v34, v35
	v_fma_f32 v39, -v32, v37, v34
	v_fmac_f32_e32 v37, v39, v35
	v_fma_f32 v32, -v32, v37, v34
	v_div_fmas_f32 v32, v32, v35, v37
	v_mov_b32_e32 v35, s19
	v_add_co_u32_e32 v34, vcc, s18, v7
	v_addc_co_u32_e32 v35, vcc, v8, v35, vcc
	v_div_fixup_f32 v32, v32, v42, v33
	v_add_f32_e32 v33, v38, v32
	v_fmac_f32_e32 v38, s30, v32
	v_cndmask_b32_e64 v32, v38, v33, s[0:1]
	v_bfe_u32 v33, v32, 16, 1
	v_cmp_o_f32_e32 vcc, v32, v32
	v_add3_u32 v32, v32, v33, s34
	v_cndmask_b32_sdwa v32, v31, v32, vcc dst_sel:DWORD dst_unused:UNUSED_PAD src0_sel:DWORD src1_sel:WORD_1
	global_store_short v[34:35], v32, off
	s_or_b64 exec, exec, s[2:3]
	s_and_saveexec_b64 s[2:3], s[8:9]
	s_cbranch_execz .LBB76_3
.LBB76_27:                              ;   in Loop: Header=BB76_4 Depth=1
	v_div_scale_f32 v32, s[6:7], v43, v43, v36
	v_div_scale_f32 v33, vcc, v36, v43, v36
	v_rcp_f32_e32 v34, v32
	v_fma_f32 v35, -v32, v34, 1.0
	v_fmac_f32_e32 v34, v35, v34
	v_mul_f32_e32 v35, v33, v34
	v_fma_f32 v37, -v32, v35, v33
	v_fmac_f32_e32 v35, v37, v34
	v_fma_f32 v32, -v32, v35, v33
	v_div_fmas_f32 v34, v32, v34, v35
	v_mov_b32_e32 v33, s19
	v_add_co_u32_e32 v32, vcc, s18, v1
	v_addc_co_u32_e32 v33, vcc, v2, v33, vcc
	v_div_fixup_f32 v34, v34, v43, v36
	v_add_f32_e32 v35, v40, v34
	v_fmac_f32_e32 v40, s30, v34
	v_cndmask_b32_e64 v34, v40, v35, s[0:1]
	v_bfe_u32 v35, v34, 16, 1
	v_cmp_o_f32_e32 vcc, v34, v34
	v_add3_u32 v34, v34, v35, s34
	v_cndmask_b32_sdwa v34, v31, v34, vcc dst_sel:DWORD dst_unused:UNUSED_PAD src0_sel:DWORD src1_sel:WORD_1
	global_store_short v[32:33], v34, off
	s_branch .LBB76_3
.LBB76_28:
	s_mov_b64 s[0:1], 0
.LBB76_29:
	s_andn2_b64 vcc, exec, s[0:1]
	s_cbranch_vccnz .LBB76_33
; %bb.30:
	v_mov_b32_e32 v1, 0x10000
	v_mov_b32_e32 v2, 0
	v_cmp_lt_i64_e32 vcc, s[20:21], v[1:2]
	v_mov_b32_e32 v2, 0
	s_and_b64 s[0:1], vcc, exec
	s_cselect_b32 s9, s21, 0
	s_cselect_b32 s8, s20, 0x10000
	v_lshlrev_b32_e32 v1, 2, v0
	v_cmp_gt_i64_e32 vcc, s[8:9], v[1:2]
	s_and_saveexec_b64 s[0:1], vcc
	s_cbranch_execz .LBB76_33
; %bb.31:
	s_load_dword s2, s[4:5], 0xc5c
	v_mov_b32_e32 v1, v2
	v_lshlrev_b32_e32 v2, 3, v0
	v_mov_b32_e32 v3, s19
	v_add_co_u32_e32 v2, vcc, s18, v2
	s_waitcnt lgkmcnt(0)
	s_and_b32 s19, s2, 0xffff
	v_cmp_eq_f32_e64 s[0:1], s30, 1.0
	v_addc_co_u32_e32 v3, vcc, 0, v3, vcc
	s_lshl_b32 s18, s19, 3
	s_mov_b64 s[10:11], 0
	v_mov_b32_e32 v4, s13
	v_mov_b32_e32 v5, s15
	;; [unrolled: 1-line block ×3, first 2 shown]
	s_movk_i32 s13, 0x7fff
	v_mov_b32_e32 v7, 0x7fc0
	v_mov_b32_e32 v8, 0x7fc00000
.LBB76_32:                              ; =>This Inner Loop Header: Depth=1
	v_add_co_u32_e32 v9, vcc, s14, v2
	v_addc_co_u32_e32 v10, vcc, v5, v3, vcc
	v_add_co_u32_e32 v11, vcc, s16, v2
	v_addc_co_u32_e32 v12, vcc, v6, v3, vcc
	;; [unrolled: 2-line block ×4, first 2 shown]
	global_load_dwordx2 v[15:16], v[9:10], off
	global_load_dwordx2 v[17:18], v[11:12], off
	;; [unrolled: 1-line block ×3, first 2 shown]
	v_add_co_u32_e32 v2, vcc, s18, v2
	v_lshlrev_b64 v[9:10], 2, v[0:1]
	v_addc_co_u32_e32 v3, vcc, 0, v3, vcc
	v_cmp_le_i64_e32 vcc, s[8:9], v[9:10]
	s_or_b64 s[10:11], vcc, s[10:11]
	s_waitcnt vmcnt(2)
	v_lshlrev_b32_e32 v9, 16, v15
	s_waitcnt vmcnt(1)
	v_lshlrev_b32_e32 v10, 16, v17
	v_and_b32_e32 v11, 0xffff0000, v15
	v_and_b32_e32 v12, 0xffff0000, v17
	v_alignbit_b32 v15, v16, v15, 16
	v_alignbit_b32 v17, v18, v17, 16
	v_div_scale_f32 v23, s[2:3], v10, v10, v9
	v_and_b32_e32 v16, 0xffff0000, v16
	v_and_b32_e32 v18, 0xffff0000, v18
	v_div_scale_f32 v25, s[2:3], v12, v12, v11
	v_and_b32_e32 v15, 0xffff0000, v15
	v_and_b32_e32 v17, 0xffff0000, v17
	v_div_scale_f32 v27, s[4:5], v18, v18, v16
	v_div_scale_f32 v29, s[6:7], v17, v17, v15
	v_div_scale_f32 v24, vcc, v9, v10, v9
	v_div_scale_f32 v26, s[2:3], v11, v12, v11
	v_div_scale_f32 v30, s[6:7], v15, v17, v15
	;; [unrolled: 1-line block ×3, first 2 shown]
	v_rcp_f32_e32 v31, v23
	v_rcp_f32_e32 v32, v25
	s_waitcnt vmcnt(0)
	v_lshlrev_b32_e32 v21, 16, v19
	v_and_b32_e32 v22, 0xffff0000, v19
	v_rcp_f32_e32 v33, v27
	v_fma_f32 v35, -v23, v31, 1.0
	v_rcp_f32_e32 v34, v29
	v_fma_f32 v36, -v25, v32, 1.0
	v_fmac_f32_e32 v31, v35, v31
	v_fma_f32 v37, -v27, v33, 1.0
	v_fmac_f32_e32 v32, v36, v32
	v_fma_f32 v35, -v29, v34, 1.0
	v_mul_f32_e32 v36, v24, v31
	v_fmac_f32_e32 v33, v37, v33
	v_mul_f32_e32 v37, v26, v32
	v_fmac_f32_e32 v34, v35, v34
	v_fma_f32 v38, -v23, v36, v24
	v_fma_f32 v39, -v25, v37, v26
	v_mul_f32_e32 v41, v30, v34
	v_fmac_f32_e32 v36, v38, v31
	v_mul_f32_e32 v35, v28, v33
	v_fmac_f32_e32 v37, v39, v32
	v_fma_f32 v38, -v29, v41, v30
	v_fma_f32 v23, -v23, v36, v24
	;; [unrolled: 1-line block ×4, first 2 shown]
	v_fmac_f32_e32 v41, v38, v34
	v_div_fmas_f32 v23, v23, v31, v36
	s_mov_b64 vcc, s[2:3]
	v_fmac_f32_e32 v35, v40, v33
	v_fma_f32 v26, -v29, v41, v30
	v_div_fmas_f32 v24, v24, v32, v37
	s_mov_b64 vcc, s[6:7]
	v_fma_f32 v25, -v27, v35, v28
	v_div_fmas_f32 v26, v26, v34, v41
	s_mov_b64 vcc, s[4:5]
	v_div_fmas_f32 v25, v25, v33, v35
	v_alignbit_b32 v19, v20, v19, 16
	v_and_b32_e32 v19, 0xffff0000, v19
	v_and_b32_e32 v20, 0xffff0000, v20
	v_div_fixup_f32 v9, v23, v10, v9
	v_add_f32_e32 v10, v9, v21
	v_fmac_f32_e32 v21, s30, v9
	v_cndmask_b32_e64 v10, v21, v10, s[0:1]
	v_div_fixup_f32 v9, v24, v12, v11
	v_add_f32_e32 v11, v9, v22
	v_fmac_f32_e32 v22, s30, v9
	v_div_fixup_f32 v9, v26, v17, v15
	v_bfe_u32 v12, v10, 16, 1
	v_cndmask_b32_e64 v11, v22, v11, s[0:1]
	v_add_f32_e32 v15, v9, v19
	v_fmac_f32_e32 v19, s30, v9
	v_div_fixup_f32 v9, v25, v18, v16
	v_add3_u32 v12, v10, v12, s13
	v_bfe_u32 v16, v11, 16, 1
	v_cndmask_b32_e64 v15, v19, v15, s[0:1]
	v_add_f32_e32 v17, v9, v20
	v_fmac_f32_e32 v20, s30, v9
	v_lshrrev_b32_e32 v9, 16, v12
	v_add3_u32 v12, v11, v16, s13
	v_bfe_u32 v16, v15, 16, 1
	v_cndmask_b32_e64 v17, v20, v17, s[0:1]
	v_cmp_o_f32_e32 vcc, v10, v10
	v_cndmask_b32_e32 v9, v7, v9, vcc
	v_and_b32_e32 v10, 0xffff0000, v12
	v_add3_u32 v12, v15, v16, s13
	v_bfe_u32 v16, v17, 16, 1
	v_cmp_o_f32_e32 vcc, v11, v11
	v_cndmask_b32_e32 v10, v8, v10, vcc
	v_lshrrev_b32_e32 v11, 16, v12
	v_add3_u32 v12, v17, v16, s13
	v_cmp_o_f32_e32 vcc, v15, v15
	v_cndmask_b32_e32 v11, v7, v11, vcc
	v_and_b32_e32 v12, 0xffff0000, v12
	v_cmp_o_f32_e32 vcc, v17, v17
	v_or_b32_e32 v9, v9, v10
	v_cndmask_b32_e32 v10, v8, v12, vcc
	v_or3_b32 v9, v9, 0, 0
	v_or3_b32 v10, 0, v11, v10
	global_store_dwordx2 v[13:14], v[9:10], off
	s_andn2_b64 exec, exec, s[10:11]
	s_cbranch_execnz .LBB76_32
.LBB76_33:
	s_endpgm
	.section	.rodata,"a",@progbits
	.p2align	6, 0x0
	.amdhsa_kernel _ZN2at6native12_GLOBAL__N_125multi_tensor_apply_kernelINS1_18TensorListMetadataILi3EEENS1_24PointwiseOpScalarFunctorIN3c108BFloat16ELi3ELi3ELi0EEEJSt7dividesIfEfEEEvT_T0_DpT1_
		.amdhsa_group_segment_fixed_size 0
		.amdhsa_private_segment_fixed_size 0
		.amdhsa_kernarg_size 3408
		.amdhsa_user_sgpr_count 6
		.amdhsa_user_sgpr_private_segment_buffer 1
		.amdhsa_user_sgpr_dispatch_ptr 0
		.amdhsa_user_sgpr_queue_ptr 0
		.amdhsa_user_sgpr_kernarg_segment_ptr 1
		.amdhsa_user_sgpr_dispatch_id 0
		.amdhsa_user_sgpr_flat_scratch_init 0
		.amdhsa_user_sgpr_private_segment_size 0
		.amdhsa_uses_dynamic_stack 0
		.amdhsa_system_sgpr_private_segment_wavefront_offset 0
		.amdhsa_system_sgpr_workgroup_id_x 1
		.amdhsa_system_sgpr_workgroup_id_y 0
		.amdhsa_system_sgpr_workgroup_id_z 0
		.amdhsa_system_sgpr_workgroup_info 0
		.amdhsa_system_vgpr_workitem_id 0
		.amdhsa_next_free_vgpr 49
		.amdhsa_next_free_sgpr 35
		.amdhsa_reserve_vcc 1
		.amdhsa_reserve_flat_scratch 0
		.amdhsa_float_round_mode_32 0
		.amdhsa_float_round_mode_16_64 0
		.amdhsa_float_denorm_mode_32 3
		.amdhsa_float_denorm_mode_16_64 3
		.amdhsa_dx10_clamp 1
		.amdhsa_ieee_mode 1
		.amdhsa_fp16_overflow 0
		.amdhsa_exception_fp_ieee_invalid_op 0
		.amdhsa_exception_fp_denorm_src 0
		.amdhsa_exception_fp_ieee_div_zero 0
		.amdhsa_exception_fp_ieee_overflow 0
		.amdhsa_exception_fp_ieee_underflow 0
		.amdhsa_exception_fp_ieee_inexact 0
		.amdhsa_exception_int_div_zero 0
	.end_amdhsa_kernel
	.section	.text._ZN2at6native12_GLOBAL__N_125multi_tensor_apply_kernelINS1_18TensorListMetadataILi3EEENS1_24PointwiseOpScalarFunctorIN3c108BFloat16ELi3ELi3ELi0EEEJSt7dividesIfEfEEEvT_T0_DpT1_,"axG",@progbits,_ZN2at6native12_GLOBAL__N_125multi_tensor_apply_kernelINS1_18TensorListMetadataILi3EEENS1_24PointwiseOpScalarFunctorIN3c108BFloat16ELi3ELi3ELi0EEEJSt7dividesIfEfEEEvT_T0_DpT1_,comdat
.Lfunc_end76:
	.size	_ZN2at6native12_GLOBAL__N_125multi_tensor_apply_kernelINS1_18TensorListMetadataILi3EEENS1_24PointwiseOpScalarFunctorIN3c108BFloat16ELi3ELi3ELi0EEEJSt7dividesIfEfEEEvT_T0_DpT1_, .Lfunc_end76-_ZN2at6native12_GLOBAL__N_125multi_tensor_apply_kernelINS1_18TensorListMetadataILi3EEENS1_24PointwiseOpScalarFunctorIN3c108BFloat16ELi3ELi3ELi0EEEJSt7dividesIfEfEEEvT_T0_DpT1_
                                        ; -- End function
	.set _ZN2at6native12_GLOBAL__N_125multi_tensor_apply_kernelINS1_18TensorListMetadataILi3EEENS1_24PointwiseOpScalarFunctorIN3c108BFloat16ELi3ELi3ELi0EEEJSt7dividesIfEfEEEvT_T0_DpT1_.num_vgpr, 49
	.set _ZN2at6native12_GLOBAL__N_125multi_tensor_apply_kernelINS1_18TensorListMetadataILi3EEENS1_24PointwiseOpScalarFunctorIN3c108BFloat16ELi3ELi3ELi0EEEJSt7dividesIfEfEEEvT_T0_DpT1_.num_agpr, 0
	.set _ZN2at6native12_GLOBAL__N_125multi_tensor_apply_kernelINS1_18TensorListMetadataILi3EEENS1_24PointwiseOpScalarFunctorIN3c108BFloat16ELi3ELi3ELi0EEEJSt7dividesIfEfEEEvT_T0_DpT1_.numbered_sgpr, 35
	.set _ZN2at6native12_GLOBAL__N_125multi_tensor_apply_kernelINS1_18TensorListMetadataILi3EEENS1_24PointwiseOpScalarFunctorIN3c108BFloat16ELi3ELi3ELi0EEEJSt7dividesIfEfEEEvT_T0_DpT1_.num_named_barrier, 0
	.set _ZN2at6native12_GLOBAL__N_125multi_tensor_apply_kernelINS1_18TensorListMetadataILi3EEENS1_24PointwiseOpScalarFunctorIN3c108BFloat16ELi3ELi3ELi0EEEJSt7dividesIfEfEEEvT_T0_DpT1_.private_seg_size, 0
	.set _ZN2at6native12_GLOBAL__N_125multi_tensor_apply_kernelINS1_18TensorListMetadataILi3EEENS1_24PointwiseOpScalarFunctorIN3c108BFloat16ELi3ELi3ELi0EEEJSt7dividesIfEfEEEvT_T0_DpT1_.uses_vcc, 1
	.set _ZN2at6native12_GLOBAL__N_125multi_tensor_apply_kernelINS1_18TensorListMetadataILi3EEENS1_24PointwiseOpScalarFunctorIN3c108BFloat16ELi3ELi3ELi0EEEJSt7dividesIfEfEEEvT_T0_DpT1_.uses_flat_scratch, 0
	.set _ZN2at6native12_GLOBAL__N_125multi_tensor_apply_kernelINS1_18TensorListMetadataILi3EEENS1_24PointwiseOpScalarFunctorIN3c108BFloat16ELi3ELi3ELi0EEEJSt7dividesIfEfEEEvT_T0_DpT1_.has_dyn_sized_stack, 0
	.set _ZN2at6native12_GLOBAL__N_125multi_tensor_apply_kernelINS1_18TensorListMetadataILi3EEENS1_24PointwiseOpScalarFunctorIN3c108BFloat16ELi3ELi3ELi0EEEJSt7dividesIfEfEEEvT_T0_DpT1_.has_recursion, 0
	.set _ZN2at6native12_GLOBAL__N_125multi_tensor_apply_kernelINS1_18TensorListMetadataILi3EEENS1_24PointwiseOpScalarFunctorIN3c108BFloat16ELi3ELi3ELi0EEEJSt7dividesIfEfEEEvT_T0_DpT1_.has_indirect_call, 0
	.section	.AMDGPU.csdata,"",@progbits
; Kernel info:
; codeLenInByte = 2868
; TotalNumSgprs: 39
; NumVgprs: 49
; ScratchSize: 0
; MemoryBound: 0
; FloatMode: 240
; IeeeMode: 1
; LDSByteSize: 0 bytes/workgroup (compile time only)
; SGPRBlocks: 4
; VGPRBlocks: 12
; NumSGPRsForWavesPerEU: 39
; NumVGPRsForWavesPerEU: 49
; Occupancy: 4
; WaveLimiterHint : 0
; COMPUTE_PGM_RSRC2:SCRATCH_EN: 0
; COMPUTE_PGM_RSRC2:USER_SGPR: 6
; COMPUTE_PGM_RSRC2:TRAP_HANDLER: 0
; COMPUTE_PGM_RSRC2:TGID_X_EN: 1
; COMPUTE_PGM_RSRC2:TGID_Y_EN: 0
; COMPUTE_PGM_RSRC2:TGID_Z_EN: 0
; COMPUTE_PGM_RSRC2:TIDIG_COMP_CNT: 0
	.section	.text._ZN2at6native12_GLOBAL__N_125multi_tensor_apply_kernelINS1_18TensorListMetadataILi3EEENS1_32PointwiseOpScalar0dTensorFunctorIhLi3ELi2ELi0EEEJSt7dividesIhEhEEEvT_T0_DpT1_,"axG",@progbits,_ZN2at6native12_GLOBAL__N_125multi_tensor_apply_kernelINS1_18TensorListMetadataILi3EEENS1_32PointwiseOpScalar0dTensorFunctorIhLi3ELi2ELi0EEEJSt7dividesIhEhEEEvT_T0_DpT1_,comdat
	.globl	_ZN2at6native12_GLOBAL__N_125multi_tensor_apply_kernelINS1_18TensorListMetadataILi3EEENS1_32PointwiseOpScalar0dTensorFunctorIhLi3ELi2ELi0EEEJSt7dividesIhEhEEEvT_T0_DpT1_ ; -- Begin function _ZN2at6native12_GLOBAL__N_125multi_tensor_apply_kernelINS1_18TensorListMetadataILi3EEENS1_32PointwiseOpScalar0dTensorFunctorIhLi3ELi2ELi0EEEJSt7dividesIhEhEEEvT_T0_DpT1_
	.p2align	8
	.type	_ZN2at6native12_GLOBAL__N_125multi_tensor_apply_kernelINS1_18TensorListMetadataILi3EEENS1_32PointwiseOpScalar0dTensorFunctorIhLi3ELi2ELi0EEEJSt7dividesIhEhEEEvT_T0_DpT1_,@function
_ZN2at6native12_GLOBAL__N_125multi_tensor_apply_kernelINS1_18TensorListMetadataILi3EEENS1_32PointwiseOpScalar0dTensorFunctorIhLi3ELi2ELi0EEEJSt7dividesIhEhEEEvT_T0_DpT1_: ; @_ZN2at6native12_GLOBAL__N_125multi_tensor_apply_kernelINS1_18TensorListMetadataILi3EEENS1_32PointwiseOpScalar0dTensorFunctorIhLi3ELi2ELi0EEEJSt7dividesIhEhEEEvT_T0_DpT1_
; %bb.0:
	v_mov_b32_e32 v1, s6
	global_load_ubyte v1, v1, s[4:5] offset:1536
	s_add_u32 s0, s4, s6
	s_addc_u32 s1, s5, 0
	s_mul_hi_u32 s2, s6, 3
	s_mul_i32 s6, s6, 3
	s_add_u32 s0, s0, s6
	s_addc_u32 s1, s1, s2
	s_load_dword s0, s[0:1], 0x740
	v_mov_b32_e32 v3, 0
	s_waitcnt vmcnt(0)
	v_readfirstlane_b32 s1, v1
	s_lshl_b32 s1, s1, 3
	s_load_dwordx2 s[2:3], s[4:5], s1 offset:0x180
	s_load_dwordx2 s[8:9], s[4:5], s1 offset:0x300
	s_waitcnt lgkmcnt(0)
	global_load_ubyte v4, v3, s[2:3]
	s_load_dword s22, s[4:5], 0xc48
	s_load_dwordx2 s[10:11], s[4:5], s1 offset:0x0
	s_load_dwordx2 s[6:7], s[4:5], s1 offset:0x480
	s_ashr_i32 s1, s0, 31
	s_lshl_b64 s[12:13], s[0:1], 16
	s_mov_b32 s3, 0
	s_waitcnt lgkmcnt(0)
	s_add_u32 s0, s10, s12
	s_addc_u32 s1, s11, s13
	s_add_u32 s2, s2, s12
	s_or_b32 s2, s8, s2
	s_and_b32 s2, s2, 3
	s_cmp_lg_u32 s2, 0
	s_cselect_b64 s[16:17], -1, 0
	s_sub_u32 s14, s6, s12
	s_subb_u32 s15, s7, s13
	s_or_b64 s[0:1], s[6:7], s[0:1]
	s_and_b32 s2, s0, 3
	s_cmp_lg_u64 s[2:3], 0
	s_cselect_b64 s[0:1], -1, 0
	s_or_b64 s[0:1], s[16:17], s[0:1]
	s_andn2_b64 vcc, exec, s[0:1]
	s_mov_b64 s[0:1], -1
	s_cbranch_vccz .LBB77_5
; %bb.1:
	v_mov_b32_e32 v1, 0x10000
	v_mov_b32_e32 v2, 0
	v_cmp_lt_i64_e32 vcc, s[14:15], v[1:2]
	v_lshlrev_b32_e32 v2, 2, v0
	s_and_b64 s[0:1], vcc, exec
	s_cselect_b32 s17, s15, 0
	s_cselect_b32 s16, s14, 0x10000
	v_cmp_gt_i64_e32 vcc, s[16:17], v[2:3]
	s_and_saveexec_b64 s[18:19], vcc
	s_cbranch_execz .LBB77_4
; %bb.2:
	s_load_dword s0, s[4:5], 0xc5c
	v_mov_b32_e32 v1, v3
	v_mov_b32_e32 v6, s13
	v_add_co_u32_e32 v5, vcc, s12, v2
	s_waitcnt lgkmcnt(0)
	s_and_b32 s23, s0, 0xffff
	v_mov_b32_e32 v2, v1
	s_waitcnt vmcnt(0)
	v_cvt_f32_ubyte0_e32 v3, v4
	v_addc_co_u32_e32 v6, vcc, 0, v6, vcc
	s_lshl_b32 s24, s23, 2
	s_mov_b64 s[20:21], 0
	s_lshr_b32 s25, s22, 16
	v_mov_b32_e32 v7, s11
	v_mov_b32_e32 v8, s9
	s_mov_b32 s26, 0x6050400
	v_mov_b32_e32 v1, v0
.LBB77_3:                               ; =>This Inner Loop Header: Depth=1
	v_add_co_u32_e32 v9, vcc, s10, v5
	v_addc_co_u32_e32 v10, vcc, v7, v6, vcc
	v_add_co_u32_e32 v11, vcc, s8, v5
	v_addc_co_u32_e32 v12, vcc, v8, v6, vcc
	global_load_dword v13, v[11:12], off
	global_load_dword v14, v[9:10], off
	v_add_co_u32_e32 v1, vcc, s23, v1
	v_addc_co_u32_e32 v2, vcc, 0, v2, vcc
	v_add_co_u32_e32 v5, vcc, s24, v5
	v_lshlrev_b64 v[11:12], 2, v[1:2]
	v_addc_co_u32_e32 v6, vcc, 0, v6, vcc
	v_cmp_le_i64_e32 vcc, s[16:17], v[11:12]
	s_or_b64 s[20:21], vcc, s[20:21]
	s_waitcnt vmcnt(1)
	v_cvt_f32_ubyte1_e32 v15, v13
	v_cvt_f32_ubyte2_e32 v17, v13
	v_cvt_f32_ubyte0_e32 v11, v13
	v_cvt_f32_ubyte3_e32 v13, v13
	v_rcp_iflag_f32_e32 v19, v15
	v_rcp_iflag_f32_e32 v20, v17
	;; [unrolled: 1-line block ×4, first 2 shown]
	v_mul_f32_e32 v19, v3, v19
	v_mul_f32_e32 v20, v3, v20
	;; [unrolled: 1-line block ×4, first 2 shown]
	v_trunc_f32_e32 v19, v19
	v_trunc_f32_e32 v20, v20
	;; [unrolled: 1-line block ×4, first 2 shown]
	v_mad_f32 v23, -v19, v15, v3
	v_cvt_u32_f32_e32 v19, v19
	v_mad_f32 v24, -v20, v17, v3
	v_cvt_u32_f32_e32 v20, v20
	;; [unrolled: 2-line block ×3, first 2 shown]
	v_cvt_u32_f32_e32 v26, v21
	v_mad_f32 v21, -v21, v11, v3
	v_cmp_ge_f32_e64 vcc, |v23|, v15
	v_cmp_ge_f32_e64 s[0:1], |v24|, v17
	s_waitcnt vmcnt(0)
	v_lshrrev_b32_e32 v12, 8, v14
	v_lshrrev_b32_e32 v16, 16, v14
	v_cmp_ge_f32_e64 s[2:3], |v25|, v13
	v_cmp_ge_f32_e64 s[6:7], |v21|, v11
	v_addc_co_u32_e32 v13, vcc, 0, v19, vcc
	v_addc_co_u32_e64 v15, vcc, 0, v20, s[0:1]
	v_lshrrev_b32_e32 v18, 24, v14
	v_addc_co_u32_e64 v11, s[6:7], 0, v26, s[6:7]
	v_addc_co_u32_e64 v17, vcc, 0, v22, s[2:3]
	v_mad_legacy_u16 v12, v13, s25, v12
	v_mad_legacy_u16 v13, v15, s25, v16
	;; [unrolled: 1-line block ×4, first 2 shown]
	v_and_b32_e32 v12, 0xff, v12
	v_and_b32_e32 v13, 0xff, v13
	v_lshlrev_b32_e32 v14, 24, v14
	v_perm_b32 v11, v12, v11, s26
	v_lshlrev_b32_e32 v12, 16, v13
	v_or3_b32 v11, v11, v12, v14
	global_store_dword v[9:10], v11, off
	s_andn2_b64 exec, exec, s[20:21]
	s_cbranch_execnz .LBB77_3
.LBB77_4:
	s_or_b64 exec, exec, s[18:19]
	s_mov_b64 s[0:1], 0
.LBB77_5:
	s_andn2_b64 vcc, exec, s[0:1]
	s_cbranch_vccnz .LBB77_25
; %bb.6:
	v_cmp_lt_i64_e64 s[0:1], s[14:15], 1
	s_and_b64 vcc, exec, s[0:1]
	s_cbranch_vccnz .LBB77_25
; %bb.7:
	v_mov_b32_e32 v1, 0x10000
	s_load_dword s2, s[4:5], 0xc5c
	v_mov_b32_e32 v2, 0
	v_cmp_lt_i64_e32 vcc, s[14:15], v[1:2]
	v_mov_b32_e32 v3, s11
	s_and_b64 s[0:1], vcc, exec
	v_cmp_lt_u64_e32 vcc, s[14:15], v[1:2]
	s_cselect_b32 s1, s15, 0
	s_cselect_b32 s0, s14, 0x10000
	s_waitcnt lgkmcnt(0)
	s_and_b32 s16, s2, 0xffff
	s_and_b64 s[2:3], vcc, exec
	v_mov_b32_e32 v1, s13
	v_add_co_u32_e32 v2, vcc, s12, v0
	v_addc_co_u32_e32 v1, vcc, 0, v1, vcc
	v_add_co_u32_e32 v10, vcc, s10, v2
	s_cselect_b32 s3, s15, 0
	s_cselect_b32 s2, s14, 0x10000
	s_lshl_b32 s15, s16, 1
	s_mul_i32 s6, s16, 3
	s_lshl_b32 s14, s16, 2
	v_addc_co_u32_e32 v11, vcc, v3, v1, vcc
	v_mov_b32_e32 v3, s9
	v_add_co_u32_e32 v12, vcc, s8, v2
	s_add_u32 s4, s12, s6
	v_addc_co_u32_e32 v13, vcc, v3, v1, vcc
	s_addc_u32 s5, s13, 0
	s_waitcnt vmcnt(0)
	v_cvt_f32_ubyte0_e32 v9, v4
	v_mov_b32_e32 v3, s5
	v_add_co_u32_e32 v4, vcc, s4, v0
	v_addc_co_u32_e32 v3, vcc, 0, v3, vcc
	v_mov_b32_e32 v5, s11
	v_add_co_u32_e32 v14, vcc, s10, v4
	v_addc_co_u32_e32 v15, vcc, v5, v3, vcc
	v_mov_b32_e32 v5, s9
	v_add_co_u32_e32 v16, vcc, s8, v4
	s_add_u32 s4, s12, s15
	v_addc_co_u32_e32 v17, vcc, v5, v3, vcc
	s_addc_u32 s5, s13, 0
	v_mov_b32_e32 v3, s5
	v_add_co_u32_e32 v4, vcc, s4, v0
	v_addc_co_u32_e32 v3, vcc, 0, v3, vcc
	v_mov_b32_e32 v5, s11
	v_add_co_u32_e32 v18, vcc, s10, v4
	v_addc_co_u32_e32 v19, vcc, v5, v3, vcc
	;; [unrolled: 3-line block ×3, first 2 shown]
	v_add_co_u32_e32 v2, vcc, s16, v2
	v_addc_co_u32_e32 v1, vcc, 0, v1, vcc
	v_mov_b32_e32 v3, s11
	v_add_co_u32_e32 v22, vcc, s10, v2
	v_addc_co_u32_e32 v23, vcc, v3, v1, vcc
	v_mov_b32_e32 v3, s9
	v_add_co_u32_e32 v24, vcc, s8, v2
	v_addc_co_u32_e32 v25, vcc, v3, v1, vcc
	v_add_co_u32_e32 v26, vcc, s6, v0
	v_addc_co_u32_e64 v27, s[6:7], 0, 0, vcc
	v_add_co_u32_e32 v28, vcc, s15, v0
	v_addc_co_u32_e64 v29, s[6:7], 0, 0, vcc
	v_add_co_u32_e32 v30, vcc, s16, v0
	s_mov_b64 s[4:5], 0
	v_addc_co_u32_e64 v31, s[6:7], 0, 0, vcc
	s_branch .LBB77_9
.LBB77_8:                               ;   in Loop: Header=BB77_9 Depth=1
	s_or_b64 exec, exec, s[6:7]
	s_add_u32 s4, s4, s14
	v_mov_b32_e32 v2, s1
	s_addc_u32 s5, s5, 0
	v_mov_b32_e32 v1, s0
	v_cmp_ge_i64_e32 vcc, s[4:5], v[1:2]
	s_cbranch_vccnz .LBB77_25
.LBB77_9:                               ; =>This Inner Loop Header: Depth=1
	v_mov_b32_e32 v2, s5
	v_add_co_u32_e32 v1, vcc, s4, v0
	v_addc_co_u32_e32 v2, vcc, 0, v2, vcc
	v_cmp_gt_i64_e32 vcc, s[0:1], v[1:2]
	s_waitcnt vmcnt(0)
	v_mov_b32_e32 v33, 0
	v_mov_b32_e32 v32, 0
	s_and_saveexec_b64 s[6:7], vcc
	s_cbranch_execz .LBB77_11
; %bb.10:                               ;   in Loop: Header=BB77_9 Depth=1
	v_mov_b32_e32 v6, s5
	v_add_co_u32_e32 v3, vcc, s4, v10
	v_addc_co_u32_e32 v4, vcc, v11, v6, vcc
	v_add_co_u32_e32 v5, vcc, s4, v12
	v_addc_co_u32_e32 v6, vcc, v13, v6, vcc
	global_load_ubyte v32, v[3:4], off
	global_load_ubyte v33, v[5:6], off
.LBB77_11:                              ;   in Loop: Header=BB77_9 Depth=1
	s_or_b64 exec, exec, s[6:7]
	v_mov_b32_e32 v4, s5
	v_add_co_u32_e32 v3, vcc, s4, v30
	v_addc_co_u32_e32 v4, vcc, v31, v4, vcc
	v_cmp_gt_i64_e32 vcc, s[0:1], v[3:4]
	s_and_saveexec_b64 s[6:7], vcc
	s_cbranch_execz .LBB77_13
; %bb.12:                               ;   in Loop: Header=BB77_9 Depth=1
	v_mov_b32_e32 v8, s5
	v_add_co_u32_e32 v5, vcc, s4, v24
	v_addc_co_u32_e32 v6, vcc, v25, v8, vcc
	v_add_co_u32_e32 v7, vcc, s4, v22
	v_addc_co_u32_e32 v8, vcc, v23, v8, vcc
	global_load_ubyte v34, v[7:8], off
	global_load_ubyte v35, v[5:6], off
	s_waitcnt vmcnt(1)
	v_lshl_or_b32 v32, v34, 8, v32
	s_waitcnt vmcnt(0)
	v_lshl_or_b32 v33, v35, 8, v33
.LBB77_13:                              ;   in Loop: Header=BB77_9 Depth=1
	s_or_b64 exec, exec, s[6:7]
	v_mov_b32_e32 v6, s5
	v_add_co_u32_e32 v5, vcc, s4, v28
	v_addc_co_u32_e32 v6, vcc, v29, v6, vcc
	v_cmp_gt_i64_e32 vcc, s[0:1], v[5:6]
	s_and_saveexec_b64 s[6:7], vcc
	s_cbranch_execz .LBB77_15
; %bb.14:                               ;   in Loop: Header=BB77_9 Depth=1
	v_mov_b32_e32 v35, s5
	v_add_co_u32_e32 v7, vcc, s4, v20
	v_addc_co_u32_e32 v8, vcc, v21, v35, vcc
	v_add_co_u32_e32 v34, vcc, s4, v18
	v_addc_co_u32_e32 v35, vcc, v19, v35, vcc
	global_load_ubyte v36, v[34:35], off
	global_load_ubyte v37, v[7:8], off
	s_waitcnt vmcnt(1)
	v_lshl_or_b32 v32, v36, 16, v32
	s_waitcnt vmcnt(0)
	v_lshl_or_b32 v33, v37, 16, v33
.LBB77_15:                              ;   in Loop: Header=BB77_9 Depth=1
	s_or_b64 exec, exec, s[6:7]
	v_mov_b32_e32 v8, s5
	v_add_co_u32_e32 v7, vcc, s4, v26
	v_addc_co_u32_e32 v8, vcc, v27, v8, vcc
	v_cmp_gt_i64_e32 vcc, s[0:1], v[7:8]
	s_and_saveexec_b64 s[6:7], vcc
	s_cbranch_execnz .LBB77_20
; %bb.16:                               ;   in Loop: Header=BB77_9 Depth=1
	s_or_b64 exec, exec, s[6:7]
	v_cmp_gt_u64_e32 vcc, s[2:3], v[1:2]
	s_and_saveexec_b64 s[6:7], vcc
	s_cbranch_execnz .LBB77_21
.LBB77_17:                              ;   in Loop: Header=BB77_9 Depth=1
	s_or_b64 exec, exec, s[6:7]
	v_cmp_gt_u64_e32 vcc, s[2:3], v[3:4]
	s_and_saveexec_b64 s[6:7], vcc
	s_cbranch_execnz .LBB77_22
.LBB77_18:                              ;   in Loop: Header=BB77_9 Depth=1
	s_or_b64 exec, exec, s[6:7]
	v_cmp_gt_u64_e32 vcc, s[2:3], v[5:6]
	s_and_saveexec_b64 s[6:7], vcc
	s_cbranch_execnz .LBB77_23
.LBB77_19:                              ;   in Loop: Header=BB77_9 Depth=1
	s_or_b64 exec, exec, s[6:7]
	v_cmp_gt_u64_e32 vcc, s[2:3], v[7:8]
	s_and_saveexec_b64 s[6:7], vcc
	s_cbranch_execz .LBB77_8
	s_branch .LBB77_24
.LBB77_20:                              ;   in Loop: Header=BB77_9 Depth=1
	v_mov_b32_e32 v37, s5
	v_add_co_u32_e32 v34, vcc, s4, v16
	v_addc_co_u32_e32 v35, vcc, v17, v37, vcc
	v_add_co_u32_e32 v36, vcc, s4, v14
	v_addc_co_u32_e32 v37, vcc, v15, v37, vcc
	global_load_ubyte v38, v[36:37], off
	global_load_ubyte v39, v[34:35], off
	s_waitcnt vmcnt(1)
	v_lshl_or_b32 v32, v38, 24, v32
	s_waitcnt vmcnt(0)
	v_lshl_or_b32 v33, v39, 24, v33
	s_or_b64 exec, exec, s[6:7]
	v_cmp_gt_u64_e32 vcc, s[2:3], v[1:2]
	s_and_saveexec_b64 s[6:7], vcc
	s_cbranch_execz .LBB77_17
.LBB77_21:                              ;   in Loop: Header=BB77_9 Depth=1
	s_waitcnt vmcnt(0)
	v_cvt_f32_ubyte0_e32 v34, v33
	v_rcp_iflag_f32_e32 v35, v34
	v_mov_b32_e32 v2, s5
	v_add_co_u32_e32 v1, vcc, s4, v10
	v_mul_f32_e32 v35, v9, v35
	v_trunc_f32_e32 v35, v35
	v_cvt_u32_f32_e32 v36, v35
	v_addc_co_u32_e32 v2, vcc, v11, v2, vcc
	v_mad_f32 v35, -v35, v34, v9
	v_cmp_ge_f32_e64 vcc, |v35|, v34
	s_lshr_b32 s8, s22, 16
	v_addc_co_u32_e32 v34, vcc, 0, v36, vcc
	v_mad_legacy_u16 v34, v34, s8, v32
	global_store_byte v[1:2], v34, off
	s_or_b64 exec, exec, s[6:7]
	v_cmp_gt_u64_e32 vcc, s[2:3], v[3:4]
	s_and_saveexec_b64 s[6:7], vcc
	s_cbranch_execz .LBB77_18
.LBB77_22:                              ;   in Loop: Header=BB77_9 Depth=1
	s_waitcnt vmcnt(0)
	v_cvt_f32_ubyte1_e32 v1, v33
	v_rcp_iflag_f32_e32 v2, v1
	s_lshr_b32 s8, s22, 16
	v_lshrrev_b32_e32 v3, 8, v32
	v_mov_b32_e32 v4, s5
	v_mul_f32_e32 v2, v9, v2
	v_trunc_f32_e32 v2, v2
	v_cvt_u32_f32_e32 v34, v2
	v_mad_f32 v2, -v2, v1, v9
	v_cmp_ge_f32_e64 vcc, |v2|, v1
	v_addc_co_u32_e32 v1, vcc, 0, v34, vcc
	v_mad_legacy_u16 v3, v1, s8, v3
	v_add_co_u32_e32 v1, vcc, s4, v22
	v_addc_co_u32_e32 v2, vcc, v23, v4, vcc
	global_store_byte v[1:2], v3, off
	s_or_b64 exec, exec, s[6:7]
	v_cmp_gt_u64_e32 vcc, s[2:3], v[5:6]
	s_and_saveexec_b64 s[6:7], vcc
	s_cbranch_execz .LBB77_19
.LBB77_23:                              ;   in Loop: Header=BB77_9 Depth=1
	s_waitcnt vmcnt(0)
	v_cvt_f32_ubyte2_e32 v1, v33
	v_rcp_iflag_f32_e32 v2, v1
	s_lshr_b32 s8, s22, 16
	v_lshrrev_b32_e32 v3, 16, v32
	v_mov_b32_e32 v4, s5
	v_mul_f32_e32 v2, v9, v2
	v_trunc_f32_e32 v2, v2
	v_cvt_u32_f32_e32 v5, v2
	v_mad_f32 v2, -v2, v1, v9
	v_cmp_ge_f32_e64 vcc, |v2|, v1
	v_addc_co_u32_e32 v1, vcc, 0, v5, vcc
	v_mad_legacy_u16 v3, v1, s8, v3
	v_add_co_u32_e32 v1, vcc, s4, v18
	v_addc_co_u32_e32 v2, vcc, v19, v4, vcc
	global_store_byte v[1:2], v3, off
	s_or_b64 exec, exec, s[6:7]
	v_cmp_gt_u64_e32 vcc, s[2:3], v[7:8]
	s_and_saveexec_b64 s[6:7], vcc
	s_cbranch_execz .LBB77_8
.LBB77_24:                              ;   in Loop: Header=BB77_9 Depth=1
	s_waitcnt vmcnt(0)
	v_cvt_f32_ubyte3_e32 v1, v33
	v_rcp_iflag_f32_e32 v2, v1
	s_lshr_b32 s8, s22, 16
	v_lshrrev_b32_e32 v3, 24, v32
	v_mov_b32_e32 v4, s5
	v_mul_f32_e32 v2, v9, v2
	v_trunc_f32_e32 v2, v2
	v_cvt_u32_f32_e32 v5, v2
	v_mad_f32 v2, -v2, v1, v9
	v_cmp_ge_f32_e64 vcc, |v2|, v1
	v_addc_co_u32_e32 v1, vcc, 0, v5, vcc
	v_mad_legacy_u16 v3, v1, s8, v3
	v_add_co_u32_e32 v1, vcc, s4, v14
	v_addc_co_u32_e32 v2, vcc, v15, v4, vcc
	global_store_byte v[1:2], v3, off
	s_branch .LBB77_8
.LBB77_25:
	s_endpgm
	.section	.rodata,"a",@progbits
	.p2align	6, 0x0
	.amdhsa_kernel _ZN2at6native12_GLOBAL__N_125multi_tensor_apply_kernelINS1_18TensorListMetadataILi3EEENS1_32PointwiseOpScalar0dTensorFunctorIhLi3ELi2ELi0EEEJSt7dividesIhEhEEEvT_T0_DpT1_
		.amdhsa_group_segment_fixed_size 0
		.amdhsa_private_segment_fixed_size 0
		.amdhsa_kernarg_size 3408
		.amdhsa_user_sgpr_count 6
		.amdhsa_user_sgpr_private_segment_buffer 1
		.amdhsa_user_sgpr_dispatch_ptr 0
		.amdhsa_user_sgpr_queue_ptr 0
		.amdhsa_user_sgpr_kernarg_segment_ptr 1
		.amdhsa_user_sgpr_dispatch_id 0
		.amdhsa_user_sgpr_flat_scratch_init 0
		.amdhsa_user_sgpr_private_segment_size 0
		.amdhsa_uses_dynamic_stack 0
		.amdhsa_system_sgpr_private_segment_wavefront_offset 0
		.amdhsa_system_sgpr_workgroup_id_x 1
		.amdhsa_system_sgpr_workgroup_id_y 0
		.amdhsa_system_sgpr_workgroup_id_z 0
		.amdhsa_system_sgpr_workgroup_info 0
		.amdhsa_system_vgpr_workitem_id 0
		.amdhsa_next_free_vgpr 40
		.amdhsa_next_free_sgpr 27
		.amdhsa_reserve_vcc 1
		.amdhsa_reserve_flat_scratch 0
		.amdhsa_float_round_mode_32 0
		.amdhsa_float_round_mode_16_64 0
		.amdhsa_float_denorm_mode_32 3
		.amdhsa_float_denorm_mode_16_64 3
		.amdhsa_dx10_clamp 1
		.amdhsa_ieee_mode 1
		.amdhsa_fp16_overflow 0
		.amdhsa_exception_fp_ieee_invalid_op 0
		.amdhsa_exception_fp_denorm_src 0
		.amdhsa_exception_fp_ieee_div_zero 0
		.amdhsa_exception_fp_ieee_overflow 0
		.amdhsa_exception_fp_ieee_underflow 0
		.amdhsa_exception_fp_ieee_inexact 0
		.amdhsa_exception_int_div_zero 0
	.end_amdhsa_kernel
	.section	.text._ZN2at6native12_GLOBAL__N_125multi_tensor_apply_kernelINS1_18TensorListMetadataILi3EEENS1_32PointwiseOpScalar0dTensorFunctorIhLi3ELi2ELi0EEEJSt7dividesIhEhEEEvT_T0_DpT1_,"axG",@progbits,_ZN2at6native12_GLOBAL__N_125multi_tensor_apply_kernelINS1_18TensorListMetadataILi3EEENS1_32PointwiseOpScalar0dTensorFunctorIhLi3ELi2ELi0EEEJSt7dividesIhEhEEEvT_T0_DpT1_,comdat
.Lfunc_end77:
	.size	_ZN2at6native12_GLOBAL__N_125multi_tensor_apply_kernelINS1_18TensorListMetadataILi3EEENS1_32PointwiseOpScalar0dTensorFunctorIhLi3ELi2ELi0EEEJSt7dividesIhEhEEEvT_T0_DpT1_, .Lfunc_end77-_ZN2at6native12_GLOBAL__N_125multi_tensor_apply_kernelINS1_18TensorListMetadataILi3EEENS1_32PointwiseOpScalar0dTensorFunctorIhLi3ELi2ELi0EEEJSt7dividesIhEhEEEvT_T0_DpT1_
                                        ; -- End function
	.set _ZN2at6native12_GLOBAL__N_125multi_tensor_apply_kernelINS1_18TensorListMetadataILi3EEENS1_32PointwiseOpScalar0dTensorFunctorIhLi3ELi2ELi0EEEJSt7dividesIhEhEEEvT_T0_DpT1_.num_vgpr, 40
	.set _ZN2at6native12_GLOBAL__N_125multi_tensor_apply_kernelINS1_18TensorListMetadataILi3EEENS1_32PointwiseOpScalar0dTensorFunctorIhLi3ELi2ELi0EEEJSt7dividesIhEhEEEvT_T0_DpT1_.num_agpr, 0
	.set _ZN2at6native12_GLOBAL__N_125multi_tensor_apply_kernelINS1_18TensorListMetadataILi3EEENS1_32PointwiseOpScalar0dTensorFunctorIhLi3ELi2ELi0EEEJSt7dividesIhEhEEEvT_T0_DpT1_.numbered_sgpr, 27
	.set _ZN2at6native12_GLOBAL__N_125multi_tensor_apply_kernelINS1_18TensorListMetadataILi3EEENS1_32PointwiseOpScalar0dTensorFunctorIhLi3ELi2ELi0EEEJSt7dividesIhEhEEEvT_T0_DpT1_.num_named_barrier, 0
	.set _ZN2at6native12_GLOBAL__N_125multi_tensor_apply_kernelINS1_18TensorListMetadataILi3EEENS1_32PointwiseOpScalar0dTensorFunctorIhLi3ELi2ELi0EEEJSt7dividesIhEhEEEvT_T0_DpT1_.private_seg_size, 0
	.set _ZN2at6native12_GLOBAL__N_125multi_tensor_apply_kernelINS1_18TensorListMetadataILi3EEENS1_32PointwiseOpScalar0dTensorFunctorIhLi3ELi2ELi0EEEJSt7dividesIhEhEEEvT_T0_DpT1_.uses_vcc, 1
	.set _ZN2at6native12_GLOBAL__N_125multi_tensor_apply_kernelINS1_18TensorListMetadataILi3EEENS1_32PointwiseOpScalar0dTensorFunctorIhLi3ELi2ELi0EEEJSt7dividesIhEhEEEvT_T0_DpT1_.uses_flat_scratch, 0
	.set _ZN2at6native12_GLOBAL__N_125multi_tensor_apply_kernelINS1_18TensorListMetadataILi3EEENS1_32PointwiseOpScalar0dTensorFunctorIhLi3ELi2ELi0EEEJSt7dividesIhEhEEEvT_T0_DpT1_.has_dyn_sized_stack, 0
	.set _ZN2at6native12_GLOBAL__N_125multi_tensor_apply_kernelINS1_18TensorListMetadataILi3EEENS1_32PointwiseOpScalar0dTensorFunctorIhLi3ELi2ELi0EEEJSt7dividesIhEhEEEvT_T0_DpT1_.has_recursion, 0
	.set _ZN2at6native12_GLOBAL__N_125multi_tensor_apply_kernelINS1_18TensorListMetadataILi3EEENS1_32PointwiseOpScalar0dTensorFunctorIhLi3ELi2ELi0EEEJSt7dividesIhEhEEEvT_T0_DpT1_.has_indirect_call, 0
	.section	.AMDGPU.csdata,"",@progbits
; Kernel info:
; codeLenInByte = 1812
; TotalNumSgprs: 31
; NumVgprs: 40
; ScratchSize: 0
; MemoryBound: 0
; FloatMode: 240
; IeeeMode: 1
; LDSByteSize: 0 bytes/workgroup (compile time only)
; SGPRBlocks: 3
; VGPRBlocks: 9
; NumSGPRsForWavesPerEU: 31
; NumVGPRsForWavesPerEU: 40
; Occupancy: 6
; WaveLimiterHint : 0
; COMPUTE_PGM_RSRC2:SCRATCH_EN: 0
; COMPUTE_PGM_RSRC2:USER_SGPR: 6
; COMPUTE_PGM_RSRC2:TRAP_HANDLER: 0
; COMPUTE_PGM_RSRC2:TGID_X_EN: 1
; COMPUTE_PGM_RSRC2:TGID_Y_EN: 0
; COMPUTE_PGM_RSRC2:TGID_Z_EN: 0
; COMPUTE_PGM_RSRC2:TIDIG_COMP_CNT: 0
	.section	.text._ZN2at6native12_GLOBAL__N_125multi_tensor_apply_kernelINS1_18TensorListMetadataILi3EEENS1_32PointwiseOpScalar0dTensorFunctorIaLi3ELi2ELi0EEEJSt7dividesIaEaEEEvT_T0_DpT1_,"axG",@progbits,_ZN2at6native12_GLOBAL__N_125multi_tensor_apply_kernelINS1_18TensorListMetadataILi3EEENS1_32PointwiseOpScalar0dTensorFunctorIaLi3ELi2ELi0EEEJSt7dividesIaEaEEEvT_T0_DpT1_,comdat
	.globl	_ZN2at6native12_GLOBAL__N_125multi_tensor_apply_kernelINS1_18TensorListMetadataILi3EEENS1_32PointwiseOpScalar0dTensorFunctorIaLi3ELi2ELi0EEEJSt7dividesIaEaEEEvT_T0_DpT1_ ; -- Begin function _ZN2at6native12_GLOBAL__N_125multi_tensor_apply_kernelINS1_18TensorListMetadataILi3EEENS1_32PointwiseOpScalar0dTensorFunctorIaLi3ELi2ELi0EEEJSt7dividesIaEaEEEvT_T0_DpT1_
	.p2align	8
	.type	_ZN2at6native12_GLOBAL__N_125multi_tensor_apply_kernelINS1_18TensorListMetadataILi3EEENS1_32PointwiseOpScalar0dTensorFunctorIaLi3ELi2ELi0EEEJSt7dividesIaEaEEEvT_T0_DpT1_,@function
_ZN2at6native12_GLOBAL__N_125multi_tensor_apply_kernelINS1_18TensorListMetadataILi3EEENS1_32PointwiseOpScalar0dTensorFunctorIaLi3ELi2ELi0EEEJSt7dividesIaEaEEEvT_T0_DpT1_: ; @_ZN2at6native12_GLOBAL__N_125multi_tensor_apply_kernelINS1_18TensorListMetadataILi3EEENS1_32PointwiseOpScalar0dTensorFunctorIaLi3ELi2ELi0EEEJSt7dividesIaEaEEEvT_T0_DpT1_
; %bb.0:
	v_mov_b32_e32 v1, s6
	global_load_ubyte v1, v1, s[4:5] offset:1536
	s_add_u32 s0, s4, s6
	s_addc_u32 s1, s5, 0
	s_mul_hi_u32 s2, s6, 3
	s_mul_i32 s6, s6, 3
	s_add_u32 s0, s0, s6
	s_addc_u32 s1, s1, s2
	s_load_dword s0, s[0:1], 0x740
	v_mov_b32_e32 v3, 0
	s_mov_b32 s15, 0
	s_waitcnt vmcnt(0)
	v_readfirstlane_b32 s1, v1
	s_lshl_b32 s1, s1, 3
	s_load_dwordx2 s[2:3], s[4:5], s1 offset:0x180
	s_load_dwordx2 s[6:7], s[4:5], s1 offset:0x300
	s_waitcnt lgkmcnt(0)
	global_load_ubyte v9, v3, s[2:3]
	s_load_dword s16, s[4:5], 0xc48
	s_load_dwordx2 s[8:9], s[4:5], s1 offset:0x0
	s_load_dwordx2 s[12:13], s[4:5], s1 offset:0x480
	s_ashr_i32 s1, s0, 31
	s_lshl_b64 s[10:11], s[0:1], 16
	s_waitcnt lgkmcnt(0)
	s_add_u32 s0, s8, s10
	s_addc_u32 s1, s9, s11
	s_add_u32 s2, s2, s10
	s_or_b32 s2, s6, s2
	s_and_b32 s2, s2, 3
	s_cmp_lg_u32 s2, 0
	s_cselect_b64 s[18:19], -1, 0
	s_sub_u32 s2, s12, s10
	s_subb_u32 s3, s13, s11
	s_or_b64 s[0:1], s[12:13], s[0:1]
	s_and_b32 s14, s0, 3
	s_cmp_lg_u64 s[14:15], 0
	s_cselect_b64 s[0:1], -1, 0
	s_or_b64 s[0:1], s[18:19], s[0:1]
	s_andn2_b64 vcc, exec, s[0:1]
	s_mov_b64 s[0:1], -1
	s_cbranch_vccz .LBB78_5
; %bb.1:
	v_mov_b32_e32 v1, 0x10000
	v_mov_b32_e32 v2, 0
	v_cmp_lt_i64_e32 vcc, s[2:3], v[1:2]
	v_lshlrev_b32_e32 v2, 2, v0
	s_and_b64 s[0:1], vcc, exec
	s_cselect_b32 s1, s3, 0
	s_cselect_b32 s0, s2, 0x10000
	v_cmp_gt_i64_e32 vcc, s[0:1], v[2:3]
	s_and_saveexec_b64 s[12:13], vcc
	s_cbranch_execz .LBB78_4
; %bb.2:
	s_load_dword s14, s[4:5], 0xc5c
	v_mov_b32_e32 v1, v3
	s_waitcnt vmcnt(0)
	v_cvt_f32_i32_sdwa v3, sext(v9) dst_sel:DWORD dst_unused:UNUSED_PAD src0_sel:BYTE_0
	v_mov_b32_e32 v5, s11
	v_add_co_u32_e32 v4, vcc, s10, v2
	s_waitcnt lgkmcnt(0)
	s_and_b32 s17, s14, 0xffff
	v_mov_b32_e32 v2, v1
	v_addc_co_u32_e32 v5, vcc, 0, v5, vcc
	s_lshl_b32 s18, s17, 2
	s_mov_b64 s[14:15], 0
	s_lshr_b32 s19, s16, 16
	v_mov_b32_e32 v6, s9
	v_mov_b32_e32 v7, s7
	s_mov_b32 s20, 0x6050400
	v_mov_b32_e32 v1, v0
.LBB78_3:                               ; =>This Inner Loop Header: Depth=1
	v_add_co_u32_e32 v10, vcc, s8, v4
	v_addc_co_u32_e32 v11, vcc, v6, v5, vcc
	v_add_co_u32_e32 v12, vcc, s6, v4
	v_addc_co_u32_e32 v13, vcc, v7, v5, vcc
	global_load_dword v8, v[12:13], off
	global_load_dword v14, v[10:11], off
	v_add_co_u32_e32 v1, vcc, s17, v1
	v_addc_co_u32_e32 v2, vcc, 0, v2, vcc
	v_add_co_u32_e32 v4, vcc, s18, v4
	v_lshlrev_b64 v[12:13], 2, v[1:2]
	v_addc_co_u32_e32 v5, vcc, 0, v5, vcc
	v_cmp_le_i64_e32 vcc, s[0:1], v[12:13]
	s_or_b64 s[14:15], vcc, s[14:15]
	s_waitcnt vmcnt(1)
	v_cvt_f32_i32_sdwa v13, sext(v8) dst_sel:DWORD dst_unused:UNUSED_PAD src0_sel:BYTE_0
	v_cvt_f32_i32_sdwa v17, sext(v8) dst_sel:DWORD dst_unused:UNUSED_PAD src0_sel:BYTE_1
	v_cvt_f32_i32_sdwa v20, sext(v8) dst_sel:DWORD dst_unused:UNUSED_PAD src0_sel:BYTE_2
	v_xor_b32_sdwa v12, sext(v9), sext(v8) dst_sel:DWORD dst_unused:UNUSED_PAD src0_sel:BYTE_0 src1_sel:BYTE_0
	v_xor_b32_sdwa v16, sext(v9), sext(v8) dst_sel:DWORD dst_unused:UNUSED_PAD src0_sel:BYTE_0 src1_sel:BYTE_1
	v_xor_b32_sdwa v19, sext(v9), sext(v8) dst_sel:DWORD dst_unused:UNUSED_PAD src0_sel:BYTE_0 src1_sel:BYTE_2
	v_xor_b32_sdwa v22, sext(v9), sext(v8) dst_sel:DWORD dst_unused:UNUSED_PAD src0_sel:BYTE_0 src1_sel:BYTE_3
	v_cvt_f32_i32_sdwa v8, sext(v8) dst_sel:DWORD dst_unused:UNUSED_PAD src0_sel:BYTE_3
	v_rcp_iflag_f32_e32 v23, v13
	v_rcp_iflag_f32_e32 v24, v17
	;; [unrolled: 1-line block ×4, first 2 shown]
	v_mul_f32_e32 v23, v3, v23
	v_mul_f32_e32 v24, v3, v24
	;; [unrolled: 1-line block ×3, first 2 shown]
	v_trunc_f32_e32 v23, v23
	v_trunc_f32_e32 v24, v24
	v_ashrrev_i32_e32 v12, 30, v12
	v_trunc_f32_e32 v25, v25
	v_mad_f32 v27, -v23, v13, v3
	v_mad_f32 v28, -v24, v17, v3
	v_cvt_i32_f32_e32 v24, v24
	v_ashrrev_i32_e32 v16, 30, v16
	v_or_b32_e32 v12, 1, v12
	v_mul_f32_e32 v26, v3, v26
	v_mad_f32 v29, -v25, v20, v3
	v_cvt_i32_f32_e32 v23, v23
	v_cvt_i32_f32_e32 v25, v25
	v_cmp_ge_f32_e64 vcc, |v27|, |v13|
	v_ashrrev_i32_e32 v19, 30, v19
	v_or_b32_e32 v16, 1, v16
	v_trunc_f32_e32 v26, v26
	v_cndmask_b32_e32 v12, 0, v12, vcc
	v_cmp_ge_f32_e64 vcc, |v28|, |v17|
	v_or_b32_e32 v19, 1, v19
	v_mad_f32 v30, -v26, v8, v3
	v_cvt_i32_f32_e32 v26, v26
	v_cndmask_b32_e32 v13, 0, v16, vcc
	v_cmp_ge_f32_e64 vcc, |v29|, |v20|
	s_waitcnt vmcnt(0)
	v_lshrrev_b32_e32 v15, 8, v14
	v_ashrrev_i32_e32 v22, 30, v22
	v_cndmask_b32_e32 v16, 0, v19, vcc
	v_add_u32_e32 v13, v24, v13
	v_lshrrev_b32_e32 v18, 16, v14
	v_or_b32_e32 v22, 1, v22
	v_cmp_ge_f32_e64 vcc, |v30|, |v8|
	v_add_u32_e32 v12, v23, v12
	v_add_u32_e32 v16, v25, v16
	v_mad_legacy_u16 v13, s19, v13, v15
	v_lshrrev_b32_e32 v21, 24, v14
	v_cndmask_b32_e32 v8, 0, v22, vcc
	v_mad_legacy_u16 v12, s19, v12, v14
	v_mad_legacy_u16 v14, s19, v16, v18
	v_and_b32_e32 v13, 0xff, v13
	v_add_u32_e32 v8, v26, v8
	v_and_b32_e32 v14, 0xff, v14
	v_perm_b32 v12, v13, v12, s20
	v_mad_legacy_u16 v8, s19, v8, v21
	v_lshl_or_b32 v12, v14, 16, v12
	v_lshl_or_b32 v8, v8, 24, v12
	global_store_dword v[10:11], v8, off
	s_andn2_b64 exec, exec, s[14:15]
	s_cbranch_execnz .LBB78_3
.LBB78_4:
	s_or_b64 exec, exec, s[12:13]
	s_mov_b64 s[0:1], 0
.LBB78_5:
	s_andn2_b64 vcc, exec, s[0:1]
	s_cbranch_vccnz .LBB78_25
; %bb.6:
	v_cmp_lt_i64_e64 s[0:1], s[2:3], 1
	s_and_b64 vcc, exec, s[0:1]
	s_cbranch_vccnz .LBB78_25
; %bb.7:
	v_mov_b32_e32 v1, 0x10000
	s_load_dword s4, s[4:5], 0xc5c
	v_mov_b32_e32 v2, 0
	v_cmp_lt_i64_e32 vcc, s[2:3], v[1:2]
	v_mov_b32_e32 v3, s9
	s_and_b64 s[0:1], vcc, exec
	v_cmp_lt_u64_e32 vcc, s[2:3], v[1:2]
	s_cselect_b32 s1, s3, 0
	s_cselect_b32 s0, s2, 0x10000
	s_waitcnt lgkmcnt(0)
	s_and_b32 s13, s4, 0xffff
	s_and_b64 s[4:5], vcc, exec
	v_mov_b32_e32 v1, s11
	v_add_co_u32_e32 v2, vcc, s10, v0
	v_addc_co_u32_e32 v1, vcc, 0, v1, vcc
	v_add_co_u32_e32 v10, vcc, s8, v2
	s_cselect_b32 s3, s3, 0
	s_cselect_b32 s2, s2, 0x10000
	s_lshl_b32 s14, s13, 1
	s_mul_i32 s15, s13, 3
	s_lshl_b32 s12, s13, 2
	v_addc_co_u32_e32 v11, vcc, v3, v1, vcc
	v_mov_b32_e32 v3, s7
	v_add_co_u32_e32 v12, vcc, s6, v2
	s_add_u32 s4, s10, s15
	v_addc_co_u32_e32 v13, vcc, v3, v1, vcc
	s_addc_u32 s5, s11, 0
	v_mov_b32_e32 v3, s5
	v_add_co_u32_e32 v4, vcc, s4, v0
	v_addc_co_u32_e32 v3, vcc, 0, v3, vcc
	v_mov_b32_e32 v5, s9
	v_add_co_u32_e32 v14, vcc, s8, v4
	v_addc_co_u32_e32 v15, vcc, v5, v3, vcc
	v_mov_b32_e32 v5, s7
	v_add_co_u32_e32 v16, vcc, s6, v4
	s_add_u32 s4, s10, s14
	v_addc_co_u32_e32 v17, vcc, v5, v3, vcc
	s_addc_u32 s5, s11, 0
	v_mov_b32_e32 v3, s5
	v_add_co_u32_e32 v4, vcc, s4, v0
	v_addc_co_u32_e32 v3, vcc, 0, v3, vcc
	v_mov_b32_e32 v5, s9
	v_add_co_u32_e32 v18, vcc, s8, v4
	v_addc_co_u32_e32 v19, vcc, v5, v3, vcc
	;; [unrolled: 3-line block ×3, first 2 shown]
	v_add_co_u32_e32 v2, vcc, s13, v2
	v_addc_co_u32_e32 v1, vcc, 0, v1, vcc
	v_mov_b32_e32 v3, s9
	v_add_co_u32_e32 v22, vcc, s8, v2
	v_addc_co_u32_e32 v23, vcc, v3, v1, vcc
	v_mov_b32_e32 v3, s7
	v_add_co_u32_e32 v24, vcc, s6, v2
	v_addc_co_u32_e32 v25, vcc, v3, v1, vcc
	s_waitcnt vmcnt(0)
	v_cvt_f32_i32_sdwa v26, sext(v9) dst_sel:DWORD dst_unused:UNUSED_PAD src0_sel:BYTE_0
	v_add_co_u32_e32 v27, vcc, s15, v0
	v_addc_co_u32_e64 v28, s[6:7], 0, 0, vcc
	v_add_co_u32_e32 v29, vcc, s14, v0
	v_addc_co_u32_e64 v30, s[6:7], 0, 0, vcc
	v_add_co_u32_e32 v31, vcc, s13, v0
	s_mov_b64 s[4:5], 0
	v_addc_co_u32_e64 v32, s[6:7], 0, 0, vcc
	s_branch .LBB78_9
.LBB78_8:                               ;   in Loop: Header=BB78_9 Depth=1
	s_or_b64 exec, exec, s[6:7]
	s_add_u32 s4, s4, s12
	v_mov_b32_e32 v2, s1
	s_addc_u32 s5, s5, 0
	v_mov_b32_e32 v1, s0
	v_cmp_ge_i64_e32 vcc, s[4:5], v[1:2]
	s_cbranch_vccnz .LBB78_25
.LBB78_9:                               ; =>This Inner Loop Header: Depth=1
	v_mov_b32_e32 v1, s5
	v_add_co_u32_e32 v7, vcc, s4, v0
	v_addc_co_u32_e32 v8, vcc, 0, v1, vcc
	v_cmp_gt_i64_e32 vcc, s[0:1], v[7:8]
	s_waitcnt vmcnt(0)
	v_mov_b32_e32 v33, 0
	v_mov_b32_e32 v34, 0
	s_and_saveexec_b64 s[6:7], vcc
	s_cbranch_execz .LBB78_11
; %bb.10:                               ;   in Loop: Header=BB78_9 Depth=1
	v_mov_b32_e32 v4, s5
	v_add_co_u32_e32 v1, vcc, s4, v10
	v_addc_co_u32_e32 v2, vcc, v11, v4, vcc
	v_add_co_u32_e32 v3, vcc, s4, v12
	v_addc_co_u32_e32 v4, vcc, v13, v4, vcc
	global_load_ubyte v34, v[1:2], off
	global_load_ubyte v33, v[3:4], off
.LBB78_11:                              ;   in Loop: Header=BB78_9 Depth=1
	s_or_b64 exec, exec, s[6:7]
	v_mov_b32_e32 v1, s5
	v_add_co_u32_e32 v5, vcc, s4, v31
	v_addc_co_u32_e32 v6, vcc, v32, v1, vcc
	v_cmp_gt_i64_e32 vcc, s[0:1], v[5:6]
	s_and_saveexec_b64 s[6:7], vcc
	s_cbranch_execz .LBB78_13
; %bb.12:                               ;   in Loop: Header=BB78_9 Depth=1
	v_mov_b32_e32 v4, s5
	v_add_co_u32_e32 v1, vcc, s4, v24
	v_addc_co_u32_e32 v2, vcc, v25, v4, vcc
	v_add_co_u32_e32 v3, vcc, s4, v22
	v_addc_co_u32_e32 v4, vcc, v23, v4, vcc
	global_load_ubyte v35, v[3:4], off
	global_load_ubyte v36, v[1:2], off
	s_waitcnt vmcnt(1)
	v_lshl_or_b32 v34, v35, 8, v34
	s_waitcnt vmcnt(0)
	v_lshl_or_b32 v33, v36, 8, v33
.LBB78_13:                              ;   in Loop: Header=BB78_9 Depth=1
	s_or_b64 exec, exec, s[6:7]
	v_mov_b32_e32 v1, s5
	v_add_co_u32_e32 v3, vcc, s4, v29
	v_addc_co_u32_e32 v4, vcc, v30, v1, vcc
	v_cmp_gt_i64_e32 vcc, s[0:1], v[3:4]
	s_and_saveexec_b64 s[6:7], vcc
	s_cbranch_execz .LBB78_15
; %bb.14:                               ;   in Loop: Header=BB78_9 Depth=1
	v_mov_b32_e32 v36, s5
	v_add_co_u32_e32 v1, vcc, s4, v20
	v_addc_co_u32_e32 v2, vcc, v21, v36, vcc
	v_add_co_u32_e32 v35, vcc, s4, v18
	v_addc_co_u32_e32 v36, vcc, v19, v36, vcc
	global_load_ubyte v37, v[35:36], off
	global_load_ubyte v38, v[1:2], off
	s_waitcnt vmcnt(1)
	v_lshl_or_b32 v34, v37, 16, v34
	s_waitcnt vmcnt(0)
	v_lshl_or_b32 v33, v38, 16, v33
.LBB78_15:                              ;   in Loop: Header=BB78_9 Depth=1
	s_or_b64 exec, exec, s[6:7]
	v_mov_b32_e32 v2, s5
	v_add_co_u32_e32 v1, vcc, s4, v27
	v_addc_co_u32_e32 v2, vcc, v28, v2, vcc
	v_cmp_gt_i64_e32 vcc, s[0:1], v[1:2]
	s_and_saveexec_b64 s[6:7], vcc
	s_cbranch_execnz .LBB78_20
; %bb.16:                               ;   in Loop: Header=BB78_9 Depth=1
	s_or_b64 exec, exec, s[6:7]
	v_cmp_gt_u64_e32 vcc, s[2:3], v[7:8]
	s_and_saveexec_b64 s[6:7], vcc
	s_cbranch_execnz .LBB78_21
.LBB78_17:                              ;   in Loop: Header=BB78_9 Depth=1
	s_or_b64 exec, exec, s[6:7]
	v_cmp_gt_u64_e32 vcc, s[2:3], v[5:6]
	s_and_saveexec_b64 s[6:7], vcc
	s_cbranch_execnz .LBB78_22
.LBB78_18:                              ;   in Loop: Header=BB78_9 Depth=1
	s_or_b64 exec, exec, s[6:7]
	v_cmp_gt_u64_e32 vcc, s[2:3], v[3:4]
	s_and_saveexec_b64 s[6:7], vcc
	s_cbranch_execnz .LBB78_23
.LBB78_19:                              ;   in Loop: Header=BB78_9 Depth=1
	s_or_b64 exec, exec, s[6:7]
	v_cmp_gt_u64_e32 vcc, s[2:3], v[1:2]
	s_and_saveexec_b64 s[6:7], vcc
	s_cbranch_execz .LBB78_8
	s_branch .LBB78_24
.LBB78_20:                              ;   in Loop: Header=BB78_9 Depth=1
	v_mov_b32_e32 v38, s5
	v_add_co_u32_e32 v35, vcc, s4, v16
	v_addc_co_u32_e32 v36, vcc, v17, v38, vcc
	v_add_co_u32_e32 v37, vcc, s4, v14
	v_addc_co_u32_e32 v38, vcc, v15, v38, vcc
	global_load_ubyte v37, v[37:38], off
	s_nop 0
	global_load_ubyte v35, v[35:36], off
	s_waitcnt vmcnt(1)
	v_lshl_or_b32 v34, v37, 24, v34
	s_waitcnt vmcnt(0)
	v_lshl_or_b32 v33, v35, 24, v33
	s_or_b64 exec, exec, s[6:7]
	v_cmp_gt_u64_e32 vcc, s[2:3], v[7:8]
	s_and_saveexec_b64 s[6:7], vcc
	s_cbranch_execz .LBB78_17
.LBB78_21:                              ;   in Loop: Header=BB78_9 Depth=1
	s_waitcnt vmcnt(0)
	v_cvt_f32_i32_sdwa v7, sext(v33) dst_sel:DWORD dst_unused:UNUSED_PAD src0_sel:BYTE_0
	v_xor_b32_sdwa v8, sext(v9), sext(v33) dst_sel:DWORD dst_unused:UNUSED_PAD src0_sel:BYTE_0 src1_sel:BYTE_0
	v_ashrrev_i32_e32 v8, 30, v8
	v_or_b32_e32 v8, 1, v8
	v_rcp_iflag_f32_e32 v35, v7
	s_lshr_b32 s8, s16, 16
	v_mov_b32_e32 v36, s5
	v_mul_f32_e32 v35, v26, v35
	v_trunc_f32_e32 v35, v35
	v_cvt_i32_f32_e32 v37, v35
	v_mad_f32 v35, -v35, v7, v26
	v_cmp_ge_f32_e64 vcc, |v35|, |v7|
	v_cndmask_b32_e32 v7, 0, v8, vcc
	v_add_u32_e32 v7, v37, v7
	v_mad_legacy_u16 v35, s8, v7, v34
	v_add_co_u32_e32 v7, vcc, s4, v10
	v_addc_co_u32_e32 v8, vcc, v11, v36, vcc
	global_store_byte v[7:8], v35, off
	s_or_b64 exec, exec, s[6:7]
	v_cmp_gt_u64_e32 vcc, s[2:3], v[5:6]
	s_and_saveexec_b64 s[6:7], vcc
	s_cbranch_execz .LBB78_18
.LBB78_22:                              ;   in Loop: Header=BB78_9 Depth=1
	s_waitcnt vmcnt(0)
	v_cvt_f32_i32_sdwa v5, sext(v33) dst_sel:DWORD dst_unused:UNUSED_PAD src0_sel:BYTE_1
	v_xor_b32_sdwa v7, sext(v9), sext(v33) dst_sel:DWORD dst_unused:UNUSED_PAD src0_sel:BYTE_0 src1_sel:BYTE_1
	v_ashrrev_i32_e32 v7, 30, v7
	v_or_b32_e32 v7, 1, v7
	v_rcp_iflag_f32_e32 v8, v5
	s_lshr_b32 s8, s16, 16
	v_lshrrev_b32_e32 v6, 8, v34
	v_mov_b32_e32 v35, s5
	v_mul_f32_e32 v8, v26, v8
	v_trunc_f32_e32 v8, v8
	v_cvt_i32_f32_e32 v36, v8
	v_mad_f32 v8, -v8, v5, v26
	v_cmp_ge_f32_e64 vcc, |v8|, |v5|
	v_cndmask_b32_e32 v5, 0, v7, vcc
	v_add_u32_e32 v5, v36, v5
	v_mad_legacy_u16 v7, s8, v5, v6
	v_add_co_u32_e32 v5, vcc, s4, v22
	v_addc_co_u32_e32 v6, vcc, v23, v35, vcc
	global_store_byte v[5:6], v7, off
	s_or_b64 exec, exec, s[6:7]
	v_cmp_gt_u64_e32 vcc, s[2:3], v[3:4]
	s_and_saveexec_b64 s[6:7], vcc
	s_cbranch_execz .LBB78_19
.LBB78_23:                              ;   in Loop: Header=BB78_9 Depth=1
	s_waitcnt vmcnt(0)
	v_cvt_f32_i32_sdwa v3, sext(v33) dst_sel:DWORD dst_unused:UNUSED_PAD src0_sel:BYTE_2
	v_xor_b32_sdwa v5, sext(v9), sext(v33) dst_sel:DWORD dst_unused:UNUSED_PAD src0_sel:BYTE_0 src1_sel:BYTE_2
	v_ashrrev_i32_e32 v5, 30, v5
	v_or_b32_e32 v5, 1, v5
	v_rcp_iflag_f32_e32 v6, v3
	s_lshr_b32 s8, s16, 16
	v_lshrrev_b32_e32 v4, 16, v34
	v_mov_b32_e32 v7, s5
	v_mul_f32_e32 v6, v26, v6
	v_trunc_f32_e32 v6, v6
	v_cvt_i32_f32_e32 v8, v6
	v_mad_f32 v6, -v6, v3, v26
	v_cmp_ge_f32_e64 vcc, |v6|, |v3|
	v_cndmask_b32_e32 v3, 0, v5, vcc
	v_add_u32_e32 v3, v8, v3
	v_mad_legacy_u16 v5, s8, v3, v4
	v_add_co_u32_e32 v3, vcc, s4, v18
	v_addc_co_u32_e32 v4, vcc, v19, v7, vcc
	global_store_byte v[3:4], v5, off
	s_or_b64 exec, exec, s[6:7]
	v_cmp_gt_u64_e32 vcc, s[2:3], v[1:2]
	s_and_saveexec_b64 s[6:7], vcc
	s_cbranch_execz .LBB78_8
.LBB78_24:                              ;   in Loop: Header=BB78_9 Depth=1
	s_waitcnt vmcnt(0)
	v_cvt_f32_i32_sdwa v1, sext(v33) dst_sel:DWORD dst_unused:UNUSED_PAD src0_sel:BYTE_3
	v_xor_b32_sdwa v3, sext(v9), sext(v33) dst_sel:DWORD dst_unused:UNUSED_PAD src0_sel:BYTE_0 src1_sel:BYTE_3
	v_ashrrev_i32_e32 v3, 30, v3
	v_or_b32_e32 v3, 1, v3
	v_rcp_iflag_f32_e32 v4, v1
	s_lshr_b32 s8, s16, 16
	v_lshrrev_b32_e32 v2, 24, v34
	v_mov_b32_e32 v5, s5
	v_mul_f32_e32 v4, v26, v4
	v_trunc_f32_e32 v4, v4
	v_cvt_i32_f32_e32 v6, v4
	v_mad_f32 v4, -v4, v1, v26
	v_cmp_ge_f32_e64 vcc, |v4|, |v1|
	v_cndmask_b32_e32 v1, 0, v3, vcc
	v_add_u32_e32 v1, v6, v1
	v_mad_legacy_u16 v3, s8, v1, v2
	v_add_co_u32_e32 v1, vcc, s4, v14
	v_addc_co_u32_e32 v2, vcc, v15, v5, vcc
	global_store_byte v[1:2], v3, off
	s_branch .LBB78_8
.LBB78_25:
	s_endpgm
	.section	.rodata,"a",@progbits
	.p2align	6, 0x0
	.amdhsa_kernel _ZN2at6native12_GLOBAL__N_125multi_tensor_apply_kernelINS1_18TensorListMetadataILi3EEENS1_32PointwiseOpScalar0dTensorFunctorIaLi3ELi2ELi0EEEJSt7dividesIaEaEEEvT_T0_DpT1_
		.amdhsa_group_segment_fixed_size 0
		.amdhsa_private_segment_fixed_size 0
		.amdhsa_kernarg_size 3408
		.amdhsa_user_sgpr_count 6
		.amdhsa_user_sgpr_private_segment_buffer 1
		.amdhsa_user_sgpr_dispatch_ptr 0
		.amdhsa_user_sgpr_queue_ptr 0
		.amdhsa_user_sgpr_kernarg_segment_ptr 1
		.amdhsa_user_sgpr_dispatch_id 0
		.amdhsa_user_sgpr_flat_scratch_init 0
		.amdhsa_user_sgpr_private_segment_size 0
		.amdhsa_uses_dynamic_stack 0
		.amdhsa_system_sgpr_private_segment_wavefront_offset 0
		.amdhsa_system_sgpr_workgroup_id_x 1
		.amdhsa_system_sgpr_workgroup_id_y 0
		.amdhsa_system_sgpr_workgroup_id_z 0
		.amdhsa_system_sgpr_workgroup_info 0
		.amdhsa_system_vgpr_workitem_id 0
		.amdhsa_next_free_vgpr 39
		.amdhsa_next_free_sgpr 21
		.amdhsa_reserve_vcc 1
		.amdhsa_reserve_flat_scratch 0
		.amdhsa_float_round_mode_32 0
		.amdhsa_float_round_mode_16_64 0
		.amdhsa_float_denorm_mode_32 3
		.amdhsa_float_denorm_mode_16_64 3
		.amdhsa_dx10_clamp 1
		.amdhsa_ieee_mode 1
		.amdhsa_fp16_overflow 0
		.amdhsa_exception_fp_ieee_invalid_op 0
		.amdhsa_exception_fp_denorm_src 0
		.amdhsa_exception_fp_ieee_div_zero 0
		.amdhsa_exception_fp_ieee_overflow 0
		.amdhsa_exception_fp_ieee_underflow 0
		.amdhsa_exception_fp_ieee_inexact 0
		.amdhsa_exception_int_div_zero 0
	.end_amdhsa_kernel
	.section	.text._ZN2at6native12_GLOBAL__N_125multi_tensor_apply_kernelINS1_18TensorListMetadataILi3EEENS1_32PointwiseOpScalar0dTensorFunctorIaLi3ELi2ELi0EEEJSt7dividesIaEaEEEvT_T0_DpT1_,"axG",@progbits,_ZN2at6native12_GLOBAL__N_125multi_tensor_apply_kernelINS1_18TensorListMetadataILi3EEENS1_32PointwiseOpScalar0dTensorFunctorIaLi3ELi2ELi0EEEJSt7dividesIaEaEEEvT_T0_DpT1_,comdat
.Lfunc_end78:
	.size	_ZN2at6native12_GLOBAL__N_125multi_tensor_apply_kernelINS1_18TensorListMetadataILi3EEENS1_32PointwiseOpScalar0dTensorFunctorIaLi3ELi2ELi0EEEJSt7dividesIaEaEEEvT_T0_DpT1_, .Lfunc_end78-_ZN2at6native12_GLOBAL__N_125multi_tensor_apply_kernelINS1_18TensorListMetadataILi3EEENS1_32PointwiseOpScalar0dTensorFunctorIaLi3ELi2ELi0EEEJSt7dividesIaEaEEEvT_T0_DpT1_
                                        ; -- End function
	.set _ZN2at6native12_GLOBAL__N_125multi_tensor_apply_kernelINS1_18TensorListMetadataILi3EEENS1_32PointwiseOpScalar0dTensorFunctorIaLi3ELi2ELi0EEEJSt7dividesIaEaEEEvT_T0_DpT1_.num_vgpr, 39
	.set _ZN2at6native12_GLOBAL__N_125multi_tensor_apply_kernelINS1_18TensorListMetadataILi3EEENS1_32PointwiseOpScalar0dTensorFunctorIaLi3ELi2ELi0EEEJSt7dividesIaEaEEEvT_T0_DpT1_.num_agpr, 0
	.set _ZN2at6native12_GLOBAL__N_125multi_tensor_apply_kernelINS1_18TensorListMetadataILi3EEENS1_32PointwiseOpScalar0dTensorFunctorIaLi3ELi2ELi0EEEJSt7dividesIaEaEEEvT_T0_DpT1_.numbered_sgpr, 21
	.set _ZN2at6native12_GLOBAL__N_125multi_tensor_apply_kernelINS1_18TensorListMetadataILi3EEENS1_32PointwiseOpScalar0dTensorFunctorIaLi3ELi2ELi0EEEJSt7dividesIaEaEEEvT_T0_DpT1_.num_named_barrier, 0
	.set _ZN2at6native12_GLOBAL__N_125multi_tensor_apply_kernelINS1_18TensorListMetadataILi3EEENS1_32PointwiseOpScalar0dTensorFunctorIaLi3ELi2ELi0EEEJSt7dividesIaEaEEEvT_T0_DpT1_.private_seg_size, 0
	.set _ZN2at6native12_GLOBAL__N_125multi_tensor_apply_kernelINS1_18TensorListMetadataILi3EEENS1_32PointwiseOpScalar0dTensorFunctorIaLi3ELi2ELi0EEEJSt7dividesIaEaEEEvT_T0_DpT1_.uses_vcc, 1
	.set _ZN2at6native12_GLOBAL__N_125multi_tensor_apply_kernelINS1_18TensorListMetadataILi3EEENS1_32PointwiseOpScalar0dTensorFunctorIaLi3ELi2ELi0EEEJSt7dividesIaEaEEEvT_T0_DpT1_.uses_flat_scratch, 0
	.set _ZN2at6native12_GLOBAL__N_125multi_tensor_apply_kernelINS1_18TensorListMetadataILi3EEENS1_32PointwiseOpScalar0dTensorFunctorIaLi3ELi2ELi0EEEJSt7dividesIaEaEEEvT_T0_DpT1_.has_dyn_sized_stack, 0
	.set _ZN2at6native12_GLOBAL__N_125multi_tensor_apply_kernelINS1_18TensorListMetadataILi3EEENS1_32PointwiseOpScalar0dTensorFunctorIaLi3ELi2ELi0EEEJSt7dividesIaEaEEEvT_T0_DpT1_.has_recursion, 0
	.set _ZN2at6native12_GLOBAL__N_125multi_tensor_apply_kernelINS1_18TensorListMetadataILi3EEENS1_32PointwiseOpScalar0dTensorFunctorIaLi3ELi2ELi0EEEJSt7dividesIaEaEEEvT_T0_DpT1_.has_indirect_call, 0
	.section	.AMDGPU.csdata,"",@progbits
; Kernel info:
; codeLenInByte = 2004
; TotalNumSgprs: 25
; NumVgprs: 39
; ScratchSize: 0
; MemoryBound: 0
; FloatMode: 240
; IeeeMode: 1
; LDSByteSize: 0 bytes/workgroup (compile time only)
; SGPRBlocks: 3
; VGPRBlocks: 9
; NumSGPRsForWavesPerEU: 25
; NumVGPRsForWavesPerEU: 39
; Occupancy: 6
; WaveLimiterHint : 0
; COMPUTE_PGM_RSRC2:SCRATCH_EN: 0
; COMPUTE_PGM_RSRC2:USER_SGPR: 6
; COMPUTE_PGM_RSRC2:TRAP_HANDLER: 0
; COMPUTE_PGM_RSRC2:TGID_X_EN: 1
; COMPUTE_PGM_RSRC2:TGID_Y_EN: 0
; COMPUTE_PGM_RSRC2:TGID_Z_EN: 0
; COMPUTE_PGM_RSRC2:TIDIG_COMP_CNT: 0
	.section	.text._ZN2at6native12_GLOBAL__N_125multi_tensor_apply_kernelINS1_18TensorListMetadataILi3EEENS1_32PointwiseOpScalar0dTensorFunctorIiLi3ELi2ELi0EEEJSt7dividesIiEiEEEvT_T0_DpT1_,"axG",@progbits,_ZN2at6native12_GLOBAL__N_125multi_tensor_apply_kernelINS1_18TensorListMetadataILi3EEENS1_32PointwiseOpScalar0dTensorFunctorIiLi3ELi2ELi0EEEJSt7dividesIiEiEEEvT_T0_DpT1_,comdat
	.globl	_ZN2at6native12_GLOBAL__N_125multi_tensor_apply_kernelINS1_18TensorListMetadataILi3EEENS1_32PointwiseOpScalar0dTensorFunctorIiLi3ELi2ELi0EEEJSt7dividesIiEiEEEvT_T0_DpT1_ ; -- Begin function _ZN2at6native12_GLOBAL__N_125multi_tensor_apply_kernelINS1_18TensorListMetadataILi3EEENS1_32PointwiseOpScalar0dTensorFunctorIiLi3ELi2ELi0EEEJSt7dividesIiEiEEEvT_T0_DpT1_
	.p2align	8
	.type	_ZN2at6native12_GLOBAL__N_125multi_tensor_apply_kernelINS1_18TensorListMetadataILi3EEENS1_32PointwiseOpScalar0dTensorFunctorIiLi3ELi2ELi0EEEJSt7dividesIiEiEEEvT_T0_DpT1_,@function
_ZN2at6native12_GLOBAL__N_125multi_tensor_apply_kernelINS1_18TensorListMetadataILi3EEENS1_32PointwiseOpScalar0dTensorFunctorIiLi3ELi2ELi0EEEJSt7dividesIiEiEEEvT_T0_DpT1_: ; @_ZN2at6native12_GLOBAL__N_125multi_tensor_apply_kernelINS1_18TensorListMetadataILi3EEENS1_32PointwiseOpScalar0dTensorFunctorIiLi3ELi2ELi0EEEJSt7dividesIiEiEEEvT_T0_DpT1_
; %bb.0:
	v_mov_b32_e32 v1, s6
	global_load_ubyte v1, v1, s[4:5] offset:1536
	s_add_u32 s0, s4, s6
	s_mul_hi_u32 s1, s6, 3
	s_mul_i32 s6, s6, 3
	s_addc_u32 s2, s5, 0
	s_add_u32 s0, s0, s6
	s_addc_u32 s1, s2, s1
	s_load_dword s2, s[0:1], 0x740
	s_load_dword s20, s[4:5], 0xc4c
	s_mov_b32 s7, 0
	s_mov_b32 s15, s7
	s_waitcnt lgkmcnt(0)
	s_ashr_i32 s3, s2, 31
	s_waitcnt vmcnt(0)
	v_readfirstlane_b32 s0, v1
	s_lshl_b32 s6, s0, 3
	s_load_dwordx2 s[10:11], s[4:5], s6 offset:0x0
	s_load_dwordx2 s[8:9], s[4:5], s6 offset:0x180
	;; [unrolled: 1-line block ×4, first 2 shown]
	s_lshl_b64 s[0:1], s[2:3], 18
	s_waitcnt lgkmcnt(0)
	s_add_u32 s21, s10, s0
	s_load_dword s25, s[8:9], 0x0
	s_addc_u32 s22, s11, s1
	s_and_b32 s6, s21, 15
	s_add_u32 s8, s8, s0
	s_add_u32 s23, s12, s0
	s_addc_u32 s24, s13, s1
	s_or_b32 s8, s23, s8
	s_and_b32 s8, s8, 15
	s_cmp_lg_u32 s8, 0
	s_cselect_b64 s[18:19], -1, 0
	s_lshl_b64 s[2:3], s[2:3], 16
	s_sub_u32 s8, s16, s2
	s_subb_u32 s9, s17, s3
	s_and_b32 s14, s16, 3
	s_or_b64 s[2:3], s[6:7], s[14:15]
	s_cmp_lg_u64 s[2:3], 0
	s_cselect_b64 s[2:3], -1, 0
	s_or_b64 s[2:3], s[18:19], s[2:3]
	s_andn2_b64 vcc, exec, s[2:3]
	s_mov_b64 s[2:3], -1
	s_cbranch_vccz .LBB79_5
; %bb.1:
	v_mov_b32_e32 v1, 0x10000
	v_mov_b32_e32 v2, 0
	v_cmp_lt_i64_e32 vcc, s[8:9], v[1:2]
	v_mov_b32_e32 v2, 0
	s_and_b64 s[2:3], vcc, exec
	s_cselect_b32 s15, s9, 0
	s_cselect_b32 s14, s8, 0x10000
	v_lshlrev_b32_e32 v1, 2, v0
	v_cmp_gt_i64_e32 vcc, s[14:15], v[1:2]
	s_and_saveexec_b64 s[16:17], vcc
	s_cbranch_execz .LBB79_4
; %bb.2:
	s_load_dword s2, s[4:5], 0xc5c
	v_mov_b32_e32 v1, v2
	v_lshlrev_b32_e32 v2, 4, v0
	v_mov_b32_e32 v3, s1
	v_add_co_u32_e32 v5, vcc, s0, v2
	s_waitcnt lgkmcnt(0)
	s_and_b32 s28, s2, 0xffff
	v_mov_b32_e32 v2, v1
	s_ashr_i32 s26, s25, 31
	s_abs_i32 s27, s25
	v_addc_co_u32_e32 v6, vcc, 0, v3, vcc
	s_lshl_b32 s29, s28, 4
	s_mov_b64 s[18:19], 0
	v_mov_b32_e32 v7, s11
	v_mov_b32_e32 v8, s13
	;; [unrolled: 1-line block ×3, first 2 shown]
.LBB79_3:                               ; =>This Inner Loop Header: Depth=1
	v_add_co_u32_e32 v3, vcc, s10, v5
	v_addc_co_u32_e32 v4, vcc, v7, v6, vcc
	v_add_co_u32_e32 v9, vcc, s12, v5
	v_addc_co_u32_e32 v10, vcc, v8, v6, vcc
	global_load_dwordx4 v[9:12], v[9:10], off
	v_add_co_u32_e32 v1, vcc, s28, v1
	global_load_dwordx4 v[13:16], v[3:4], off
	v_addc_co_u32_e32 v2, vcc, 0, v2, vcc
	v_add_co_u32_e32 v5, vcc, s29, v5
	v_addc_co_u32_e32 v6, vcc, 0, v6, vcc
	s_waitcnt vmcnt(1)
	v_sub_u32_e32 v17, 0, v9
	v_ashrrev_i32_e32 v20, 31, v9
	v_max_i32_e32 v9, v9, v17
	v_cvt_f32_u32_e32 v17, v9
	v_sub_u32_e32 v18, 0, v10
	v_sub_u32_e32 v19, 0, v11
	v_ashrrev_i32_e32 v21, 31, v10
	v_max_i32_e32 v10, v10, v18
	v_ashrrev_i32_e32 v22, 31, v11
	v_max_i32_e32 v11, v11, v19
	v_cvt_f32_u32_e32 v19, v10
	v_rcp_iflag_f32_e32 v17, v17
	v_cvt_f32_u32_e32 v25, v11
	v_sub_u32_e32 v24, 0, v12
	v_ashrrev_i32_e32 v23, 31, v12
	v_max_i32_e32 v12, v12, v24
	v_rcp_iflag_f32_e32 v19, v19
	v_cvt_f32_u32_e32 v27, v12
	v_mul_f32_e32 v17, 0x4f7ffffe, v17
	v_rcp_iflag_f32_e32 v25, v25
	v_cvt_u32_f32_e32 v17, v17
	v_mul_f32_e32 v19, 0x4f7ffffe, v19
	v_sub_u32_e32 v18, 0, v9
	v_rcp_iflag_f32_e32 v27, v27
	v_cvt_u32_f32_e32 v19, v19
	v_mul_f32_e32 v25, 0x4f7ffffe, v25
	v_mul_lo_u32 v18, v18, v17
	v_cvt_u32_f32_e32 v25, v25
	v_sub_u32_e32 v24, 0, v10
	v_mul_f32_e32 v27, 0x4f7ffffe, v27
	v_mul_lo_u32 v24, v24, v19
	v_sub_u32_e32 v26, 0, v11
	v_cvt_u32_f32_e32 v27, v27
	v_mul_hi_u32 v18, v17, v18
	v_mul_lo_u32 v26, v26, v25
	v_sub_u32_e32 v28, 0, v12
	v_mul_hi_u32 v24, v19, v24
	v_mul_lo_u32 v28, v28, v27
	v_add_u32_e32 v17, v17, v18
	v_mul_hi_u32 v26, v25, v26
	v_mul_hi_u32 v17, s27, v17
	v_add_u32_e32 v18, v19, v24
	v_mul_hi_u32 v28, v27, v28
	v_mul_hi_u32 v18, s27, v18
	v_add_u32_e32 v19, v25, v26
	v_mul_lo_u32 v25, v17, v9
	v_add_u32_e32 v24, v27, v28
	v_mul_lo_u32 v27, v18, v10
	v_mul_hi_u32 v19, s27, v19
	v_sub_u32_e32 v25, s27, v25
	v_mul_hi_u32 v24, s27, v24
	v_add_u32_e32 v26, 1, v17
	v_cmp_ge_u32_e32 vcc, v25, v9
	v_cndmask_b32_e32 v26, v17, v26, vcc
	v_sub_u32_e32 v17, v25, v9
	v_cndmask_b32_e32 v17, v25, v17, vcc
	v_sub_u32_e32 v27, s27, v27
	v_add_u32_e32 v28, 1, v18
	v_cmp_ge_u32_e32 vcc, v17, v9
	v_mul_lo_u32 v9, v19, v11
	v_cmp_ge_u32_e64 s[0:1], v27, v10
	v_cndmask_b32_e64 v28, v18, v28, s[0:1]
	v_mul_lo_u32 v18, v24, v12
	v_sub_u32_e32 v9, s27, v9
	v_add_u32_e32 v17, 1, v19
	v_cmp_ge_u32_e64 s[2:3], v9, v11
	v_sub_u32_e32 v18, s27, v18
	v_cndmask_b32_e64 v19, v19, v17, s[2:3]
	v_add_u32_e32 v17, 1, v24
	v_cmp_ge_u32_e64 s[6:7], v18, v12
	v_cndmask_b32_e64 v24, v24, v17, s[6:7]
	v_sub_u32_e32 v17, v27, v10
	v_cndmask_b32_e64 v17, v27, v17, s[0:1]
	v_sub_u32_e32 v27, v9, v11
	v_add_u32_e32 v25, 1, v26
	v_cndmask_b32_e64 v9, v9, v27, s[2:3]
	v_sub_u32_e32 v27, v18, v12
	v_cndmask_b32_e64 v27, v18, v27, s[6:7]
	v_cmp_ge_u32_e64 s[0:1], v17, v10
	v_cndmask_b32_e32 v10, v26, v25, vcc
	v_add_u32_e32 v25, 1, v19
	v_cmp_ge_u32_e32 vcc, v9, v11
	v_add_u32_e32 v29, 1, v28
	v_xor_b32_e32 v9, s26, v20
	v_add_u32_e32 v26, 1, v24
	v_cndmask_b32_e32 v19, v19, v25, vcc
	v_cmp_ge_u32_e32 vcc, v27, v12
	v_xor_b32_e32 v20, s26, v21
	v_xor_b32_e32 v21, s26, v22
	;; [unrolled: 1-line block ×3, first 2 shown]
	v_cndmask_b32_e64 v23, v28, v29, s[0:1]
	v_cndmask_b32_e32 v12, v24, v26, vcc
	v_xor_b32_e32 v10, v10, v9
	v_xor_b32_e32 v23, v23, v20
	v_xor_b32_e32 v12, v12, v22
	v_sub_u32_e32 v9, v10, v9
	s_waitcnt vmcnt(0)
	v_mov_b32_e32 v11, v16
	v_xor_b32_e32 v19, v19, v21
	v_sub_u32_e32 v23, v23, v20
	v_sub_u32_e32 v12, v12, v22
	v_mad_u64_u32 v[9:10], s[0:1], v9, s20, v[13:14]
	v_lshlrev_b64 v[17:18], 2, v[1:2]
	v_sub_u32_e32 v21, v19, v21
	v_mad_u64_u32 v[19:20], s[0:1], v12, s20, v[11:12]
	v_mad_u64_u32 v[10:11], s[0:1], v23, s20, v[14:15]
	;; [unrolled: 1-line block ×3, first 2 shown]
	v_cmp_le_i64_e32 vcc, s[14:15], v[17:18]
	v_mov_b32_e32 v12, v19
	s_or_b64 s[18:19], vcc, s[18:19]
	global_store_dwordx4 v[3:4], v[9:12], off
	s_andn2_b64 exec, exec, s[18:19]
	s_cbranch_execnz .LBB79_3
.LBB79_4:
	s_or_b64 exec, exec, s[16:17]
	s_mov_b64 s[2:3], 0
.LBB79_5:
	s_andn2_b64 vcc, exec, s[2:3]
	s_cbranch_vccnz .LBB79_19
; %bb.6:
	v_cmp_lt_i64_e64 s[0:1], s[8:9], 1
	s_and_b64 vcc, exec, s[0:1]
	s_cbranch_vccnz .LBB79_19
; %bb.7:
	v_mov_b32_e32 v1, 0x10000
	s_load_dword s2, s[4:5], 0xc5c
	v_mov_b32_e32 v2, 0
	v_cmp_lt_i64_e32 vcc, s[8:9], v[1:2]
	s_mov_b64 s[4:5], 0
	s_and_b64 s[0:1], vcc, exec
	v_cmp_lt_u64_e32 vcc, s[8:9], v[1:2]
	s_cselect_b32 s1, s9, 0
	s_cselect_b32 s0, s8, 0x10000
	s_waitcnt lgkmcnt(0)
	s_and_b32 s10, s2, 0xffff
	s_and_b64 s[2:3], vcc, exec
	s_cselect_b32 s3, s9, 0
	s_cselect_b32 s2, s8, 0x10000
	s_lshl_b32 s8, s10, 1
	s_mul_i32 s9, s10, 3
	s_lshl_b32 s11, s10, 2
	s_ashr_i32 s12, s25, 31
	s_abs_i32 s13, s25
	v_mov_b32_e32 v19, s24
	v_mov_b32_e32 v20, s22
	s_branch .LBB79_9
.LBB79_8:                               ;   in Loop: Header=BB79_9 Depth=1
	s_or_b64 exec, exec, s[6:7]
	s_add_u32 s4, s4, s11
	v_mov_b32_e32 v2, s1
	s_addc_u32 s5, s5, 0
	v_mov_b32_e32 v1, s0
	v_cmp_ge_i64_e32 vcc, s[4:5], v[1:2]
	s_cbranch_vccnz .LBB79_19
.LBB79_9:                               ; =>This Inner Loop Header: Depth=1
	v_mov_b32_e32 v1, s5
	v_add_co_u32_e32 v14, vcc, s4, v0
	v_addc_co_u32_e32 v15, vcc, 0, v1, vcc
	v_cmp_gt_i64_e32 vcc, s[0:1], v[14:15]
	s_waitcnt vmcnt(6)
	v_mov_b32_e32 v23, 0
	v_mov_b32_e32 v13, 0
	s_and_saveexec_b64 s[6:7], vcc
	s_cbranch_execz .LBB79_11
; %bb.10:                               ;   in Loop: Header=BB79_9 Depth=1
	v_lshlrev_b64 v[1:2], 2, v[14:15]
	v_mov_b32_e32 v4, s22
	s_waitcnt vmcnt(0)
	v_add_co_u32_e32 v3, vcc, s21, v1
	v_addc_co_u32_e32 v4, vcc, v4, v2, vcc
	v_mov_b32_e32 v5, s24
	v_add_co_u32_e32 v1, vcc, s23, v1
	v_addc_co_u32_e32 v2, vcc, v5, v2, vcc
	global_load_dword v13, v[3:4], off
	global_load_dword v23, v[1:2], off
.LBB79_11:                              ;   in Loop: Header=BB79_9 Depth=1
	s_or_b64 exec, exec, s[6:7]
	v_add_co_u32_e32 v16, vcc, s10, v14
	v_addc_co_u32_e32 v17, vcc, 0, v15, vcc
	v_lshlrev_b64 v[1:2], 2, v[16:17]
	v_add_co_u32_e32 v25, vcc, s23, v1
	v_addc_co_u32_e32 v26, vcc, v19, v2, vcc
	v_add_co_u32_e32 v9, vcc, s21, v1
	v_addc_co_u32_e32 v10, vcc, v20, v2, vcc
	v_add_co_u32_e32 v11, vcc, s8, v14
	v_addc_co_u32_e32 v12, vcc, 0, v15, vcc
	v_lshlrev_b64 v[1:2], 2, v[11:12]
	v_add_co_u32_e32 v27, vcc, s23, v1
	v_addc_co_u32_e32 v28, vcc, v19, v2, vcc
	v_add_co_u32_e32 v4, vcc, s21, v1
	v_addc_co_u32_e32 v5, vcc, v20, v2, vcc
	;; [unrolled: 7-line block ×3, first 2 shown]
	global_load_dword v24, v[25:26], off
	global_load_dword v22, v[27:28], off
	;; [unrolled: 1-line block ×6, first 2 shown]
	v_cmp_gt_u64_e32 vcc, s[2:3], v[14:15]
	s_and_saveexec_b64 s[6:7], vcc
	s_cbranch_execnz .LBB79_15
; %bb.12:                               ;   in Loop: Header=BB79_9 Depth=1
	s_or_b64 exec, exec, s[6:7]
	v_cmp_gt_u64_e32 vcc, s[2:3], v[16:17]
	s_and_saveexec_b64 s[6:7], vcc
	s_cbranch_execnz .LBB79_16
.LBB79_13:                              ;   in Loop: Header=BB79_9 Depth=1
	s_or_b64 exec, exec, s[6:7]
	v_cmp_gt_u64_e32 vcc, s[2:3], v[11:12]
	s_and_saveexec_b64 s[6:7], vcc
	s_cbranch_execnz .LBB79_17
.LBB79_14:                              ;   in Loop: Header=BB79_9 Depth=1
	s_or_b64 exec, exec, s[6:7]
	v_cmp_gt_u64_e32 vcc, s[2:3], v[6:7]
	s_and_saveexec_b64 s[6:7], vcc
	s_cbranch_execz .LBB79_8
	s_branch .LBB79_18
.LBB79_15:                              ;   in Loop: Header=BB79_9 Depth=1
	s_waitcnt vmcnt(6)
	v_sub_u32_e32 v25, 0, v23
	v_max_i32_e32 v25, v23, v25
	v_cvt_f32_u32_e32 v26, v25
	v_sub_u32_e32 v27, 0, v25
	v_ashrrev_i32_e32 v23, 31, v23
	v_xor_b32_e32 v23, s12, v23
	v_rcp_iflag_f32_e32 v26, v26
	v_lshlrev_b64 v[14:15], 2, v[14:15]
	v_mul_f32_e32 v26, 0x4f7ffffe, v26
	v_cvt_u32_f32_e32 v26, v26
	v_mul_lo_u32 v27, v27, v26
	v_mul_hi_u32 v27, v26, v27
	v_add_u32_e32 v26, v26, v27
	v_mul_hi_u32 v26, s13, v26
	v_mov_b32_e32 v27, s22
	v_mul_lo_u32 v28, v26, v25
	v_add_u32_e32 v29, 1, v26
	v_sub_u32_e32 v28, s13, v28
	v_cmp_ge_u32_e32 vcc, v28, v25
	v_sub_u32_e32 v30, v28, v25
	v_cndmask_b32_e32 v26, v26, v29, vcc
	v_cndmask_b32_e32 v28, v28, v30, vcc
	v_add_u32_e32 v29, 1, v26
	v_cmp_ge_u32_e32 vcc, v28, v25
	v_cndmask_b32_e32 v25, v26, v29, vcc
	v_xor_b32_e32 v25, v25, v23
	v_sub_u32_e32 v23, v25, v23
	v_mad_u64_u32 v[25:26], s[14:15], v23, s20, v[13:14]
	v_add_co_u32_e32 v13, vcc, s21, v14
	v_addc_co_u32_e32 v14, vcc, v27, v15, vcc
	global_store_dword v[13:14], v25, off
	s_or_b64 exec, exec, s[6:7]
	v_cmp_gt_u64_e32 vcc, s[2:3], v[16:17]
	s_and_saveexec_b64 s[6:7], vcc
	s_cbranch_execz .LBB79_13
.LBB79_16:                              ;   in Loop: Header=BB79_9 Depth=1
	s_waitcnt vmcnt(5)
	v_sub_u32_e32 v13, 0, v24
	v_max_i32_e32 v13, v24, v13
	v_cvt_f32_u32_e32 v14, v13
	v_sub_u32_e32 v15, 0, v13
	v_ashrrev_i32_e32 v16, 31, v24
	v_xor_b32_e32 v16, s12, v16
	v_rcp_iflag_f32_e32 v14, v14
	v_mul_f32_e32 v14, 0x4f7ffffe, v14
	v_cvt_u32_f32_e32 v14, v14
	v_mul_lo_u32 v15, v15, v14
	v_mul_hi_u32 v15, v14, v15
	v_add_u32_e32 v14, v14, v15
	v_mul_hi_u32 v14, s13, v14
	v_mul_lo_u32 v15, v14, v13
	v_add_u32_e32 v17, 1, v14
	v_sub_u32_e32 v15, s13, v15
	v_cmp_ge_u32_e32 vcc, v15, v13
	v_cndmask_b32_e32 v14, v14, v17, vcc
	v_sub_u32_e32 v17, v15, v13
	v_cndmask_b32_e32 v15, v15, v17, vcc
	v_add_u32_e32 v17, 1, v14
	v_cmp_ge_u32_e32 vcc, v15, v13
	v_cndmask_b32_e32 v13, v14, v17, vcc
	v_xor_b32_e32 v13, v13, v16
	v_sub_u32_e32 v13, v13, v16
	s_waitcnt vmcnt(2)
	v_mad_u64_u32 v[13:14], s[14:15], v13, s20, v[18:19]
	global_store_dword v[9:10], v13, off
	s_or_b64 exec, exec, s[6:7]
	v_cmp_gt_u64_e32 vcc, s[2:3], v[11:12]
	s_and_saveexec_b64 s[6:7], vcc
	s_cbranch_execz .LBB79_14
.LBB79_17:                              ;   in Loop: Header=BB79_9 Depth=1
	s_waitcnt vmcnt(4)
	v_sub_u32_e32 v9, 0, v22
	v_max_i32_e32 v9, v22, v9
	v_cvt_f32_u32_e32 v10, v9
	v_sub_u32_e32 v11, 0, v9
	v_ashrrev_i32_e32 v12, 31, v22
	v_xor_b32_e32 v12, s12, v12
	v_rcp_iflag_f32_e32 v10, v10
	v_mul_f32_e32 v10, 0x4f7ffffe, v10
	v_cvt_u32_f32_e32 v10, v10
	v_mul_lo_u32 v11, v11, v10
	v_mul_hi_u32 v11, v10, v11
	v_add_u32_e32 v10, v10, v11
	v_mul_hi_u32 v10, s13, v10
	v_mul_lo_u32 v11, v10, v9
	v_add_u32_e32 v13, 1, v10
	v_sub_u32_e32 v11, s13, v11
	v_cmp_ge_u32_e32 vcc, v11, v9
	v_cndmask_b32_e32 v10, v10, v13, vcc
	v_sub_u32_e32 v13, v11, v9
	v_cndmask_b32_e32 v11, v11, v13, vcc
	v_add_u32_e32 v13, 1, v10
	v_cmp_ge_u32_e32 vcc, v11, v9
	v_cndmask_b32_e32 v9, v10, v13, vcc
	v_xor_b32_e32 v9, v9, v12
	v_sub_u32_e32 v9, v9, v12
	s_waitcnt vmcnt(1)
	v_mad_u64_u32 v[8:9], s[14:15], v9, s20, v[8:9]
	global_store_dword v[4:5], v8, off
	s_or_b64 exec, exec, s[6:7]
	v_cmp_gt_u64_e32 vcc, s[2:3], v[6:7]
	s_and_saveexec_b64 s[6:7], vcc
	s_cbranch_execz .LBB79_8
.LBB79_18:                              ;   in Loop: Header=BB79_9 Depth=1
	s_waitcnt vmcnt(3)
	v_sub_u32_e32 v4, 0, v21
	v_max_i32_e32 v4, v21, v4
	v_cvt_f32_u32_e32 v5, v4
	v_sub_u32_e32 v6, 0, v4
	v_ashrrev_i32_e32 v7, 31, v21
	v_xor_b32_e32 v7, s12, v7
	v_rcp_iflag_f32_e32 v5, v5
	v_mul_f32_e32 v5, 0x4f7ffffe, v5
	v_cvt_u32_f32_e32 v5, v5
	v_mul_lo_u32 v6, v6, v5
	v_mul_hi_u32 v6, v5, v6
	v_add_u32_e32 v5, v5, v6
	v_mul_hi_u32 v5, s13, v5
	v_mul_lo_u32 v6, v5, v4
	s_waitcnt vmcnt(1)
	v_add_u32_e32 v8, 1, v5
	v_sub_u32_e32 v6, s13, v6
	v_cmp_ge_u32_e32 vcc, v6, v4
	v_cndmask_b32_e32 v5, v5, v8, vcc
	v_sub_u32_e32 v8, v6, v4
	v_cndmask_b32_e32 v6, v6, v8, vcc
	v_add_u32_e32 v8, 1, v5
	v_cmp_ge_u32_e32 vcc, v6, v4
	v_cndmask_b32_e32 v4, v5, v8, vcc
	v_xor_b32_e32 v4, v4, v7
	v_sub_u32_e32 v4, v4, v7
	s_waitcnt vmcnt(0)
	v_mad_u64_u32 v[3:4], s[14:15], v4, s20, v[3:4]
	global_store_dword v[1:2], v3, off
	s_branch .LBB79_8
.LBB79_19:
	s_endpgm
	.section	.rodata,"a",@progbits
	.p2align	6, 0x0
	.amdhsa_kernel _ZN2at6native12_GLOBAL__N_125multi_tensor_apply_kernelINS1_18TensorListMetadataILi3EEENS1_32PointwiseOpScalar0dTensorFunctorIiLi3ELi2ELi0EEEJSt7dividesIiEiEEEvT_T0_DpT1_
		.amdhsa_group_segment_fixed_size 0
		.amdhsa_private_segment_fixed_size 0
		.amdhsa_kernarg_size 3408
		.amdhsa_user_sgpr_count 6
		.amdhsa_user_sgpr_private_segment_buffer 1
		.amdhsa_user_sgpr_dispatch_ptr 0
		.amdhsa_user_sgpr_queue_ptr 0
		.amdhsa_user_sgpr_kernarg_segment_ptr 1
		.amdhsa_user_sgpr_dispatch_id 0
		.amdhsa_user_sgpr_flat_scratch_init 0
		.amdhsa_user_sgpr_private_segment_size 0
		.amdhsa_uses_dynamic_stack 0
		.amdhsa_system_sgpr_private_segment_wavefront_offset 0
		.amdhsa_system_sgpr_workgroup_id_x 1
		.amdhsa_system_sgpr_workgroup_id_y 0
		.amdhsa_system_sgpr_workgroup_id_z 0
		.amdhsa_system_sgpr_workgroup_info 0
		.amdhsa_system_vgpr_workitem_id 0
		.amdhsa_next_free_vgpr 31
		.amdhsa_next_free_sgpr 30
		.amdhsa_reserve_vcc 1
		.amdhsa_reserve_flat_scratch 0
		.amdhsa_float_round_mode_32 0
		.amdhsa_float_round_mode_16_64 0
		.amdhsa_float_denorm_mode_32 3
		.amdhsa_float_denorm_mode_16_64 3
		.amdhsa_dx10_clamp 1
		.amdhsa_ieee_mode 1
		.amdhsa_fp16_overflow 0
		.amdhsa_exception_fp_ieee_invalid_op 0
		.amdhsa_exception_fp_denorm_src 0
		.amdhsa_exception_fp_ieee_div_zero 0
		.amdhsa_exception_fp_ieee_overflow 0
		.amdhsa_exception_fp_ieee_underflow 0
		.amdhsa_exception_fp_ieee_inexact 0
		.amdhsa_exception_int_div_zero 0
	.end_amdhsa_kernel
	.section	.text._ZN2at6native12_GLOBAL__N_125multi_tensor_apply_kernelINS1_18TensorListMetadataILi3EEENS1_32PointwiseOpScalar0dTensorFunctorIiLi3ELi2ELi0EEEJSt7dividesIiEiEEEvT_T0_DpT1_,"axG",@progbits,_ZN2at6native12_GLOBAL__N_125multi_tensor_apply_kernelINS1_18TensorListMetadataILi3EEENS1_32PointwiseOpScalar0dTensorFunctorIiLi3ELi2ELi0EEEJSt7dividesIiEiEEEvT_T0_DpT1_,comdat
.Lfunc_end79:
	.size	_ZN2at6native12_GLOBAL__N_125multi_tensor_apply_kernelINS1_18TensorListMetadataILi3EEENS1_32PointwiseOpScalar0dTensorFunctorIiLi3ELi2ELi0EEEJSt7dividesIiEiEEEvT_T0_DpT1_, .Lfunc_end79-_ZN2at6native12_GLOBAL__N_125multi_tensor_apply_kernelINS1_18TensorListMetadataILi3EEENS1_32PointwiseOpScalar0dTensorFunctorIiLi3ELi2ELi0EEEJSt7dividesIiEiEEEvT_T0_DpT1_
                                        ; -- End function
	.set _ZN2at6native12_GLOBAL__N_125multi_tensor_apply_kernelINS1_18TensorListMetadataILi3EEENS1_32PointwiseOpScalar0dTensorFunctorIiLi3ELi2ELi0EEEJSt7dividesIiEiEEEvT_T0_DpT1_.num_vgpr, 31
	.set _ZN2at6native12_GLOBAL__N_125multi_tensor_apply_kernelINS1_18TensorListMetadataILi3EEENS1_32PointwiseOpScalar0dTensorFunctorIiLi3ELi2ELi0EEEJSt7dividesIiEiEEEvT_T0_DpT1_.num_agpr, 0
	.set _ZN2at6native12_GLOBAL__N_125multi_tensor_apply_kernelINS1_18TensorListMetadataILi3EEENS1_32PointwiseOpScalar0dTensorFunctorIiLi3ELi2ELi0EEEJSt7dividesIiEiEEEvT_T0_DpT1_.numbered_sgpr, 30
	.set _ZN2at6native12_GLOBAL__N_125multi_tensor_apply_kernelINS1_18TensorListMetadataILi3EEENS1_32PointwiseOpScalar0dTensorFunctorIiLi3ELi2ELi0EEEJSt7dividesIiEiEEEvT_T0_DpT1_.num_named_barrier, 0
	.set _ZN2at6native12_GLOBAL__N_125multi_tensor_apply_kernelINS1_18TensorListMetadataILi3EEENS1_32PointwiseOpScalar0dTensorFunctorIiLi3ELi2ELi0EEEJSt7dividesIiEiEEEvT_T0_DpT1_.private_seg_size, 0
	.set _ZN2at6native12_GLOBAL__N_125multi_tensor_apply_kernelINS1_18TensorListMetadataILi3EEENS1_32PointwiseOpScalar0dTensorFunctorIiLi3ELi2ELi0EEEJSt7dividesIiEiEEEvT_T0_DpT1_.uses_vcc, 1
	.set _ZN2at6native12_GLOBAL__N_125multi_tensor_apply_kernelINS1_18TensorListMetadataILi3EEENS1_32PointwiseOpScalar0dTensorFunctorIiLi3ELi2ELi0EEEJSt7dividesIiEiEEEvT_T0_DpT1_.uses_flat_scratch, 0
	.set _ZN2at6native12_GLOBAL__N_125multi_tensor_apply_kernelINS1_18TensorListMetadataILi3EEENS1_32PointwiseOpScalar0dTensorFunctorIiLi3ELi2ELi0EEEJSt7dividesIiEiEEEvT_T0_DpT1_.has_dyn_sized_stack, 0
	.set _ZN2at6native12_GLOBAL__N_125multi_tensor_apply_kernelINS1_18TensorListMetadataILi3EEENS1_32PointwiseOpScalar0dTensorFunctorIiLi3ELi2ELi0EEEJSt7dividesIiEiEEEvT_T0_DpT1_.has_recursion, 0
	.set _ZN2at6native12_GLOBAL__N_125multi_tensor_apply_kernelINS1_18TensorListMetadataILi3EEENS1_32PointwiseOpScalar0dTensorFunctorIiLi3ELi2ELi0EEEJSt7dividesIiEiEEEvT_T0_DpT1_.has_indirect_call, 0
	.section	.AMDGPU.csdata,"",@progbits
; Kernel info:
; codeLenInByte = 2108
; TotalNumSgprs: 34
; NumVgprs: 31
; ScratchSize: 0
; MemoryBound: 0
; FloatMode: 240
; IeeeMode: 1
; LDSByteSize: 0 bytes/workgroup (compile time only)
; SGPRBlocks: 4
; VGPRBlocks: 7
; NumSGPRsForWavesPerEU: 34
; NumVGPRsForWavesPerEU: 31
; Occupancy: 8
; WaveLimiterHint : 0
; COMPUTE_PGM_RSRC2:SCRATCH_EN: 0
; COMPUTE_PGM_RSRC2:USER_SGPR: 6
; COMPUTE_PGM_RSRC2:TRAP_HANDLER: 0
; COMPUTE_PGM_RSRC2:TGID_X_EN: 1
; COMPUTE_PGM_RSRC2:TGID_Y_EN: 0
; COMPUTE_PGM_RSRC2:TGID_Z_EN: 0
; COMPUTE_PGM_RSRC2:TIDIG_COMP_CNT: 0
	.section	.text._ZN2at6native12_GLOBAL__N_125multi_tensor_apply_kernelINS1_18TensorListMetadataILi3EEENS1_32PointwiseOpScalar0dTensorFunctorIlLi3ELi2ELi0EEEJSt7dividesIlElEEEvT_T0_DpT1_,"axG",@progbits,_ZN2at6native12_GLOBAL__N_125multi_tensor_apply_kernelINS1_18TensorListMetadataILi3EEENS1_32PointwiseOpScalar0dTensorFunctorIlLi3ELi2ELi0EEEJSt7dividesIlElEEEvT_T0_DpT1_,comdat
	.globl	_ZN2at6native12_GLOBAL__N_125multi_tensor_apply_kernelINS1_18TensorListMetadataILi3EEENS1_32PointwiseOpScalar0dTensorFunctorIlLi3ELi2ELi0EEEJSt7dividesIlElEEEvT_T0_DpT1_ ; -- Begin function _ZN2at6native12_GLOBAL__N_125multi_tensor_apply_kernelINS1_18TensorListMetadataILi3EEENS1_32PointwiseOpScalar0dTensorFunctorIlLi3ELi2ELi0EEEJSt7dividesIlElEEEvT_T0_DpT1_
	.p2align	8
	.type	_ZN2at6native12_GLOBAL__N_125multi_tensor_apply_kernelINS1_18TensorListMetadataILi3EEENS1_32PointwiseOpScalar0dTensorFunctorIlLi3ELi2ELi0EEEJSt7dividesIlElEEEvT_T0_DpT1_,@function
_ZN2at6native12_GLOBAL__N_125multi_tensor_apply_kernelINS1_18TensorListMetadataILi3EEENS1_32PointwiseOpScalar0dTensorFunctorIlLi3ELi2ELi0EEEJSt7dividesIlElEEEvT_T0_DpT1_: ; @_ZN2at6native12_GLOBAL__N_125multi_tensor_apply_kernelINS1_18TensorListMetadataILi3EEENS1_32PointwiseOpScalar0dTensorFunctorIlLi3ELi2ELi0EEEJSt7dividesIlElEEEvT_T0_DpT1_
; %bb.0:
	v_mov_b32_e32 v1, s6
	global_load_ubyte v1, v1, s[4:5] offset:1536
	s_add_u32 s0, s4, s6
	s_mul_hi_u32 s1, s6, 3
	s_mul_i32 s6, s6, 3
	s_addc_u32 s2, s5, 0
	s_add_u32 s0, s0, s6
	s_addc_u32 s1, s2, s1
	s_load_dword s8, s[0:1], 0x740
	s_load_dwordx2 s[2:3], s[4:5], 0xc50
	s_mov_b32 s15, 0
	s_mov_b32 s17, s15
	s_waitcnt lgkmcnt(0)
	s_ashr_i32 s9, s8, 31
	s_waitcnt vmcnt(0)
	v_readfirstlane_b32 s0, v1
	s_lshl_b32 s6, s0, 3
	s_load_dwordx2 s[10:11], s[4:5], s6 offset:0x0
	s_load_dwordx2 s[18:19], s[4:5], s6 offset:0x180
	;; [unrolled: 1-line block ×4, first 2 shown]
	s_lshl_b64 s[0:1], s[8:9], 19
	s_waitcnt lgkmcnt(0)
	s_add_u32 s24, s10, s0
	s_addc_u32 s25, s11, s1
	s_and_b32 s14, s24, 31
	s_add_u32 s16, s18, s0
	s_add_u32 s26, s12, s0
	s_addc_u32 s27, s13, s1
	s_or_b32 s16, s26, s16
	s_and_b32 s16, s16, 31
	s_cmp_lg_u32 s16, 0
	s_load_dwordx2 s[6:7], s[18:19], 0x0
	s_cselect_b64 s[18:19], -1, 0
	s_lshl_b64 s[8:9], s[8:9], 16
	s_sub_u32 s8, s20, s8
	s_subb_u32 s9, s21, s9
	s_and_b32 s16, s20, 3
	s_or_b64 s[14:15], s[14:15], s[16:17]
	s_cmp_lg_u64 s[14:15], 0
	s_cselect_b64 s[14:15], -1, 0
	s_or_b64 s[14:15], s[18:19], s[14:15]
	s_andn2_b64 vcc, exec, s[14:15]
	s_mov_b64 s[14:15], -1
	s_cbranch_vccz .LBB80_21
; %bb.1:
	v_mov_b32_e32 v1, 0x10000
	v_mov_b32_e32 v2, 0
	v_cmp_lt_i64_e32 vcc, s[8:9], v[1:2]
	v_mov_b32_e32 v17, 0
	s_and_b64 s[14:15], vcc, exec
	s_cselect_b32 s15, s9, 0
	s_cselect_b32 s14, s8, 0x10000
	v_lshlrev_b32_e32 v1, 2, v0
	v_mov_b32_e32 v2, v17
	v_cmp_gt_i64_e32 vcc, s[14:15], v[1:2]
	s_and_saveexec_b64 s[16:17], vcc
	s_cbranch_execz .LBB80_20
; %bb.2:
	s_load_dword s18, s[4:5], 0xc64
	v_mov_b32_e32 v1, v17
	v_lshlrev_b32_e32 v2, 5, v0
	v_mov_b32_e32 v3, s1
	v_add_co_u32_e32 v25, vcc, s0, v2
	s_waitcnt lgkmcnt(0)
	s_and_b32 s28, s18, 0xffff
	v_mov_b32_e32 v20, v1
	v_addc_co_u32_e32 v26, vcc, 0, v3, vcc
	s_lshl_b32 s29, s28, 5
	s_mov_b64 s[18:19], 0
	v_mov_b32_e32 v27, s11
	v_mov_b32_e32 v28, s13
	s_ashr_i32 s20, s7, 31
	v_mov_b32_e32 v19, v0
	s_branch .LBB80_4
.LBB80_3:                               ;   in Loop: Header=BB80_4 Depth=1
	s_or_b64 exec, exec, s[0:1]
	v_mul_lo_u32 v18, v9, s3
	v_mul_lo_u32 v10, v10, s2
	s_waitcnt vmcnt(1)
	v_mad_u64_u32 v[3:4], s[0:1], v9, s2, v[3:4]
	v_add_co_u32_e32 v19, vcc, s28, v19
	v_addc_co_u32_e32 v20, vcc, 0, v20, vcc
	v_add3_u32 v4, v10, v4, v18
	v_lshlrev_b64 v[9:10], 2, v[19:20]
	v_mul_lo_u32 v11, v15, s3
	v_mul_lo_u32 v12, v16, s2
	v_mad_u64_u32 v[1:2], s[0:1], v15, s2, v[1:2]
	v_mul_lo_u32 v15, v13, s3
	v_mul_lo_u32 v14, v14, s2
	s_waitcnt vmcnt(0)
	v_mad_u64_u32 v[7:8], s[0:1], v13, s2, v[7:8]
	v_mul_lo_u32 v13, v23, s3
	v_mul_lo_u32 v16, v24, s2
	v_mad_u64_u32 v[5:6], s[0:1], v23, s2, v[5:6]
	v_cmp_le_i64_e32 vcc, s[14:15], v[9:10]
	v_add3_u32 v2, v12, v2, v11
	s_or_b64 s[18:19], vcc, s[18:19]
	v_add_co_u32_e32 v25, vcc, s29, v25
	v_add3_u32 v8, v14, v8, v15
	v_add3_u32 v6, v16, v6, v13
	v_addc_co_u32_e32 v26, vcc, 0, v26, vcc
	global_store_dwordx4 v[21:22], v[5:8], off
	global_store_dwordx4 v[21:22], v[1:4], off offset:16
	s_andn2_b64 exec, exec, s[18:19]
	s_cbranch_execz .LBB80_20
.LBB80_4:                               ; =>This Inner Loop Header: Depth=1
	v_add_co_u32_e32 v1, vcc, s12, v25
	v_addc_co_u32_e32 v2, vcc, v28, v26, vcc
	global_load_dwordx4 v[9:12], v[1:2], off offset:16
	global_load_dwordx4 v[13:16], v[1:2], off
	v_add_co_u32_e32 v21, vcc, s10, v25
	v_addc_co_u32_e32 v22, vcc, v27, v26, vcc
	global_load_dwordx4 v[1:4], v[21:22], off offset:16
	global_load_dwordx4 v[5:8], v[21:22], off
                                        ; implicit-def: $vgpr23_vgpr24
	s_waitcnt vmcnt(2)
	v_or_b32_e32 v18, s7, v14
	v_cmp_ne_u64_e32 vcc, 0, v[17:18]
	s_and_saveexec_b64 s[0:1], vcc
	s_xor_b64 s[22:23], exec, s[0:1]
	s_cbranch_execz .LBB80_6
; %bb.5:                                ;   in Loop: Header=BB80_4 Depth=1
	v_ashrrev_i32_e32 v18, 31, v14
	v_add_co_u32_e32 v23, vcc, v13, v18
	v_addc_co_u32_e32 v14, vcc, v14, v18, vcc
	v_xor_b32_e32 v14, v14, v18
	v_xor_b32_e32 v33, v23, v18
	v_cvt_f32_u32_e32 v23, v33
	v_cvt_f32_u32_e32 v24, v14
	v_sub_co_u32_e32 v32, vcc, 0, v33
	v_subb_co_u32_e32 v34, vcc, 0, v14, vcc
	v_mac_f32_e32 v23, 0x4f800000, v24
	v_rcp_f32_e32 v23, v23
	s_mov_b32 s21, s20
	v_xor_b32_e32 v18, s20, v18
	v_mul_f32_e32 v23, 0x5f7ffffc, v23
	v_mul_f32_e32 v24, 0x2f800000, v23
	v_trunc_f32_e32 v24, v24
	v_mac_f32_e32 v23, 0xcf800000, v24
	v_cvt_u32_f32_e32 v31, v23
	v_cvt_u32_f32_e32 v35, v24
	v_mul_lo_u32 v29, v34, v31
	v_mad_u64_u32 v[23:24], s[0:1], v32, v31, 0
	v_mul_lo_u32 v30, v32, v35
	v_add3_u32 v36, v24, v30, v29
	v_mad_u64_u32 v[29:30], s[0:1], v31, v36, 0
	v_mul_hi_u32 v24, v31, v23
	v_add_co_u32_e32 v37, vcc, v24, v29
	v_mad_u64_u32 v[23:24], s[0:1], v35, v23, 0
	v_addc_co_u32_e32 v38, vcc, 0, v30, vcc
	v_mad_u64_u32 v[29:30], s[0:1], v35, v36, 0
	v_add_co_u32_e32 v23, vcc, v37, v23
	v_addc_co_u32_e32 v23, vcc, v38, v24, vcc
	v_addc_co_u32_e32 v24, vcc, 0, v30, vcc
	v_add_co_u32_e32 v23, vcc, v23, v29
	v_addc_co_u32_e32 v24, vcc, 0, v24, vcc
	v_add_co_u32_e32 v36, vcc, v31, v23
	v_addc_co_u32_e32 v35, vcc, v35, v24, vcc
	v_mul_lo_u32 v29, v32, v35
	v_mul_lo_u32 v30, v34, v36
	v_mad_u64_u32 v[23:24], s[0:1], v32, v36, 0
	v_add3_u32 v24, v24, v29, v30
	v_mad_u64_u32 v[31:32], s[0:1], v36, v24, 0
	v_mul_hi_u32 v34, v36, v23
	v_mad_u64_u32 v[29:30], s[0:1], v35, v24, 0
	v_mad_u64_u32 v[23:24], s[0:1], v35, v23, 0
	v_add_co_u32_e32 v31, vcc, v34, v31
	v_addc_co_u32_e32 v32, vcc, 0, v32, vcc
	v_add_co_u32_e32 v23, vcc, v31, v23
	v_addc_co_u32_e32 v23, vcc, v32, v24, vcc
	v_addc_co_u32_e32 v24, vcc, 0, v30, vcc
	v_add_co_u32_e32 v23, vcc, v23, v29
	v_addc_co_u32_e32 v24, vcc, 0, v24, vcc
	s_add_u32 s0, s6, s20
	v_add_co_u32_e32 v29, vcc, v36, v23
	s_addc_u32 s1, s7, s20
	v_addc_co_u32_e32 v30, vcc, v35, v24, vcc
	s_xor_b64 s[30:31], s[0:1], s[20:21]
	v_mad_u64_u32 v[23:24], s[0:1], s30, v30, 0
	v_mul_hi_u32 v31, s30, v29
	v_add_co_u32_e32 v31, vcc, v31, v23
	v_addc_co_u32_e32 v32, vcc, 0, v24, vcc
	v_mad_u64_u32 v[23:24], s[0:1], s31, v29, 0
	v_mad_u64_u32 v[29:30], s[0:1], s31, v30, 0
	v_add_co_u32_e32 v23, vcc, v31, v23
	v_addc_co_u32_e32 v23, vcc, v32, v24, vcc
	v_addc_co_u32_e32 v24, vcc, 0, v30, vcc
	v_add_co_u32_e32 v29, vcc, v23, v29
	v_addc_co_u32_e32 v30, vcc, 0, v24, vcc
	v_mul_lo_u32 v31, v14, v29
	v_mul_lo_u32 v32, v33, v30
	v_mad_u64_u32 v[23:24], s[0:1], v33, v29, 0
	v_add3_u32 v24, v24, v32, v31
	v_sub_u32_e32 v31, s31, v24
	v_sub_co_u32_e32 v23, vcc, s30, v23
	v_subb_co_u32_e64 v31, s[0:1], v31, v14, vcc
	v_sub_co_u32_e64 v32, s[0:1], v23, v33
	v_subbrev_co_u32_e64 v31, s[0:1], 0, v31, s[0:1]
	v_cmp_ge_u32_e64 s[0:1], v31, v14
	v_cndmask_b32_e64 v34, 0, -1, s[0:1]
	v_cmp_ge_u32_e64 s[0:1], v32, v33
	v_cndmask_b32_e64 v32, 0, -1, s[0:1]
	v_cmp_eq_u32_e64 s[0:1], v31, v14
	v_cndmask_b32_e64 v31, v34, v32, s[0:1]
	v_add_co_u32_e64 v32, s[0:1], 2, v29
	v_addc_co_u32_e64 v34, s[0:1], 0, v30, s[0:1]
	v_add_co_u32_e64 v35, s[0:1], 1, v29
	v_addc_co_u32_e64 v36, s[0:1], 0, v30, s[0:1]
	v_cmp_ne_u32_e64 s[0:1], 0, v31
	v_cndmask_b32_e64 v31, v36, v34, s[0:1]
	v_mov_b32_e32 v34, s31
	v_subb_co_u32_e32 v24, vcc, v34, v24, vcc
	v_cmp_ge_u32_e32 vcc, v24, v14
	v_cndmask_b32_e64 v34, 0, -1, vcc
	v_cmp_ge_u32_e32 vcc, v23, v33
	v_cndmask_b32_e64 v23, 0, -1, vcc
	v_cmp_eq_u32_e32 vcc, v24, v14
	v_cndmask_b32_e32 v14, v34, v23, vcc
	v_cmp_ne_u32_e32 vcc, 0, v14
	v_cndmask_b32_e64 v23, v35, v32, s[0:1]
	v_cndmask_b32_e32 v23, v29, v23, vcc
	v_cndmask_b32_e32 v14, v30, v31, vcc
	v_xor_b32_e32 v23, v23, v18
	v_xor_b32_e32 v14, v14, v18
	v_sub_co_u32_e32 v23, vcc, v23, v18
	v_subb_co_u32_e32 v24, vcc, v14, v18, vcc
.LBB80_6:                               ;   in Loop: Header=BB80_4 Depth=1
	s_andn2_saveexec_b64 s[0:1], s[22:23]
	s_cbranch_execz .LBB80_8
; %bb.7:                                ;   in Loop: Header=BB80_4 Depth=1
	v_cvt_f32_u32_e32 v14, v13
	v_sub_u32_e32 v18, 0, v13
	v_rcp_iflag_f32_e32 v14, v14
	v_mul_f32_e32 v14, 0x4f7ffffe, v14
	v_cvt_u32_f32_e32 v14, v14
	v_mul_lo_u32 v18, v18, v14
	v_mul_hi_u32 v18, v14, v18
	v_add_u32_e32 v14, v14, v18
	v_mul_hi_u32 v14, s6, v14
	v_mul_lo_u32 v18, v14, v13
	v_add_u32_e32 v23, 1, v14
	v_sub_u32_e32 v18, s6, v18
	v_sub_u32_e32 v24, v18, v13
	v_cmp_ge_u32_e32 vcc, v18, v13
	v_cndmask_b32_e32 v18, v18, v24, vcc
	v_cndmask_b32_e32 v14, v14, v23, vcc
	v_add_u32_e32 v23, 1, v14
	v_cmp_ge_u32_e32 vcc, v18, v13
	v_cndmask_b32_e32 v23, v14, v23, vcc
	v_mov_b32_e32 v24, v17
.LBB80_8:                               ;   in Loop: Header=BB80_4 Depth=1
	s_or_b64 exec, exec, s[0:1]
	v_or_b32_e32 v18, s7, v16
	v_cmp_ne_u64_e32 vcc, 0, v[17:18]
                                        ; implicit-def: $vgpr13_vgpr14
	s_and_saveexec_b64 s[0:1], vcc
	s_xor_b64 s[22:23], exec, s[0:1]
	s_cbranch_execz .LBB80_10
; %bb.9:                                ;   in Loop: Header=BB80_4 Depth=1
	v_ashrrev_i32_e32 v18, 31, v16
	v_add_co_u32_e32 v13, vcc, v15, v18
	v_addc_co_u32_e32 v14, vcc, v16, v18, vcc
	v_xor_b32_e32 v33, v14, v18
	v_xor_b32_e32 v34, v13, v18
	v_cvt_f32_u32_e32 v13, v34
	v_cvt_f32_u32_e32 v14, v33
	v_sub_co_u32_e32 v30, vcc, 0, v34
	v_subb_co_u32_e32 v31, vcc, 0, v33, vcc
	v_mac_f32_e32 v13, 0x4f800000, v14
	v_rcp_f32_e32 v13, v13
	s_mov_b32 s21, s20
	v_mul_f32_e32 v13, 0x5f7ffffc, v13
	v_mul_f32_e32 v14, 0x2f800000, v13
	v_trunc_f32_e32 v14, v14
	v_mac_f32_e32 v13, 0xcf800000, v14
	v_cvt_u32_f32_e32 v29, v13
	v_cvt_u32_f32_e32 v32, v14
	v_mul_lo_u32 v15, v31, v29
	v_mad_u64_u32 v[13:14], s[0:1], v30, v29, 0
	v_mul_lo_u32 v16, v30, v32
	v_mul_hi_u32 v35, v29, v13
	v_add3_u32 v16, v14, v16, v15
	v_mad_u64_u32 v[14:15], s[0:1], v29, v16, 0
	v_add_co_u32_e32 v35, vcc, v35, v14
	v_mad_u64_u32 v[13:14], s[0:1], v32, v13, 0
	v_addc_co_u32_e32 v36, vcc, 0, v15, vcc
	v_mad_u64_u32 v[15:16], s[0:1], v32, v16, 0
	v_add_co_u32_e32 v13, vcc, v35, v13
	v_addc_co_u32_e32 v13, vcc, v36, v14, vcc
	v_addc_co_u32_e32 v14, vcc, 0, v16, vcc
	v_add_co_u32_e32 v13, vcc, v13, v15
	v_addc_co_u32_e32 v14, vcc, 0, v14, vcc
	v_add_co_u32_e32 v16, vcc, v29, v13
	v_addc_co_u32_e32 v35, vcc, v32, v14, vcc
	v_mul_lo_u32 v15, v30, v35
	v_mul_lo_u32 v29, v31, v16
	v_mad_u64_u32 v[13:14], s[0:1], v30, v16, 0
	v_add3_u32 v29, v14, v15, v29
	v_mad_u64_u32 v[14:15], s[0:1], v35, v29, 0
	v_mad_u64_u32 v[29:30], s[0:1], v16, v29, 0
	v_mul_hi_u32 v36, v16, v13
	v_mad_u64_u32 v[31:32], s[0:1], v35, v13, 0
	s_add_u32 s0, s6, s20
	v_add_co_u32_e32 v13, vcc, v36, v29
	v_addc_co_u32_e32 v29, vcc, 0, v30, vcc
	v_add_co_u32_e32 v13, vcc, v13, v31
	v_addc_co_u32_e32 v13, vcc, v29, v32, vcc
	v_addc_co_u32_e32 v15, vcc, 0, v15, vcc
	v_add_co_u32_e32 v13, vcc, v13, v14
	v_addc_co_u32_e32 v14, vcc, 0, v15, vcc
	v_add_co_u32_e32 v15, vcc, v16, v13
	s_addc_u32 s1, s7, s20
	v_addc_co_u32_e32 v16, vcc, v35, v14, vcc
	s_xor_b64 s[30:31], s[0:1], s[20:21]
	v_mad_u64_u32 v[13:14], s[0:1], s30, v16, 0
	v_mul_hi_u32 v29, s30, v15
	v_add_co_u32_e32 v29, vcc, v29, v13
	v_addc_co_u32_e32 v30, vcc, 0, v14, vcc
	v_mad_u64_u32 v[13:14], s[0:1], s31, v15, 0
	v_mad_u64_u32 v[15:16], s[0:1], s31, v16, 0
	v_add_co_u32_e32 v13, vcc, v29, v13
	v_addc_co_u32_e32 v13, vcc, v30, v14, vcc
	v_addc_co_u32_e32 v14, vcc, 0, v16, vcc
	v_add_co_u32_e32 v15, vcc, v13, v15
	v_addc_co_u32_e32 v16, vcc, 0, v14, vcc
	v_mul_lo_u32 v29, v33, v15
	v_mul_lo_u32 v30, v34, v16
	v_mad_u64_u32 v[13:14], s[0:1], v34, v15, 0
	v_add3_u32 v14, v14, v30, v29
	v_sub_u32_e32 v29, s31, v14
	v_sub_co_u32_e32 v13, vcc, s30, v13
	v_subb_co_u32_e64 v29, s[0:1], v29, v33, vcc
	v_sub_co_u32_e64 v30, s[0:1], v13, v34
	v_subbrev_co_u32_e64 v29, s[0:1], 0, v29, s[0:1]
	v_cmp_ge_u32_e64 s[0:1], v29, v33
	v_cndmask_b32_e64 v31, 0, -1, s[0:1]
	v_cmp_ge_u32_e64 s[0:1], v30, v34
	v_cndmask_b32_e64 v30, 0, -1, s[0:1]
	v_cmp_eq_u32_e64 s[0:1], v29, v33
	v_cndmask_b32_e64 v29, v31, v30, s[0:1]
	v_add_co_u32_e64 v30, s[0:1], 2, v15
	v_addc_co_u32_e64 v31, s[0:1], 0, v16, s[0:1]
	v_add_co_u32_e64 v32, s[0:1], 1, v15
	v_addc_co_u32_e64 v35, s[0:1], 0, v16, s[0:1]
	v_cmp_ne_u32_e64 s[0:1], 0, v29
	v_cndmask_b32_e64 v29, v35, v31, s[0:1]
	v_mov_b32_e32 v31, s31
	v_subb_co_u32_e32 v14, vcc, v31, v14, vcc
	v_cmp_ge_u32_e32 vcc, v14, v33
	v_cndmask_b32_e64 v31, 0, -1, vcc
	v_cmp_ge_u32_e32 vcc, v13, v34
	v_cndmask_b32_e64 v13, 0, -1, vcc
	v_cmp_eq_u32_e32 vcc, v14, v33
	v_cndmask_b32_e32 v13, v31, v13, vcc
	v_cmp_ne_u32_e32 vcc, 0, v13
	v_cndmask_b32_e64 v14, v32, v30, s[0:1]
	v_cndmask_b32_e32 v13, v16, v29, vcc
	v_cndmask_b32_e32 v14, v15, v14, vcc
	v_xor_b32_e32 v15, s20, v18
	v_xor_b32_e32 v16, v13, v15
	;; [unrolled: 1-line block ×3, first 2 shown]
	v_sub_co_u32_e32 v13, vcc, v13, v15
	v_subb_co_u32_e32 v14, vcc, v16, v15, vcc
                                        ; implicit-def: $vgpr15_vgpr16
.LBB80_10:                              ;   in Loop: Header=BB80_4 Depth=1
	s_andn2_saveexec_b64 s[0:1], s[22:23]
	s_cbranch_execz .LBB80_12
; %bb.11:                               ;   in Loop: Header=BB80_4 Depth=1
	v_cvt_f32_u32_e32 v13, v15
	v_sub_u32_e32 v14, 0, v15
	v_rcp_iflag_f32_e32 v13, v13
	v_mul_f32_e32 v13, 0x4f7ffffe, v13
	v_cvt_u32_f32_e32 v13, v13
	v_mul_lo_u32 v14, v14, v13
	v_mul_hi_u32 v14, v13, v14
	v_add_u32_e32 v13, v13, v14
	v_mul_hi_u32 v13, s6, v13
	v_mul_lo_u32 v14, v13, v15
	v_add_u32_e32 v16, 1, v13
	v_sub_u32_e32 v14, s6, v14
	v_sub_u32_e32 v18, v14, v15
	v_cmp_ge_u32_e32 vcc, v14, v15
	v_cndmask_b32_e32 v14, v14, v18, vcc
	v_cndmask_b32_e32 v13, v13, v16, vcc
	v_add_u32_e32 v16, 1, v13
	v_cmp_ge_u32_e32 vcc, v14, v15
	v_cndmask_b32_e32 v13, v13, v16, vcc
	v_mov_b32_e32 v14, v17
.LBB80_12:                              ;   in Loop: Header=BB80_4 Depth=1
	s_or_b64 exec, exec, s[0:1]
	v_or_b32_e32 v18, s7, v10
	v_cmp_ne_u64_e32 vcc, 0, v[17:18]
                                        ; implicit-def: $vgpr15_vgpr16
	s_and_saveexec_b64 s[0:1], vcc
	s_xor_b64 s[22:23], exec, s[0:1]
	s_cbranch_execz .LBB80_14
; %bb.13:                               ;   in Loop: Header=BB80_4 Depth=1
	v_ashrrev_i32_e32 v18, 31, v10
	v_add_co_u32_e32 v15, vcc, v9, v18
	v_addc_co_u32_e32 v10, vcc, v10, v18, vcc
	v_xor_b32_e32 v10, v10, v18
	v_xor_b32_e32 v33, v15, v18
	v_cvt_f32_u32_e32 v15, v33
	v_cvt_f32_u32_e32 v16, v10
	v_sub_co_u32_e32 v32, vcc, 0, v33
	v_subb_co_u32_e32 v34, vcc, 0, v10, vcc
	v_mac_f32_e32 v15, 0x4f800000, v16
	v_rcp_f32_e32 v15, v15
	s_mov_b32 s21, s20
	v_mul_f32_e32 v15, 0x5f7ffffc, v15
	v_mul_f32_e32 v16, 0x2f800000, v15
	v_trunc_f32_e32 v16, v16
	v_mac_f32_e32 v15, 0xcf800000, v16
	v_cvt_u32_f32_e32 v31, v15
	v_cvt_u32_f32_e32 v35, v16
	v_mul_lo_u32 v29, v34, v31
	v_mad_u64_u32 v[15:16], s[0:1], v32, v31, 0
	v_mul_lo_u32 v30, v32, v35
	v_add3_u32 v36, v16, v30, v29
	v_mad_u64_u32 v[29:30], s[0:1], v31, v36, 0
	v_mul_hi_u32 v16, v31, v15
	v_add_co_u32_e32 v37, vcc, v16, v29
	v_mad_u64_u32 v[15:16], s[0:1], v35, v15, 0
	v_addc_co_u32_e32 v38, vcc, 0, v30, vcc
	v_mad_u64_u32 v[29:30], s[0:1], v35, v36, 0
	v_add_co_u32_e32 v15, vcc, v37, v15
	v_addc_co_u32_e32 v15, vcc, v38, v16, vcc
	v_addc_co_u32_e32 v16, vcc, 0, v30, vcc
	v_add_co_u32_e32 v15, vcc, v15, v29
	v_addc_co_u32_e32 v16, vcc, 0, v16, vcc
	v_add_co_u32_e32 v36, vcc, v31, v15
	v_addc_co_u32_e32 v35, vcc, v35, v16, vcc
	v_mul_lo_u32 v29, v32, v35
	v_mul_lo_u32 v30, v34, v36
	v_mad_u64_u32 v[15:16], s[0:1], v32, v36, 0
	v_add3_u32 v16, v16, v29, v30
	v_mad_u64_u32 v[31:32], s[0:1], v36, v16, 0
	v_mul_hi_u32 v34, v36, v15
	v_mad_u64_u32 v[29:30], s[0:1], v35, v16, 0
	v_mad_u64_u32 v[15:16], s[0:1], v35, v15, 0
	v_add_co_u32_e32 v31, vcc, v34, v31
	v_addc_co_u32_e32 v32, vcc, 0, v32, vcc
	v_add_co_u32_e32 v15, vcc, v31, v15
	v_addc_co_u32_e32 v15, vcc, v32, v16, vcc
	v_addc_co_u32_e32 v16, vcc, 0, v30, vcc
	v_add_co_u32_e32 v15, vcc, v15, v29
	v_addc_co_u32_e32 v16, vcc, 0, v16, vcc
	s_add_u32 s0, s6, s20
	v_add_co_u32_e32 v29, vcc, v36, v15
	s_addc_u32 s1, s7, s20
	v_addc_co_u32_e32 v30, vcc, v35, v16, vcc
	s_xor_b64 s[30:31], s[0:1], s[20:21]
	v_mad_u64_u32 v[15:16], s[0:1], s30, v30, 0
	v_mul_hi_u32 v31, s30, v29
	v_add_co_u32_e32 v31, vcc, v31, v15
	v_addc_co_u32_e32 v32, vcc, 0, v16, vcc
	v_mad_u64_u32 v[15:16], s[0:1], s31, v29, 0
	v_mad_u64_u32 v[29:30], s[0:1], s31, v30, 0
	v_add_co_u32_e32 v15, vcc, v31, v15
	v_addc_co_u32_e32 v15, vcc, v32, v16, vcc
	v_addc_co_u32_e32 v16, vcc, 0, v30, vcc
	v_add_co_u32_e32 v29, vcc, v15, v29
	v_addc_co_u32_e32 v30, vcc, 0, v16, vcc
	v_mul_lo_u32 v31, v10, v29
	v_mul_lo_u32 v32, v33, v30
	v_mad_u64_u32 v[15:16], s[0:1], v33, v29, 0
	v_add3_u32 v16, v16, v32, v31
	v_sub_u32_e32 v31, s31, v16
	v_sub_co_u32_e32 v15, vcc, s30, v15
	v_subb_co_u32_e64 v31, s[0:1], v31, v10, vcc
	v_sub_co_u32_e64 v32, s[0:1], v15, v33
	v_subbrev_co_u32_e64 v31, s[0:1], 0, v31, s[0:1]
	v_cmp_ge_u32_e64 s[0:1], v31, v10
	v_cndmask_b32_e64 v34, 0, -1, s[0:1]
	v_cmp_ge_u32_e64 s[0:1], v32, v33
	v_cndmask_b32_e64 v32, 0, -1, s[0:1]
	v_cmp_eq_u32_e64 s[0:1], v31, v10
	v_cndmask_b32_e64 v31, v34, v32, s[0:1]
	v_add_co_u32_e64 v32, s[0:1], 2, v29
	v_addc_co_u32_e64 v34, s[0:1], 0, v30, s[0:1]
	v_add_co_u32_e64 v35, s[0:1], 1, v29
	v_addc_co_u32_e64 v36, s[0:1], 0, v30, s[0:1]
	v_cmp_ne_u32_e64 s[0:1], 0, v31
	v_cndmask_b32_e64 v31, v36, v34, s[0:1]
	v_mov_b32_e32 v34, s31
	v_subb_co_u32_e32 v16, vcc, v34, v16, vcc
	v_cmp_ge_u32_e32 vcc, v16, v10
	v_cndmask_b32_e64 v34, 0, -1, vcc
	v_cmp_ge_u32_e32 vcc, v15, v33
	v_cndmask_b32_e64 v15, 0, -1, vcc
	v_cmp_eq_u32_e32 vcc, v16, v10
	v_cndmask_b32_e32 v10, v34, v15, vcc
	v_cmp_ne_u32_e32 vcc, 0, v10
	v_cndmask_b32_e64 v15, v35, v32, s[0:1]
	v_cndmask_b32_e32 v15, v29, v15, vcc
	v_xor_b32_e32 v16, s20, v18
	v_cndmask_b32_e32 v10, v30, v31, vcc
	v_xor_b32_e32 v15, v15, v16
	v_xor_b32_e32 v10, v10, v16
	v_sub_co_u32_e32 v15, vcc, v15, v16
	v_subb_co_u32_e32 v16, vcc, v10, v16, vcc
.LBB80_14:                              ;   in Loop: Header=BB80_4 Depth=1
	s_andn2_saveexec_b64 s[0:1], s[22:23]
	s_cbranch_execz .LBB80_16
; %bb.15:                               ;   in Loop: Header=BB80_4 Depth=1
	v_cvt_f32_u32_e32 v10, v9
	v_sub_u32_e32 v15, 0, v9
	v_rcp_iflag_f32_e32 v10, v10
	v_mul_f32_e32 v10, 0x4f7ffffe, v10
	v_cvt_u32_f32_e32 v10, v10
	v_mul_lo_u32 v15, v15, v10
	v_mul_hi_u32 v15, v10, v15
	v_add_u32_e32 v10, v10, v15
	v_mul_hi_u32 v10, s6, v10
	v_mul_lo_u32 v15, v10, v9
	v_add_u32_e32 v16, 1, v10
	v_sub_u32_e32 v15, s6, v15
	v_sub_u32_e32 v18, v15, v9
	v_cmp_ge_u32_e32 vcc, v15, v9
	v_cndmask_b32_e32 v15, v15, v18, vcc
	v_cndmask_b32_e32 v10, v10, v16, vcc
	v_add_u32_e32 v16, 1, v10
	v_cmp_ge_u32_e32 vcc, v15, v9
	v_cndmask_b32_e32 v15, v10, v16, vcc
	v_mov_b32_e32 v16, v17
.LBB80_16:                              ;   in Loop: Header=BB80_4 Depth=1
	s_or_b64 exec, exec, s[0:1]
	v_or_b32_e32 v18, s7, v12
	v_cmp_ne_u64_e32 vcc, 0, v[17:18]
                                        ; implicit-def: $vgpr9_vgpr10
	s_and_saveexec_b64 s[0:1], vcc
	s_xor_b64 s[22:23], exec, s[0:1]
	s_cbranch_execz .LBB80_18
; %bb.17:                               ;   in Loop: Header=BB80_4 Depth=1
	v_ashrrev_i32_e32 v18, 31, v12
	v_add_co_u32_e32 v9, vcc, v11, v18
	v_addc_co_u32_e32 v10, vcc, v12, v18, vcc
	v_xor_b32_e32 v33, v10, v18
	v_xor_b32_e32 v34, v9, v18
	v_cvt_f32_u32_e32 v9, v34
	v_cvt_f32_u32_e32 v10, v33
	v_sub_co_u32_e32 v30, vcc, 0, v34
	v_subb_co_u32_e32 v31, vcc, 0, v33, vcc
	v_mac_f32_e32 v9, 0x4f800000, v10
	v_rcp_f32_e32 v9, v9
	s_mov_b32 s21, s20
	v_mul_f32_e32 v9, 0x5f7ffffc, v9
	v_mul_f32_e32 v10, 0x2f800000, v9
	v_trunc_f32_e32 v10, v10
	v_mac_f32_e32 v9, 0xcf800000, v10
	v_cvt_u32_f32_e32 v29, v9
	v_cvt_u32_f32_e32 v32, v10
	v_mul_lo_u32 v11, v31, v29
	v_mad_u64_u32 v[9:10], s[0:1], v30, v29, 0
	v_mul_lo_u32 v12, v30, v32
	v_mul_hi_u32 v35, v29, v9
	v_add3_u32 v12, v10, v12, v11
	v_mad_u64_u32 v[10:11], s[0:1], v29, v12, 0
	v_add_co_u32_e32 v35, vcc, v35, v10
	v_mad_u64_u32 v[9:10], s[0:1], v32, v9, 0
	v_addc_co_u32_e32 v36, vcc, 0, v11, vcc
	v_mad_u64_u32 v[11:12], s[0:1], v32, v12, 0
	v_add_co_u32_e32 v9, vcc, v35, v9
	v_addc_co_u32_e32 v9, vcc, v36, v10, vcc
	v_addc_co_u32_e32 v10, vcc, 0, v12, vcc
	v_add_co_u32_e32 v9, vcc, v9, v11
	v_addc_co_u32_e32 v10, vcc, 0, v10, vcc
	v_add_co_u32_e32 v12, vcc, v29, v9
	v_addc_co_u32_e32 v35, vcc, v32, v10, vcc
	v_mul_lo_u32 v11, v30, v35
	v_mul_lo_u32 v29, v31, v12
	v_mad_u64_u32 v[9:10], s[0:1], v30, v12, 0
	v_add3_u32 v29, v10, v11, v29
	v_mad_u64_u32 v[10:11], s[0:1], v35, v29, 0
	v_mad_u64_u32 v[29:30], s[0:1], v12, v29, 0
	v_mul_hi_u32 v36, v12, v9
	v_mad_u64_u32 v[31:32], s[0:1], v35, v9, 0
	s_add_u32 s0, s6, s20
	v_add_co_u32_e32 v9, vcc, v36, v29
	v_addc_co_u32_e32 v29, vcc, 0, v30, vcc
	v_add_co_u32_e32 v9, vcc, v9, v31
	v_addc_co_u32_e32 v9, vcc, v29, v32, vcc
	v_addc_co_u32_e32 v11, vcc, 0, v11, vcc
	v_add_co_u32_e32 v9, vcc, v9, v10
	v_addc_co_u32_e32 v10, vcc, 0, v11, vcc
	v_add_co_u32_e32 v11, vcc, v12, v9
	s_addc_u32 s1, s7, s20
	v_addc_co_u32_e32 v12, vcc, v35, v10, vcc
	s_xor_b64 s[30:31], s[0:1], s[20:21]
	v_mad_u64_u32 v[9:10], s[0:1], s30, v12, 0
	v_mul_hi_u32 v29, s30, v11
	v_add_co_u32_e32 v29, vcc, v29, v9
	v_addc_co_u32_e32 v30, vcc, 0, v10, vcc
	v_mad_u64_u32 v[9:10], s[0:1], s31, v11, 0
	v_mad_u64_u32 v[11:12], s[0:1], s31, v12, 0
	v_add_co_u32_e32 v9, vcc, v29, v9
	v_addc_co_u32_e32 v9, vcc, v30, v10, vcc
	v_addc_co_u32_e32 v10, vcc, 0, v12, vcc
	v_add_co_u32_e32 v11, vcc, v9, v11
	v_addc_co_u32_e32 v12, vcc, 0, v10, vcc
	v_mul_lo_u32 v29, v33, v11
	v_mul_lo_u32 v30, v34, v12
	v_mad_u64_u32 v[9:10], s[0:1], v34, v11, 0
	v_add3_u32 v10, v10, v30, v29
	v_sub_u32_e32 v29, s31, v10
	v_sub_co_u32_e32 v9, vcc, s30, v9
	v_subb_co_u32_e64 v29, s[0:1], v29, v33, vcc
	v_sub_co_u32_e64 v30, s[0:1], v9, v34
	v_subbrev_co_u32_e64 v29, s[0:1], 0, v29, s[0:1]
	v_cmp_ge_u32_e64 s[0:1], v29, v33
	v_cndmask_b32_e64 v31, 0, -1, s[0:1]
	v_cmp_ge_u32_e64 s[0:1], v30, v34
	v_cndmask_b32_e64 v30, 0, -1, s[0:1]
	v_cmp_eq_u32_e64 s[0:1], v29, v33
	v_cndmask_b32_e64 v29, v31, v30, s[0:1]
	v_add_co_u32_e64 v30, s[0:1], 2, v11
	v_addc_co_u32_e64 v31, s[0:1], 0, v12, s[0:1]
	v_add_co_u32_e64 v32, s[0:1], 1, v11
	v_addc_co_u32_e64 v35, s[0:1], 0, v12, s[0:1]
	v_cmp_ne_u32_e64 s[0:1], 0, v29
	v_cndmask_b32_e64 v29, v35, v31, s[0:1]
	v_mov_b32_e32 v31, s31
	v_subb_co_u32_e32 v10, vcc, v31, v10, vcc
	v_cmp_ge_u32_e32 vcc, v10, v33
	v_cndmask_b32_e64 v31, 0, -1, vcc
	v_cmp_ge_u32_e32 vcc, v9, v34
	v_cndmask_b32_e64 v9, 0, -1, vcc
	v_cmp_eq_u32_e32 vcc, v10, v33
	v_cndmask_b32_e32 v9, v31, v9, vcc
	v_cmp_ne_u32_e32 vcc, 0, v9
	v_cndmask_b32_e64 v10, v32, v30, s[0:1]
	v_cndmask_b32_e32 v9, v12, v29, vcc
	v_cndmask_b32_e32 v10, v11, v10, vcc
	v_xor_b32_e32 v11, s20, v18
	v_xor_b32_e32 v12, v9, v11
	v_xor_b32_e32 v9, v10, v11
	v_sub_co_u32_e32 v9, vcc, v9, v11
	v_subb_co_u32_e32 v10, vcc, v12, v11, vcc
                                        ; implicit-def: $vgpr11_vgpr12
.LBB80_18:                              ;   in Loop: Header=BB80_4 Depth=1
	s_andn2_saveexec_b64 s[0:1], s[22:23]
	s_cbranch_execz .LBB80_3
; %bb.19:                               ;   in Loop: Header=BB80_4 Depth=1
	v_cvt_f32_u32_e32 v9, v11
	v_sub_u32_e32 v10, 0, v11
	v_rcp_iflag_f32_e32 v9, v9
	v_mul_f32_e32 v9, 0x4f7ffffe, v9
	v_cvt_u32_f32_e32 v9, v9
	v_mul_lo_u32 v10, v10, v9
	v_mul_hi_u32 v10, v9, v10
	v_add_u32_e32 v9, v9, v10
	v_mul_hi_u32 v9, s6, v9
	v_mul_lo_u32 v10, v9, v11
	v_add_u32_e32 v12, 1, v9
	v_sub_u32_e32 v10, s6, v10
	v_sub_u32_e32 v18, v10, v11
	v_cmp_ge_u32_e32 vcc, v10, v11
	v_cndmask_b32_e32 v10, v10, v18, vcc
	v_cndmask_b32_e32 v9, v9, v12, vcc
	v_add_u32_e32 v12, 1, v9
	v_cmp_ge_u32_e32 vcc, v10, v11
	v_cndmask_b32_e32 v9, v9, v12, vcc
	v_mov_b32_e32 v10, v17
	s_branch .LBB80_3
.LBB80_20:
	s_or_b64 exec, exec, s[16:17]
	s_mov_b64 s[14:15], 0
.LBB80_21:
	s_andn2_b64 vcc, exec, s[14:15]
	s_cbranch_vccnz .LBB80_51
; %bb.22:
	v_cmp_lt_i64_e64 s[0:1], s[8:9], 1
	s_and_b64 vcc, exec, s[0:1]
	s_cbranch_vccnz .LBB80_51
; %bb.23:
	v_mov_b32_e32 v2, 0x10000
	s_load_dword s10, s[4:5], 0xc64
	v_mov_b32_e32 v3, 0
	v_cmp_lt_i64_e32 vcc, s[8:9], v[2:3]
	v_mov_b32_e32 v1, 0
	s_and_b64 s[0:1], vcc, exec
	v_cmp_lt_u64_e32 vcc, s[8:9], v[2:3]
	s_cselect_b32 s5, s9, 0
	s_cselect_b32 s4, s8, 0x10000
	s_waitcnt lgkmcnt(0)
	s_and_b32 s18, s10, 0xffff
	s_and_b64 s[0:1], vcc, exec
	s_cselect_b32 s9, s9, 0
	s_cselect_b32 s8, s8, 0x10000
	s_lshl_b32 s19, s18, 1
	s_mul_i32 s20, s18, 3
	s_lshl_b32 s21, s18, 2
	s_mov_b64 s[10:11], 0
	v_mov_b32_e32 v35, s27
	v_mov_b32_e32 v36, s25
	s_ashr_i32 s12, s7, 31
	s_branch .LBB80_25
.LBB80_24:                              ;   in Loop: Header=BB80_25 Depth=1
	s_or_b64 exec, exec, s[0:1]
	s_add_u32 s10, s10, s21
	v_mov_b32_e32 v2, s4
	s_addc_u32 s11, s11, 0
	v_mov_b32_e32 v3, s5
	v_cmp_ge_i64_e32 vcc, s[10:11], v[2:3]
	s_cbranch_vccnz .LBB80_51
.LBB80_25:                              ; =>This Inner Loop Header: Depth=1
	v_mov_b32_e32 v2, s11
	v_add_co_u32_e32 v3, vcc, s10, v0
	v_addc_co_u32_e32 v4, vcc, 0, v2, vcc
	v_cmp_gt_i64_e32 vcc, s[4:5], v[3:4]
	v_mov_b32_e32 v25, 0
	v_mov_b32_e32 v13, 0
	;; [unrolled: 1-line block ×4, first 2 shown]
	s_and_saveexec_b64 s[0:1], vcc
	s_cbranch_execz .LBB80_27
; %bb.26:                               ;   in Loop: Header=BB80_25 Depth=1
	v_lshlrev_b64 v[5:6], 3, v[3:4]
	v_mov_b32_e32 v2, s25
	v_add_co_u32_e32 v7, vcc, s24, v5
	v_addc_co_u32_e32 v8, vcc, v2, v6, vcc
	v_mov_b32_e32 v2, s27
	v_add_co_u32_e32 v5, vcc, s26, v5
	v_addc_co_u32_e32 v6, vcc, v2, v6, vcc
	global_load_dwordx2 v[13:14], v[7:8], off
	global_load_dwordx2 v[25:26], v[5:6], off
.LBB80_27:                              ;   in Loop: Header=BB80_25 Depth=1
	s_or_b64 exec, exec, s[0:1]
	v_add_co_u32_e32 v17, vcc, s18, v3
	v_addc_co_u32_e32 v18, vcc, 0, v4, vcc
	v_lshlrev_b64 v[5:6], 3, v[17:18]
	v_add_co_u32_e32 v7, vcc, s26, v5
	v_addc_co_u32_e32 v8, vcc, v35, v6, vcc
	v_add_co_u32_e32 v9, vcc, s24, v5
	v_addc_co_u32_e32 v10, vcc, v36, v6, vcc
	;; [unrolled: 2-line block ×3, first 2 shown]
	v_lshlrev_b64 v[5:6], 3, v[15:16]
	global_load_dwordx2 v[29:30], v[7:8], off
	v_add_co_u32_e32 v27, vcc, s26, v5
	v_addc_co_u32_e32 v28, vcc, v35, v6, vcc
	v_add_co_u32_e32 v7, vcc, s24, v5
	v_addc_co_u32_e32 v8, vcc, v36, v6, vcc
	;; [unrolled: 2-line block ×3, first 2 shown]
	v_lshlrev_b64 v[5:6], 3, v[11:12]
	v_add_co_u32_e32 v37, vcc, s26, v5
	v_addc_co_u32_e32 v38, vcc, v35, v6, vcc
	v_add_co_u32_e32 v5, vcc, s24, v5
	v_addc_co_u32_e32 v6, vcc, v36, v6, vcc
	global_load_dwordx2 v[23:24], v[9:10], off
	global_load_dwordx2 v[21:22], v[7:8], off
	;; [unrolled: 1-line block ×5, first 2 shown]
                                        ; implicit-def: $vgpr27_vgpr28
	s_waitcnt vmcnt(5)
	v_or_b32_e32 v2, s7, v30
	v_cmp_ne_u64_e32 vcc, 0, v[1:2]
	s_and_saveexec_b64 s[0:1], vcc
	s_xor_b64 s[14:15], exec, s[0:1]
	s_cbranch_execz .LBB80_29
; %bb.28:                               ;   in Loop: Header=BB80_25 Depth=1
	v_ashrrev_i32_e32 v2, 31, v30
	v_add_co_u32_e32 v27, vcc, v29, v2
	v_addc_co_u32_e32 v28, vcc, v30, v2, vcc
	v_xor_b32_e32 v41, v28, v2
	v_xor_b32_e32 v42, v27, v2
	v_cvt_f32_u32_e32 v27, v42
	v_cvt_f32_u32_e32 v28, v41
	v_sub_co_u32_e32 v37, vcc, 0, v42
	v_subb_co_u32_e32 v40, vcc, 0, v41, vcc
	v_mac_f32_e32 v27, 0x4f800000, v28
	v_rcp_f32_e32 v27, v27
	s_mov_b32 s13, s12
	v_xor_b32_e32 v2, s12, v2
	v_mul_f32_e32 v27, 0x5f7ffffc, v27
	v_mul_f32_e32 v28, 0x2f800000, v27
	v_trunc_f32_e32 v28, v28
	v_mac_f32_e32 v27, 0xcf800000, v28
	v_cvt_u32_f32_e32 v38, v27
	v_cvt_u32_f32_e32 v39, v28
	v_mul_lo_u32 v29, v40, v38
	v_mul_lo_u32 v30, v37, v39
	v_mad_u64_u32 v[27:28], s[0:1], v37, v38, 0
	v_add3_u32 v30, v28, v30, v29
	v_mul_hi_u32 v43, v38, v27
	v_mad_u64_u32 v[28:29], s[0:1], v38, v30, 0
	v_add_co_u32_e32 v43, vcc, v43, v28
	v_mad_u64_u32 v[27:28], s[0:1], v39, v27, 0
	v_addc_co_u32_e32 v44, vcc, 0, v29, vcc
	v_mad_u64_u32 v[29:30], s[0:1], v39, v30, 0
	v_add_co_u32_e32 v27, vcc, v43, v27
	v_addc_co_u32_e32 v27, vcc, v44, v28, vcc
	v_addc_co_u32_e32 v28, vcc, 0, v30, vcc
	v_add_co_u32_e32 v27, vcc, v27, v29
	v_addc_co_u32_e32 v28, vcc, 0, v28, vcc
	v_add_co_u32_e32 v30, vcc, v38, v27
	v_addc_co_u32_e32 v43, vcc, v39, v28, vcc
	v_mul_lo_u32 v29, v37, v43
	v_mul_lo_u32 v38, v40, v30
	v_mad_u64_u32 v[27:28], s[0:1], v37, v30, 0
	v_add3_u32 v37, v28, v29, v38
	v_mad_u64_u32 v[28:29], s[0:1], v43, v37, 0
	v_mad_u64_u32 v[37:38], s[0:1], v30, v37, 0
	v_mul_hi_u32 v44, v30, v27
	v_mad_u64_u32 v[39:40], s[0:1], v43, v27, 0
	s_add_u32 s0, s6, s12
	v_add_co_u32_e32 v27, vcc, v44, v37
	v_addc_co_u32_e32 v37, vcc, 0, v38, vcc
	v_add_co_u32_e32 v27, vcc, v27, v39
	v_addc_co_u32_e32 v27, vcc, v37, v40, vcc
	v_addc_co_u32_e32 v29, vcc, 0, v29, vcc
	v_add_co_u32_e32 v27, vcc, v27, v28
	v_addc_co_u32_e32 v28, vcc, 0, v29, vcc
	v_add_co_u32_e32 v29, vcc, v30, v27
	s_addc_u32 s1, s7, s12
	v_addc_co_u32_e32 v30, vcc, v43, v28, vcc
	s_xor_b64 s[16:17], s[0:1], s[12:13]
	v_mad_u64_u32 v[27:28], s[0:1], s16, v30, 0
	v_mul_hi_u32 v37, s16, v29
	v_add_co_u32_e32 v37, vcc, v37, v27
	v_addc_co_u32_e32 v38, vcc, 0, v28, vcc
	v_mad_u64_u32 v[27:28], s[0:1], s17, v29, 0
	v_mad_u64_u32 v[29:30], s[0:1], s17, v30, 0
	v_add_co_u32_e32 v27, vcc, v37, v27
	v_addc_co_u32_e32 v27, vcc, v38, v28, vcc
	v_addc_co_u32_e32 v28, vcc, 0, v30, vcc
	v_add_co_u32_e32 v29, vcc, v27, v29
	v_addc_co_u32_e32 v30, vcc, 0, v28, vcc
	v_mul_lo_u32 v37, v41, v29
	v_mul_lo_u32 v38, v42, v30
	v_mad_u64_u32 v[27:28], s[0:1], v42, v29, 0
	v_add3_u32 v28, v28, v38, v37
	v_sub_u32_e32 v37, s17, v28
	v_sub_co_u32_e32 v27, vcc, s16, v27
	v_subb_co_u32_e64 v37, s[0:1], v37, v41, vcc
	v_sub_co_u32_e64 v38, s[0:1], v27, v42
	v_subbrev_co_u32_e64 v37, s[0:1], 0, v37, s[0:1]
	v_cmp_ge_u32_e64 s[0:1], v37, v41
	v_cndmask_b32_e64 v39, 0, -1, s[0:1]
	v_cmp_ge_u32_e64 s[0:1], v38, v42
	v_cndmask_b32_e64 v38, 0, -1, s[0:1]
	v_cmp_eq_u32_e64 s[0:1], v37, v41
	v_cndmask_b32_e64 v37, v39, v38, s[0:1]
	v_add_co_u32_e64 v38, s[0:1], 2, v29
	v_addc_co_u32_e64 v39, s[0:1], 0, v30, s[0:1]
	v_add_co_u32_e64 v40, s[0:1], 1, v29
	v_addc_co_u32_e64 v43, s[0:1], 0, v30, s[0:1]
	v_cmp_ne_u32_e64 s[0:1], 0, v37
	v_cndmask_b32_e64 v37, v43, v39, s[0:1]
	v_mov_b32_e32 v39, s17
	v_subb_co_u32_e32 v28, vcc, v39, v28, vcc
	v_cmp_ge_u32_e32 vcc, v28, v41
	v_cndmask_b32_e64 v39, 0, -1, vcc
	v_cmp_ge_u32_e32 vcc, v27, v42
	v_cndmask_b32_e64 v27, 0, -1, vcc
	v_cmp_eq_u32_e32 vcc, v28, v41
	v_cndmask_b32_e32 v27, v39, v27, vcc
	v_cmp_ne_u32_e32 vcc, 0, v27
	v_cndmask_b32_e64 v28, v40, v38, s[0:1]
	v_cndmask_b32_e32 v27, v30, v37, vcc
	v_cndmask_b32_e32 v28, v29, v28, vcc
	v_xor_b32_e32 v29, v27, v2
	v_xor_b32_e32 v27, v28, v2
	v_sub_co_u32_e32 v27, vcc, v27, v2
	v_subb_co_u32_e32 v28, vcc, v29, v2, vcc
                                        ; implicit-def: $vgpr29_vgpr30
.LBB80_29:                              ;   in Loop: Header=BB80_25 Depth=1
	s_andn2_saveexec_b64 s[0:1], s[14:15]
	s_cbranch_execz .LBB80_31
; %bb.30:                               ;   in Loop: Header=BB80_25 Depth=1
	v_cvt_f32_u32_e32 v2, v29
	v_sub_u32_e32 v27, 0, v29
	v_rcp_iflag_f32_e32 v2, v2
	v_mul_f32_e32 v2, 0x4f7ffffe, v2
	v_cvt_u32_f32_e32 v2, v2
	v_mul_lo_u32 v27, v27, v2
	v_mul_hi_u32 v27, v2, v27
	v_add_u32_e32 v2, v2, v27
	v_mul_hi_u32 v2, s6, v2
	v_mul_lo_u32 v27, v2, v29
	v_add_u32_e32 v28, 1, v2
	v_sub_u32_e32 v27, s6, v27
	v_sub_u32_e32 v30, v27, v29
	v_cmp_ge_u32_e32 vcc, v27, v29
	v_cndmask_b32_e32 v27, v27, v30, vcc
	v_cndmask_b32_e32 v2, v2, v28, vcc
	v_add_u32_e32 v28, 1, v2
	v_cmp_ge_u32_e32 vcc, v27, v29
	v_cndmask_b32_e32 v27, v2, v28, vcc
	v_mov_b32_e32 v28, v1
.LBB80_31:                              ;   in Loop: Header=BB80_25 Depth=1
	s_or_b64 exec, exec, s[0:1]
	s_waitcnt vmcnt(1)
	v_or_b32_e32 v2, s7, v34
	v_cmp_ne_u64_e32 vcc, 0, v[1:2]
                                        ; implicit-def: $vgpr29_vgpr30
	s_and_saveexec_b64 s[0:1], vcc
	s_xor_b64 s[14:15], exec, s[0:1]
	s_cbranch_execz .LBB80_33
; %bb.32:                               ;   in Loop: Header=BB80_25 Depth=1
	v_ashrrev_i32_e32 v2, 31, v34
	v_add_co_u32_e32 v29, vcc, v33, v2
	v_addc_co_u32_e32 v30, vcc, v34, v2, vcc
	v_xor_b32_e32 v39, v30, v2
	v_xor_b32_e32 v40, v29, v2
	v_cvt_f32_u32_e32 v29, v40
	v_cvt_f32_u32_e32 v30, v39
	v_sub_co_u32_e32 v38, vcc, 0, v40
	v_subb_co_u32_e32 v41, vcc, 0, v39, vcc
	v_mac_f32_e32 v29, 0x4f800000, v30
	v_rcp_f32_e32 v29, v29
	s_mov_b32 s13, s12
	v_xor_b32_e32 v2, s12, v2
	v_mul_f32_e32 v29, 0x5f7ffffc, v29
	v_mul_f32_e32 v30, 0x2f800000, v29
	v_trunc_f32_e32 v30, v30
	v_mac_f32_e32 v29, 0xcf800000, v30
	v_cvt_u32_f32_e32 v37, v29
	v_cvt_u32_f32_e32 v42, v30
	v_mul_lo_u32 v33, v41, v37
	v_mad_u64_u32 v[29:30], s[0:1], v38, v37, 0
	v_mul_lo_u32 v34, v38, v42
	v_add3_u32 v43, v30, v34, v33
	v_mad_u64_u32 v[33:34], s[0:1], v37, v43, 0
	v_mul_hi_u32 v30, v37, v29
	v_add_co_u32_e32 v44, vcc, v30, v33
	v_mad_u64_u32 v[29:30], s[0:1], v42, v29, 0
	v_addc_co_u32_e32 v45, vcc, 0, v34, vcc
	v_mad_u64_u32 v[33:34], s[0:1], v42, v43, 0
	v_add_co_u32_e32 v29, vcc, v44, v29
	v_addc_co_u32_e32 v29, vcc, v45, v30, vcc
	v_addc_co_u32_e32 v30, vcc, 0, v34, vcc
	v_add_co_u32_e32 v29, vcc, v29, v33
	v_addc_co_u32_e32 v30, vcc, 0, v30, vcc
	v_add_co_u32_e32 v43, vcc, v37, v29
	v_addc_co_u32_e32 v42, vcc, v42, v30, vcc
	v_mul_lo_u32 v33, v38, v42
	v_mul_lo_u32 v34, v41, v43
	v_mad_u64_u32 v[29:30], s[0:1], v38, v43, 0
	v_add3_u32 v30, v30, v33, v34
	v_mad_u64_u32 v[37:38], s[0:1], v43, v30, 0
	v_mul_hi_u32 v41, v43, v29
	v_mad_u64_u32 v[33:34], s[0:1], v42, v30, 0
	v_mad_u64_u32 v[29:30], s[0:1], v42, v29, 0
	v_add_co_u32_e32 v37, vcc, v41, v37
	v_addc_co_u32_e32 v38, vcc, 0, v38, vcc
	v_add_co_u32_e32 v29, vcc, v37, v29
	v_addc_co_u32_e32 v29, vcc, v38, v30, vcc
	v_addc_co_u32_e32 v30, vcc, 0, v34, vcc
	v_add_co_u32_e32 v29, vcc, v29, v33
	v_addc_co_u32_e32 v30, vcc, 0, v30, vcc
	s_add_u32 s0, s6, s12
	v_add_co_u32_e32 v33, vcc, v43, v29
	s_addc_u32 s1, s7, s12
	v_addc_co_u32_e32 v34, vcc, v42, v30, vcc
	s_xor_b64 s[16:17], s[0:1], s[12:13]
	v_mad_u64_u32 v[29:30], s[0:1], s16, v34, 0
	v_mul_hi_u32 v37, s16, v33
	v_add_co_u32_e32 v37, vcc, v37, v29
	v_addc_co_u32_e32 v38, vcc, 0, v30, vcc
	v_mad_u64_u32 v[29:30], s[0:1], s17, v33, 0
	v_mad_u64_u32 v[33:34], s[0:1], s17, v34, 0
	v_add_co_u32_e32 v29, vcc, v37, v29
	v_addc_co_u32_e32 v29, vcc, v38, v30, vcc
	v_addc_co_u32_e32 v30, vcc, 0, v34, vcc
	v_add_co_u32_e32 v33, vcc, v29, v33
	v_addc_co_u32_e32 v34, vcc, 0, v30, vcc
	v_mul_lo_u32 v37, v39, v33
	v_mul_lo_u32 v38, v40, v34
	v_mad_u64_u32 v[29:30], s[0:1], v40, v33, 0
	v_add3_u32 v30, v30, v38, v37
	v_sub_u32_e32 v37, s17, v30
	v_sub_co_u32_e32 v29, vcc, s16, v29
	v_subb_co_u32_e64 v37, s[0:1], v37, v39, vcc
	v_sub_co_u32_e64 v38, s[0:1], v29, v40
	v_subbrev_co_u32_e64 v37, s[0:1], 0, v37, s[0:1]
	v_cmp_ge_u32_e64 s[0:1], v37, v39
	v_cndmask_b32_e64 v41, 0, -1, s[0:1]
	v_cmp_ge_u32_e64 s[0:1], v38, v40
	v_cndmask_b32_e64 v38, 0, -1, s[0:1]
	v_cmp_eq_u32_e64 s[0:1], v37, v39
	v_cndmask_b32_e64 v37, v41, v38, s[0:1]
	v_add_co_u32_e64 v38, s[0:1], 2, v33
	v_addc_co_u32_e64 v41, s[0:1], 0, v34, s[0:1]
	v_add_co_u32_e64 v42, s[0:1], 1, v33
	v_addc_co_u32_e64 v43, s[0:1], 0, v34, s[0:1]
	v_cmp_ne_u32_e64 s[0:1], 0, v37
	v_cndmask_b32_e64 v37, v43, v41, s[0:1]
	v_mov_b32_e32 v41, s17
	v_subb_co_u32_e32 v30, vcc, v41, v30, vcc
	v_cmp_ge_u32_e32 vcc, v30, v39
	v_cndmask_b32_e64 v41, 0, -1, vcc
	v_cmp_ge_u32_e32 vcc, v29, v40
	v_cndmask_b32_e64 v29, 0, -1, vcc
	v_cmp_eq_u32_e32 vcc, v30, v39
	v_cndmask_b32_e32 v29, v41, v29, vcc
	v_cmp_ne_u32_e32 vcc, 0, v29
	v_cndmask_b32_e64 v30, v42, v38, s[0:1]
	v_cndmask_b32_e32 v29, v34, v37, vcc
	v_cndmask_b32_e32 v30, v33, v30, vcc
	v_xor_b32_e32 v33, v29, v2
	v_xor_b32_e32 v29, v30, v2
	v_sub_co_u32_e32 v29, vcc, v29, v2
	v_subb_co_u32_e32 v30, vcc, v33, v2, vcc
                                        ; implicit-def: $vgpr33_vgpr34
.LBB80_33:                              ;   in Loop: Header=BB80_25 Depth=1
	s_andn2_saveexec_b64 s[0:1], s[14:15]
	s_cbranch_execz .LBB80_35
; %bb.34:                               ;   in Loop: Header=BB80_25 Depth=1
	v_cvt_f32_u32_e32 v2, v33
	v_sub_u32_e32 v29, 0, v33
	v_rcp_iflag_f32_e32 v2, v2
	v_mul_f32_e32 v2, 0x4f7ffffe, v2
	v_cvt_u32_f32_e32 v2, v2
	v_mul_lo_u32 v29, v29, v2
	v_mul_hi_u32 v29, v2, v29
	v_add_u32_e32 v2, v2, v29
	v_mul_hi_u32 v2, s6, v2
	v_mul_lo_u32 v29, v2, v33
	v_add_u32_e32 v30, 1, v2
	v_sub_u32_e32 v29, s6, v29
	v_sub_u32_e32 v34, v29, v33
	v_cmp_ge_u32_e32 vcc, v29, v33
	v_cndmask_b32_e32 v29, v29, v34, vcc
	v_cndmask_b32_e32 v2, v2, v30, vcc
	v_add_u32_e32 v30, 1, v2
	v_cmp_ge_u32_e32 vcc, v29, v33
	v_cndmask_b32_e32 v29, v2, v30, vcc
	v_mov_b32_e32 v30, v1
.LBB80_35:                              ;   in Loop: Header=BB80_25 Depth=1
	s_or_b64 exec, exec, s[0:1]
	s_waitcnt vmcnt(0)
	v_or_b32_e32 v2, s7, v32
	v_cmp_ne_u64_e32 vcc, 0, v[1:2]
                                        ; implicit-def: $vgpr33_vgpr34
	s_and_saveexec_b64 s[0:1], vcc
	s_xor_b64 s[14:15], exec, s[0:1]
	s_cbranch_execnz .LBB80_41
; %bb.36:                               ;   in Loop: Header=BB80_25 Depth=1
	s_andn2_saveexec_b64 s[0:1], s[14:15]
	s_cbranch_execnz .LBB80_42
.LBB80_37:                              ;   in Loop: Header=BB80_25 Depth=1
	s_or_b64 exec, exec, s[0:1]
	v_cmp_gt_u64_e32 vcc, s[8:9], v[3:4]
	s_and_saveexec_b64 s[14:15], vcc
	s_cbranch_execnz .LBB80_43
.LBB80_38:                              ;   in Loop: Header=BB80_25 Depth=1
	s_or_b64 exec, exec, s[14:15]
	v_cmp_gt_u64_e32 vcc, s[8:9], v[17:18]
	s_and_saveexec_b64 s[0:1], vcc
	s_cbranch_execnz .LBB80_48
.LBB80_39:                              ;   in Loop: Header=BB80_25 Depth=1
	s_or_b64 exec, exec, s[0:1]
	v_cmp_gt_u64_e32 vcc, s[8:9], v[15:16]
	s_and_saveexec_b64 s[0:1], vcc
	s_cbranch_execnz .LBB80_49
.LBB80_40:                              ;   in Loop: Header=BB80_25 Depth=1
	s_or_b64 exec, exec, s[0:1]
	v_cmp_gt_u64_e32 vcc, s[8:9], v[11:12]
	s_and_saveexec_b64 s[0:1], vcc
	s_cbranch_execz .LBB80_24
	s_branch .LBB80_50
.LBB80_41:                              ;   in Loop: Header=BB80_25 Depth=1
	v_ashrrev_i32_e32 v2, 31, v32
	v_add_co_u32_e32 v31, vcc, v31, v2
	v_addc_co_u32_e32 v32, vcc, v32, v2, vcc
	v_xor_b32_e32 v41, v32, v2
	v_xor_b32_e32 v42, v31, v2
	v_cvt_f32_u32_e32 v31, v42
	v_cvt_f32_u32_e32 v32, v41
	v_sub_co_u32_e32 v38, vcc, 0, v42
	v_subb_co_u32_e32 v39, vcc, 0, v41, vcc
	v_mac_f32_e32 v31, 0x4f800000, v32
	v_rcp_f32_e32 v31, v31
	s_mov_b32 s13, s12
	v_xor_b32_e32 v2, s12, v2
	v_mul_f32_e32 v31, 0x5f7ffffc, v31
	v_mul_f32_e32 v32, 0x2f800000, v31
	v_trunc_f32_e32 v32, v32
	v_mac_f32_e32 v31, 0xcf800000, v32
	v_cvt_u32_f32_e32 v37, v31
	v_cvt_u32_f32_e32 v40, v32
	v_mul_lo_u32 v33, v39, v37
	v_mad_u64_u32 v[31:32], s[0:1], v38, v37, 0
	v_mul_lo_u32 v34, v38, v40
	v_mul_hi_u32 v43, v37, v31
	v_add3_u32 v34, v32, v34, v33
	v_mad_u64_u32 v[32:33], s[0:1], v37, v34, 0
	v_add_co_u32_e32 v43, vcc, v43, v32
	v_mad_u64_u32 v[31:32], s[0:1], v40, v31, 0
	v_addc_co_u32_e32 v44, vcc, 0, v33, vcc
	v_mad_u64_u32 v[33:34], s[0:1], v40, v34, 0
	v_add_co_u32_e32 v31, vcc, v43, v31
	v_addc_co_u32_e32 v31, vcc, v44, v32, vcc
	v_addc_co_u32_e32 v32, vcc, 0, v34, vcc
	v_add_co_u32_e32 v31, vcc, v31, v33
	v_addc_co_u32_e32 v32, vcc, 0, v32, vcc
	v_add_co_u32_e32 v34, vcc, v37, v31
	v_addc_co_u32_e32 v43, vcc, v40, v32, vcc
	v_mul_lo_u32 v33, v38, v43
	v_mul_lo_u32 v37, v39, v34
	v_mad_u64_u32 v[31:32], s[0:1], v38, v34, 0
	v_add3_u32 v37, v32, v33, v37
	v_mad_u64_u32 v[32:33], s[0:1], v43, v37, 0
	v_mad_u64_u32 v[37:38], s[0:1], v34, v37, 0
	v_mul_hi_u32 v44, v34, v31
	v_mad_u64_u32 v[39:40], s[0:1], v43, v31, 0
	s_add_u32 s0, s6, s12
	v_add_co_u32_e32 v31, vcc, v44, v37
	v_addc_co_u32_e32 v37, vcc, 0, v38, vcc
	v_add_co_u32_e32 v31, vcc, v31, v39
	v_addc_co_u32_e32 v31, vcc, v37, v40, vcc
	v_addc_co_u32_e32 v33, vcc, 0, v33, vcc
	v_add_co_u32_e32 v31, vcc, v31, v32
	v_addc_co_u32_e32 v32, vcc, 0, v33, vcc
	v_add_co_u32_e32 v33, vcc, v34, v31
	s_addc_u32 s1, s7, s12
	v_addc_co_u32_e32 v34, vcc, v43, v32, vcc
	s_xor_b64 s[16:17], s[0:1], s[12:13]
	v_mad_u64_u32 v[31:32], s[0:1], s16, v34, 0
	v_mul_hi_u32 v37, s16, v33
	v_add_co_u32_e32 v37, vcc, v37, v31
	v_addc_co_u32_e32 v38, vcc, 0, v32, vcc
	v_mad_u64_u32 v[31:32], s[0:1], s17, v33, 0
	v_mad_u64_u32 v[33:34], s[0:1], s17, v34, 0
	v_add_co_u32_e32 v31, vcc, v37, v31
	v_addc_co_u32_e32 v31, vcc, v38, v32, vcc
	v_addc_co_u32_e32 v32, vcc, 0, v34, vcc
	v_add_co_u32_e32 v33, vcc, v31, v33
	v_addc_co_u32_e32 v34, vcc, 0, v32, vcc
	v_mul_lo_u32 v37, v41, v33
	v_mul_lo_u32 v38, v42, v34
	v_mad_u64_u32 v[31:32], s[0:1], v42, v33, 0
	v_add3_u32 v32, v32, v38, v37
	v_sub_u32_e32 v37, s17, v32
	v_sub_co_u32_e32 v31, vcc, s16, v31
	v_subb_co_u32_e64 v37, s[0:1], v37, v41, vcc
	v_sub_co_u32_e64 v38, s[0:1], v31, v42
	v_subbrev_co_u32_e64 v37, s[0:1], 0, v37, s[0:1]
	v_cmp_ge_u32_e64 s[0:1], v37, v41
	v_cndmask_b32_e64 v39, 0, -1, s[0:1]
	v_cmp_ge_u32_e64 s[0:1], v38, v42
	v_cndmask_b32_e64 v38, 0, -1, s[0:1]
	v_cmp_eq_u32_e64 s[0:1], v37, v41
	v_cndmask_b32_e64 v37, v39, v38, s[0:1]
	v_add_co_u32_e64 v38, s[0:1], 2, v33
	v_addc_co_u32_e64 v39, s[0:1], 0, v34, s[0:1]
	v_add_co_u32_e64 v40, s[0:1], 1, v33
	v_addc_co_u32_e64 v43, s[0:1], 0, v34, s[0:1]
	v_cmp_ne_u32_e64 s[0:1], 0, v37
	v_cndmask_b32_e64 v37, v43, v39, s[0:1]
	v_mov_b32_e32 v39, s17
	v_subb_co_u32_e32 v32, vcc, v39, v32, vcc
	v_cmp_ge_u32_e32 vcc, v32, v41
	v_cndmask_b32_e64 v39, 0, -1, vcc
	v_cmp_ge_u32_e32 vcc, v31, v42
	v_cndmask_b32_e64 v31, 0, -1, vcc
	v_cmp_eq_u32_e32 vcc, v32, v41
	v_cndmask_b32_e32 v31, v39, v31, vcc
	v_cmp_ne_u32_e32 vcc, 0, v31
	v_cndmask_b32_e64 v32, v40, v38, s[0:1]
	v_cndmask_b32_e32 v32, v33, v32, vcc
	v_cndmask_b32_e32 v31, v34, v37, vcc
	v_xor_b32_e32 v32, v32, v2
	v_xor_b32_e32 v31, v31, v2
	v_sub_co_u32_e32 v33, vcc, v32, v2
	v_subb_co_u32_e32 v34, vcc, v31, v2, vcc
                                        ; implicit-def: $vgpr31_vgpr32
	s_andn2_saveexec_b64 s[0:1], s[14:15]
	s_cbranch_execz .LBB80_37
.LBB80_42:                              ;   in Loop: Header=BB80_25 Depth=1
	v_cvt_f32_u32_e32 v2, v31
	v_sub_u32_e32 v32, 0, v31
	v_rcp_iflag_f32_e32 v2, v2
	v_mul_f32_e32 v2, 0x4f7ffffe, v2
	v_cvt_u32_f32_e32 v2, v2
	v_mul_lo_u32 v32, v32, v2
	v_mul_hi_u32 v32, v2, v32
	v_add_u32_e32 v2, v2, v32
	v_mul_hi_u32 v2, s6, v2
	v_mul_lo_u32 v32, v2, v31
	v_add_u32_e32 v33, 1, v2
	v_sub_u32_e32 v32, s6, v32
	v_sub_u32_e32 v34, v32, v31
	v_cmp_ge_u32_e32 vcc, v32, v31
	v_cndmask_b32_e32 v32, v32, v34, vcc
	v_cndmask_b32_e32 v2, v2, v33, vcc
	v_add_u32_e32 v33, 1, v2
	v_cmp_ge_u32_e32 vcc, v32, v31
	v_cndmask_b32_e32 v33, v2, v33, vcc
	v_mov_b32_e32 v34, v1
	s_or_b64 exec, exec, s[0:1]
	v_cmp_gt_u64_e32 vcc, s[8:9], v[3:4]
	s_and_saveexec_b64 s[14:15], vcc
	s_cbranch_execz .LBB80_38
.LBB80_43:                              ;   in Loop: Header=BB80_25 Depth=1
	v_or_b32_e32 v2, s7, v26
	v_cmp_ne_u64_e32 vcc, 0, v[1:2]
                                        ; implicit-def: $vgpr31_vgpr32
	s_and_saveexec_b64 s[0:1], vcc
	s_xor_b64 s[16:17], exec, s[0:1]
	s_cbranch_execz .LBB80_45
; %bb.44:                               ;   in Loop: Header=BB80_25 Depth=1
	v_ashrrev_i32_e32 v2, 31, v26
	v_add_co_u32_e32 v25, vcc, v25, v2
	v_addc_co_u32_e32 v26, vcc, v26, v2, vcc
	v_xor_b32_e32 v39, v26, v2
	v_xor_b32_e32 v40, v25, v2
	v_cvt_f32_u32_e32 v25, v40
	v_cvt_f32_u32_e32 v26, v39
	v_sub_co_u32_e32 v38, vcc, 0, v40
	v_subb_co_u32_e32 v41, vcc, 0, v39, vcc
	v_mac_f32_e32 v25, 0x4f800000, v26
	v_rcp_f32_e32 v25, v25
	s_mov_b32 s13, s12
	v_xor_b32_e32 v2, s12, v2
	v_mul_f32_e32 v25, 0x5f7ffffc, v25
	v_mul_f32_e32 v26, 0x2f800000, v25
	v_trunc_f32_e32 v26, v26
	v_mac_f32_e32 v25, 0xcf800000, v26
	v_cvt_u32_f32_e32 v37, v25
	v_cvt_u32_f32_e32 v42, v26
	v_mul_lo_u32 v31, v41, v37
	v_mad_u64_u32 v[25:26], s[0:1], v38, v37, 0
	v_mul_lo_u32 v32, v38, v42
	v_add3_u32 v43, v26, v32, v31
	v_mad_u64_u32 v[31:32], s[0:1], v37, v43, 0
	v_mul_hi_u32 v26, v37, v25
	v_add_co_u32_e32 v44, vcc, v26, v31
	v_mad_u64_u32 v[25:26], s[0:1], v42, v25, 0
	v_addc_co_u32_e32 v45, vcc, 0, v32, vcc
	v_mad_u64_u32 v[31:32], s[0:1], v42, v43, 0
	v_add_co_u32_e32 v25, vcc, v44, v25
	v_addc_co_u32_e32 v25, vcc, v45, v26, vcc
	v_addc_co_u32_e32 v26, vcc, 0, v32, vcc
	v_add_co_u32_e32 v25, vcc, v25, v31
	v_addc_co_u32_e32 v26, vcc, 0, v26, vcc
	v_add_co_u32_e32 v43, vcc, v37, v25
	v_addc_co_u32_e32 v42, vcc, v42, v26, vcc
	v_mul_lo_u32 v31, v38, v42
	v_mul_lo_u32 v32, v41, v43
	v_mad_u64_u32 v[25:26], s[0:1], v38, v43, 0
	v_add3_u32 v26, v26, v31, v32
	v_mad_u64_u32 v[37:38], s[0:1], v43, v26, 0
	v_mul_hi_u32 v41, v43, v25
	v_mad_u64_u32 v[31:32], s[0:1], v42, v26, 0
	v_mad_u64_u32 v[25:26], s[0:1], v42, v25, 0
	v_add_co_u32_e32 v37, vcc, v41, v37
	v_addc_co_u32_e32 v38, vcc, 0, v38, vcc
	v_add_co_u32_e32 v25, vcc, v37, v25
	v_addc_co_u32_e32 v25, vcc, v38, v26, vcc
	v_addc_co_u32_e32 v26, vcc, 0, v32, vcc
	v_add_co_u32_e32 v25, vcc, v25, v31
	v_addc_co_u32_e32 v26, vcc, 0, v26, vcc
	s_add_u32 s0, s6, s12
	v_add_co_u32_e32 v31, vcc, v43, v25
	s_addc_u32 s1, s7, s12
	v_addc_co_u32_e32 v32, vcc, v42, v26, vcc
	s_xor_b64 s[22:23], s[0:1], s[12:13]
	v_mad_u64_u32 v[25:26], s[0:1], s22, v32, 0
	v_mul_hi_u32 v37, s22, v31
	v_add_co_u32_e32 v37, vcc, v37, v25
	v_addc_co_u32_e32 v38, vcc, 0, v26, vcc
	v_mad_u64_u32 v[25:26], s[0:1], s23, v31, 0
	v_mad_u64_u32 v[31:32], s[0:1], s23, v32, 0
	v_add_co_u32_e32 v25, vcc, v37, v25
	v_addc_co_u32_e32 v25, vcc, v38, v26, vcc
	v_addc_co_u32_e32 v26, vcc, 0, v32, vcc
	v_add_co_u32_e32 v31, vcc, v25, v31
	v_addc_co_u32_e32 v32, vcc, 0, v26, vcc
	v_mul_lo_u32 v37, v39, v31
	v_mul_lo_u32 v38, v40, v32
	v_mad_u64_u32 v[25:26], s[0:1], v40, v31, 0
	v_add3_u32 v26, v26, v38, v37
	v_sub_u32_e32 v37, s23, v26
	v_sub_co_u32_e32 v25, vcc, s22, v25
	v_subb_co_u32_e64 v37, s[0:1], v37, v39, vcc
	v_sub_co_u32_e64 v38, s[0:1], v25, v40
	v_subbrev_co_u32_e64 v37, s[0:1], 0, v37, s[0:1]
	v_cmp_ge_u32_e64 s[0:1], v37, v39
	v_cndmask_b32_e64 v41, 0, -1, s[0:1]
	v_cmp_ge_u32_e64 s[0:1], v38, v40
	v_cndmask_b32_e64 v38, 0, -1, s[0:1]
	v_cmp_eq_u32_e64 s[0:1], v37, v39
	v_cndmask_b32_e64 v37, v41, v38, s[0:1]
	v_add_co_u32_e64 v38, s[0:1], 2, v31
	v_addc_co_u32_e64 v41, s[0:1], 0, v32, s[0:1]
	v_add_co_u32_e64 v42, s[0:1], 1, v31
	v_addc_co_u32_e64 v43, s[0:1], 0, v32, s[0:1]
	v_cmp_ne_u32_e64 s[0:1], 0, v37
	v_cndmask_b32_e64 v37, v43, v41, s[0:1]
	v_mov_b32_e32 v41, s23
	v_subb_co_u32_e32 v26, vcc, v41, v26, vcc
	v_cmp_ge_u32_e32 vcc, v26, v39
	v_cndmask_b32_e64 v41, 0, -1, vcc
	v_cmp_ge_u32_e32 vcc, v25, v40
	v_cndmask_b32_e64 v25, 0, -1, vcc
	v_cmp_eq_u32_e32 vcc, v26, v39
	v_cndmask_b32_e32 v25, v41, v25, vcc
	v_cmp_ne_u32_e32 vcc, 0, v25
	v_cndmask_b32_e64 v26, v42, v38, s[0:1]
	v_cndmask_b32_e32 v26, v31, v26, vcc
	v_cndmask_b32_e32 v25, v32, v37, vcc
	v_xor_b32_e32 v26, v26, v2
	v_xor_b32_e32 v25, v25, v2
	v_sub_co_u32_e32 v31, vcc, v26, v2
	v_subb_co_u32_e32 v32, vcc, v25, v2, vcc
                                        ; implicit-def: $vgpr25_vgpr26
.LBB80_45:                              ;   in Loop: Header=BB80_25 Depth=1
	s_andn2_saveexec_b64 s[0:1], s[16:17]
	s_cbranch_execz .LBB80_47
; %bb.46:                               ;   in Loop: Header=BB80_25 Depth=1
	v_cvt_f32_u32_e32 v2, v25
	v_sub_u32_e32 v26, 0, v25
	v_rcp_iflag_f32_e32 v2, v2
	v_mul_f32_e32 v2, 0x4f7ffffe, v2
	v_cvt_u32_f32_e32 v2, v2
	v_mul_lo_u32 v26, v26, v2
	v_mul_hi_u32 v26, v2, v26
	v_add_u32_e32 v2, v2, v26
	v_mul_hi_u32 v2, s6, v2
	v_mul_lo_u32 v26, v2, v25
	v_add_u32_e32 v31, 1, v2
	v_sub_u32_e32 v26, s6, v26
	v_sub_u32_e32 v32, v26, v25
	v_cmp_ge_u32_e32 vcc, v26, v25
	v_cndmask_b32_e32 v26, v26, v32, vcc
	v_cndmask_b32_e32 v2, v2, v31, vcc
	v_add_u32_e32 v31, 1, v2
	v_cmp_ge_u32_e32 vcc, v26, v25
	v_cndmask_b32_e32 v31, v2, v31, vcc
	v_mov_b32_e32 v32, v1
.LBB80_47:                              ;   in Loop: Header=BB80_25 Depth=1
	s_or_b64 exec, exec, s[0:1]
	v_mad_u64_u32 v[13:14], s[0:1], v31, s2, v[13:14]
	v_mul_lo_u32 v25, v31, s3
	v_mul_lo_u32 v26, v32, s2
	v_lshlrev_b64 v[2:3], 3, v[3:4]
	v_mov_b32_e32 v4, s25
	v_add_co_u32_e32 v2, vcc, s24, v2
	v_addc_co_u32_e32 v3, vcc, v4, v3, vcc
	v_add3_u32 v14, v26, v14, v25
	global_store_dwordx2 v[2:3], v[13:14], off
	s_or_b64 exec, exec, s[14:15]
	v_cmp_gt_u64_e32 vcc, s[8:9], v[17:18]
	s_and_saveexec_b64 s[0:1], vcc
	s_cbranch_execz .LBB80_39
.LBB80_48:                              ;   in Loop: Header=BB80_25 Depth=1
	v_mad_u64_u32 v[2:3], s[14:15], v27, s2, v[23:24]
	v_mul_lo_u32 v4, v27, s3
	v_mul_lo_u32 v13, v28, s2
	v_add3_u32 v3, v13, v3, v4
	global_store_dwordx2 v[9:10], v[2:3], off
	s_or_b64 exec, exec, s[0:1]
	v_cmp_gt_u64_e32 vcc, s[8:9], v[15:16]
	s_and_saveexec_b64 s[0:1], vcc
	s_cbranch_execz .LBB80_40
.LBB80_49:                              ;   in Loop: Header=BB80_25 Depth=1
	v_mad_u64_u32 v[2:3], s[14:15], v29, s2, v[21:22]
	v_mul_lo_u32 v4, v29, s3
	v_mul_lo_u32 v9, v30, s2
	v_add3_u32 v3, v9, v3, v4
	global_store_dwordx2 v[7:8], v[2:3], off
	s_or_b64 exec, exec, s[0:1]
	v_cmp_gt_u64_e32 vcc, s[8:9], v[11:12]
	s_and_saveexec_b64 s[0:1], vcc
	s_cbranch_execz .LBB80_24
.LBB80_50:                              ;   in Loop: Header=BB80_25 Depth=1
	v_mad_u64_u32 v[2:3], s[14:15], v33, s2, v[19:20]
	v_mul_lo_u32 v4, v33, s3
	v_mul_lo_u32 v7, v34, s2
	v_add3_u32 v3, v7, v3, v4
	global_store_dwordx2 v[5:6], v[2:3], off
	s_branch .LBB80_24
.LBB80_51:
	s_endpgm
	.section	.rodata,"a",@progbits
	.p2align	6, 0x0
	.amdhsa_kernel _ZN2at6native12_GLOBAL__N_125multi_tensor_apply_kernelINS1_18TensorListMetadataILi3EEENS1_32PointwiseOpScalar0dTensorFunctorIlLi3ELi2ELi0EEEJSt7dividesIlElEEEvT_T0_DpT1_
		.amdhsa_group_segment_fixed_size 0
		.amdhsa_private_segment_fixed_size 0
		.amdhsa_kernarg_size 3416
		.amdhsa_user_sgpr_count 6
		.amdhsa_user_sgpr_private_segment_buffer 1
		.amdhsa_user_sgpr_dispatch_ptr 0
		.amdhsa_user_sgpr_queue_ptr 0
		.amdhsa_user_sgpr_kernarg_segment_ptr 1
		.amdhsa_user_sgpr_dispatch_id 0
		.amdhsa_user_sgpr_flat_scratch_init 0
		.amdhsa_user_sgpr_private_segment_size 0
		.amdhsa_uses_dynamic_stack 0
		.amdhsa_system_sgpr_private_segment_wavefront_offset 0
		.amdhsa_system_sgpr_workgroup_id_x 1
		.amdhsa_system_sgpr_workgroup_id_y 0
		.amdhsa_system_sgpr_workgroup_id_z 0
		.amdhsa_system_sgpr_workgroup_info 0
		.amdhsa_system_vgpr_workitem_id 0
		.amdhsa_next_free_vgpr 46
		.amdhsa_next_free_sgpr 32
		.amdhsa_reserve_vcc 1
		.amdhsa_reserve_flat_scratch 0
		.amdhsa_float_round_mode_32 0
		.amdhsa_float_round_mode_16_64 0
		.amdhsa_float_denorm_mode_32 3
		.amdhsa_float_denorm_mode_16_64 3
		.amdhsa_dx10_clamp 1
		.amdhsa_ieee_mode 1
		.amdhsa_fp16_overflow 0
		.amdhsa_exception_fp_ieee_invalid_op 0
		.amdhsa_exception_fp_denorm_src 0
		.amdhsa_exception_fp_ieee_div_zero 0
		.amdhsa_exception_fp_ieee_overflow 0
		.amdhsa_exception_fp_ieee_underflow 0
		.amdhsa_exception_fp_ieee_inexact 0
		.amdhsa_exception_int_div_zero 0
	.end_amdhsa_kernel
	.section	.text._ZN2at6native12_GLOBAL__N_125multi_tensor_apply_kernelINS1_18TensorListMetadataILi3EEENS1_32PointwiseOpScalar0dTensorFunctorIlLi3ELi2ELi0EEEJSt7dividesIlElEEEvT_T0_DpT1_,"axG",@progbits,_ZN2at6native12_GLOBAL__N_125multi_tensor_apply_kernelINS1_18TensorListMetadataILi3EEENS1_32PointwiseOpScalar0dTensorFunctorIlLi3ELi2ELi0EEEJSt7dividesIlElEEEvT_T0_DpT1_,comdat
.Lfunc_end80:
	.size	_ZN2at6native12_GLOBAL__N_125multi_tensor_apply_kernelINS1_18TensorListMetadataILi3EEENS1_32PointwiseOpScalar0dTensorFunctorIlLi3ELi2ELi0EEEJSt7dividesIlElEEEvT_T0_DpT1_, .Lfunc_end80-_ZN2at6native12_GLOBAL__N_125multi_tensor_apply_kernelINS1_18TensorListMetadataILi3EEENS1_32PointwiseOpScalar0dTensorFunctorIlLi3ELi2ELi0EEEJSt7dividesIlElEEEvT_T0_DpT1_
                                        ; -- End function
	.set _ZN2at6native12_GLOBAL__N_125multi_tensor_apply_kernelINS1_18TensorListMetadataILi3EEENS1_32PointwiseOpScalar0dTensorFunctorIlLi3ELi2ELi0EEEJSt7dividesIlElEEEvT_T0_DpT1_.num_vgpr, 46
	.set _ZN2at6native12_GLOBAL__N_125multi_tensor_apply_kernelINS1_18TensorListMetadataILi3EEENS1_32PointwiseOpScalar0dTensorFunctorIlLi3ELi2ELi0EEEJSt7dividesIlElEEEvT_T0_DpT1_.num_agpr, 0
	.set _ZN2at6native12_GLOBAL__N_125multi_tensor_apply_kernelINS1_18TensorListMetadataILi3EEENS1_32PointwiseOpScalar0dTensorFunctorIlLi3ELi2ELi0EEEJSt7dividesIlElEEEvT_T0_DpT1_.numbered_sgpr, 32
	.set _ZN2at6native12_GLOBAL__N_125multi_tensor_apply_kernelINS1_18TensorListMetadataILi3EEENS1_32PointwiseOpScalar0dTensorFunctorIlLi3ELi2ELi0EEEJSt7dividesIlElEEEvT_T0_DpT1_.num_named_barrier, 0
	.set _ZN2at6native12_GLOBAL__N_125multi_tensor_apply_kernelINS1_18TensorListMetadataILi3EEENS1_32PointwiseOpScalar0dTensorFunctorIlLi3ELi2ELi0EEEJSt7dividesIlElEEEvT_T0_DpT1_.private_seg_size, 0
	.set _ZN2at6native12_GLOBAL__N_125multi_tensor_apply_kernelINS1_18TensorListMetadataILi3EEENS1_32PointwiseOpScalar0dTensorFunctorIlLi3ELi2ELi0EEEJSt7dividesIlElEEEvT_T0_DpT1_.uses_vcc, 1
	.set _ZN2at6native12_GLOBAL__N_125multi_tensor_apply_kernelINS1_18TensorListMetadataILi3EEENS1_32PointwiseOpScalar0dTensorFunctorIlLi3ELi2ELi0EEEJSt7dividesIlElEEEvT_T0_DpT1_.uses_flat_scratch, 0
	.set _ZN2at6native12_GLOBAL__N_125multi_tensor_apply_kernelINS1_18TensorListMetadataILi3EEENS1_32PointwiseOpScalar0dTensorFunctorIlLi3ELi2ELi0EEEJSt7dividesIlElEEEvT_T0_DpT1_.has_dyn_sized_stack, 0
	.set _ZN2at6native12_GLOBAL__N_125multi_tensor_apply_kernelINS1_18TensorListMetadataILi3EEENS1_32PointwiseOpScalar0dTensorFunctorIlLi3ELi2ELi0EEEJSt7dividesIlElEEEvT_T0_DpT1_.has_recursion, 0
	.set _ZN2at6native12_GLOBAL__N_125multi_tensor_apply_kernelINS1_18TensorListMetadataILi3EEENS1_32PointwiseOpScalar0dTensorFunctorIlLi3ELi2ELi0EEEJSt7dividesIlElEEEvT_T0_DpT1_.has_indirect_call, 0
	.section	.AMDGPU.csdata,"",@progbits
; Kernel info:
; codeLenInByte = 7184
; TotalNumSgprs: 36
; NumVgprs: 46
; ScratchSize: 0
; MemoryBound: 0
; FloatMode: 240
; IeeeMode: 1
; LDSByteSize: 0 bytes/workgroup (compile time only)
; SGPRBlocks: 4
; VGPRBlocks: 11
; NumSGPRsForWavesPerEU: 36
; NumVGPRsForWavesPerEU: 46
; Occupancy: 5
; WaveLimiterHint : 0
; COMPUTE_PGM_RSRC2:SCRATCH_EN: 0
; COMPUTE_PGM_RSRC2:USER_SGPR: 6
; COMPUTE_PGM_RSRC2:TRAP_HANDLER: 0
; COMPUTE_PGM_RSRC2:TGID_X_EN: 1
; COMPUTE_PGM_RSRC2:TGID_Y_EN: 0
; COMPUTE_PGM_RSRC2:TGID_Z_EN: 0
; COMPUTE_PGM_RSRC2:TIDIG_COMP_CNT: 0
	.section	.text._ZN2at6native12_GLOBAL__N_125multi_tensor_apply_kernelINS1_18TensorListMetadataILi3EEENS1_32PointwiseOpScalar0dTensorFunctorIsLi3ELi2ELi0EEEJSt7dividesIsEsEEEvT_T0_DpT1_,"axG",@progbits,_ZN2at6native12_GLOBAL__N_125multi_tensor_apply_kernelINS1_18TensorListMetadataILi3EEENS1_32PointwiseOpScalar0dTensorFunctorIsLi3ELi2ELi0EEEJSt7dividesIsEsEEEvT_T0_DpT1_,comdat
	.globl	_ZN2at6native12_GLOBAL__N_125multi_tensor_apply_kernelINS1_18TensorListMetadataILi3EEENS1_32PointwiseOpScalar0dTensorFunctorIsLi3ELi2ELi0EEEJSt7dividesIsEsEEEvT_T0_DpT1_ ; -- Begin function _ZN2at6native12_GLOBAL__N_125multi_tensor_apply_kernelINS1_18TensorListMetadataILi3EEENS1_32PointwiseOpScalar0dTensorFunctorIsLi3ELi2ELi0EEEJSt7dividesIsEsEEEvT_T0_DpT1_
	.p2align	8
	.type	_ZN2at6native12_GLOBAL__N_125multi_tensor_apply_kernelINS1_18TensorListMetadataILi3EEENS1_32PointwiseOpScalar0dTensorFunctorIsLi3ELi2ELi0EEEJSt7dividesIsEsEEEvT_T0_DpT1_,@function
_ZN2at6native12_GLOBAL__N_125multi_tensor_apply_kernelINS1_18TensorListMetadataILi3EEENS1_32PointwiseOpScalar0dTensorFunctorIsLi3ELi2ELi0EEEJSt7dividesIsEsEEEvT_T0_DpT1_: ; @_ZN2at6native12_GLOBAL__N_125multi_tensor_apply_kernelINS1_18TensorListMetadataILi3EEENS1_32PointwiseOpScalar0dTensorFunctorIsLi3ELi2ELi0EEEJSt7dividesIsEsEEEvT_T0_DpT1_
; %bb.0:
	v_mov_b32_e32 v1, s6
	global_load_ubyte v1, v1, s[4:5] offset:1536
	s_load_dword s0, s[4:5], 0xc48
	s_mul_hi_u32 s2, s6, 3
	v_mov_b32_e32 v2, 0
	s_mov_b32 s11, 0
	s_waitcnt lgkmcnt(0)
	s_lshr_b32 s24, s0, 16
	s_add_u32 s0, s4, s6
	s_addc_u32 s1, s5, 0
	s_mul_i32 s6, s6, 3
	s_add_u32 s0, s0, s6
	s_addc_u32 s1, s1, s2
	s_waitcnt vmcnt(0)
	v_readfirstlane_b32 s2, v1
	s_lshl_b32 s7, s2, 3
	s_load_dwordx2 s[2:3], s[4:5], s7 offset:0x180
	s_load_dwordx2 s[14:15], s[4:5], s7 offset:0x300
	s_waitcnt lgkmcnt(0)
	s_nop 0
	global_load_sshort v13, v2, s[2:3]
	s_load_dword s6, s[0:1], 0x740
	s_load_dwordx2 s[16:17], s[4:5], s7 offset:0x0
	s_load_dwordx2 s[8:9], s[4:5], s7 offset:0x480
	s_waitcnt lgkmcnt(0)
	s_ashr_i32 s7, s6, 31
	s_lshl_b64 s[0:1], s[6:7], 17
	s_add_u32 s25, s16, s0
	s_addc_u32 s26, s17, s1
	s_and_b32 s10, s25, 7
	s_add_u32 s2, s2, s0
	s_add_u32 s27, s14, s0
	s_addc_u32 s28, s15, s1
	s_or_b32 s2, s27, s2
	s_and_b32 s2, s2, 7
	s_cmp_lg_u32 s2, 0
	s_cselect_b64 s[2:3], -1, 0
	s_lshl_b64 s[6:7], s[6:7], 16
	s_sub_u32 s12, s8, s6
	s_subb_u32 s13, s9, s7
	s_and_b32 s6, s8, 3
	s_mov_b32 s7, s11
	s_or_b64 s[6:7], s[10:11], s[6:7]
	s_cmp_lg_u64 s[6:7], 0
	s_cselect_b64 s[6:7], -1, 0
	s_or_b64 s[2:3], s[2:3], s[6:7]
	s_andn2_b64 vcc, exec, s[2:3]
	s_mov_b64 s[2:3], -1
	s_cbranch_vccz .LBB81_5
; %bb.1:
	v_mov_b32_e32 v3, 0x10000
	v_mov_b32_e32 v4, 0
	v_cmp_lt_i64_e32 vcc, s[12:13], v[3:4]
	v_lshlrev_b32_e32 v1, 2, v0
	s_and_b64 s[2:3], vcc, exec
	s_cselect_b32 s19, s13, 0
	s_cselect_b32 s18, s12, 0x10000
	v_cmp_gt_i64_e32 vcc, s[18:19], v[1:2]
	s_and_saveexec_b64 s[20:21], vcc
	s_cbranch_execz .LBB81_4
; %bb.2:
	s_load_dword s2, s[4:5], 0xc5c
	s_waitcnt vmcnt(0)
	v_cvt_f32_i32_e32 v3, v13
	v_mov_b32_e32 v1, v2
	v_lshlrev_b32_e32 v2, 3, v0
	v_mov_b32_e32 v5, s1
	s_waitcnt lgkmcnt(0)
	s_and_b32 s29, s2, 0xffff
	v_add_co_u32_e32 v4, vcc, s0, v2
	v_mov_b32_e32 v2, v1
	v_addc_co_u32_e32 v5, vcc, 0, v5, vcc
	s_lshl_b32 s30, s29, 3
	s_mov_b64 s[22:23], 0
	v_mov_b32_e32 v6, s17
	v_mov_b32_e32 v7, s15
	;; [unrolled: 1-line block ×3, first 2 shown]
.LBB81_3:                               ; =>This Inner Loop Header: Depth=1
	v_add_co_u32_e32 v8, vcc, s16, v4
	v_addc_co_u32_e32 v9, vcc, v6, v5, vcc
	v_add_co_u32_e32 v10, vcc, s14, v4
	v_addc_co_u32_e32 v11, vcc, v7, v5, vcc
	global_load_dwordx2 v[10:11], v[10:11], off
	v_add_co_u32_e32 v1, vcc, s29, v1
	v_addc_co_u32_e32 v2, vcc, 0, v2, vcc
	v_lshlrev_b64 v[14:15], 2, v[1:2]
	v_add_co_u32_e64 v4, s[10:11], s30, v4
	v_cmp_le_i64_e32 vcc, s[18:19], v[14:15]
	v_addc_co_u32_e64 v5, s[10:11], 0, v5, s[10:11]
	s_or_b64 s[22:23], vcc, s[22:23]
	s_waitcnt vmcnt(0)
	v_cvt_f32_i32_sdwa v14, sext(v10) dst_sel:DWORD dst_unused:UNUSED_PAD src0_sel:WORD_0
	v_cvt_f32_i32_sdwa v16, sext(v10) dst_sel:DWORD dst_unused:UNUSED_PAD src0_sel:WORD_1
	v_xor_b32_sdwa v12, v13, sext(v10) dst_sel:DWORD dst_unused:UNUSED_PAD src0_sel:DWORD src1_sel:WORD_0
	v_xor_b32_sdwa v15, v13, sext(v10) dst_sel:DWORD dst_unused:UNUSED_PAD src0_sel:DWORD src1_sel:WORD_1
	v_rcp_iflag_f32_e32 v19, v14
	v_alignbit_b32 v10, v11, v10, 16
	v_xor_b32_sdwa v17, v13, sext(v11) dst_sel:DWORD dst_unused:UNUSED_PAD src0_sel:DWORD src1_sel:WORD_1
	v_cvt_f32_i32_sdwa v11, sext(v11) dst_sel:DWORD dst_unused:UNUSED_PAD src0_sel:WORD_1
	v_mul_f32_e32 v19, v3, v19
	v_trunc_f32_e32 v19, v19
	v_mad_f32 v20, -v19, v14, v3
	v_cmp_ge_f32_e64 s[0:1], |v20|, |v14|
	v_rcp_iflag_f32_e32 v14, v16
	v_xor_b32_sdwa v18, v13, sext(v10) dst_sel:DWORD dst_unused:UNUSED_PAD src0_sel:DWORD src1_sel:WORD_1
	v_cvt_f32_i32_sdwa v10, sext(v10) dst_sel:DWORD dst_unused:UNUSED_PAD src0_sel:WORD_1
	v_cvt_i32_f32_e32 v19, v19
	v_mul_f32_e32 v14, v3, v14
	v_trunc_f32_e32 v14, v14
	v_mad_f32 v20, -v14, v16, v3
	v_cmp_ge_f32_e64 s[2:3], |v20|, |v16|
	v_rcp_iflag_f32_e32 v16, v11
	v_cvt_i32_f32_e32 v14, v14
	v_ashrrev_i32_e32 v12, 30, v12
	v_ashrrev_i32_e32 v15, 30, v15
	v_mul_f32_e32 v16, v3, v16
	v_trunc_f32_e32 v16, v16
	v_mad_f32 v20, -v16, v11, v3
	v_cmp_ge_f32_e64 s[6:7], |v20|, |v11|
	v_rcp_iflag_f32_e32 v11, v10
	v_cvt_i32_f32_e32 v16, v16
	v_ashrrev_i32_e32 v17, 30, v17
	v_or_b32_e32 v12, 1, v12
	v_mul_f32_e32 v11, v3, v11
	v_trunc_f32_e32 v20, v11
	v_mad_f32 v11, -v20, v10, v3
	v_cmp_ge_f32_e64 s[8:9], |v11|, |v10|
	global_load_dwordx2 v[10:11], v[8:9], off
	v_or_b32_e32 v15, 1, v15
	v_cvt_i32_f32_e32 v20, v20
	v_ashrrev_i32_e32 v18, 30, v18
	v_or_b32_e32 v17, 1, v17
	v_cndmask_b32_e64 v12, 0, v12, s[0:1]
	v_cndmask_b32_e64 v15, 0, v15, s[2:3]
	v_or_b32_e32 v18, 1, v18
	v_add_u32_e32 v12, v19, v12
	v_add_u32_e32 v14, v14, v15
	v_cndmask_b32_e64 v17, 0, v17, s[6:7]
	v_cndmask_b32_e64 v18, 0, v18, s[8:9]
	v_add_u32_e32 v16, v16, v17
	v_mul_lo_u16_e32 v12, s24, v12
	v_add_u32_e32 v17, v20, v18
	s_waitcnt vmcnt(0)
	v_lshrrev_b32_e32 v19, 16, v10
	v_lshrrev_b32_e32 v15, 16, v11
	v_mad_legacy_u16 v14, s24, v14, v19
	v_mad_legacy_u16 v15, s24, v16, v15
	v_add_u16_e32 v10, v12, v10
	v_lshlrev_b32_e32 v12, 16, v14
	v_mad_legacy_u16 v11, s24, v17, v11
	v_lshlrev_b32_e32 v14, 16, v15
	v_or_b32_e32 v10, v12, v10
	v_or3_b32 v11, v11, 0, v14
	v_or3_b32 v10, 0, v10, 0
	global_store_dwordx2 v[8:9], v[10:11], off
	s_andn2_b64 exec, exec, s[22:23]
	s_cbranch_execnz .LBB81_3
.LBB81_4:
	s_or_b64 exec, exec, s[20:21]
	s_mov_b64 s[2:3], 0
.LBB81_5:
	s_andn2_b64 vcc, exec, s[2:3]
	s_cbranch_vccnz .LBB81_25
; %bb.6:
	v_cmp_lt_i64_e64 s[0:1], s[12:13], 1
	s_and_b64 vcc, exec, s[0:1]
	s_cbranch_vccnz .LBB81_25
; %bb.7:
	v_mov_b32_e32 v1, 0x10000
	s_load_dword s2, s[4:5], 0xc5c
	v_mov_b32_e32 v2, 0
	v_cmp_lt_i64_e32 vcc, s[12:13], v[1:2]
	s_waitcnt vmcnt(0)
	v_cvt_f32_i32_e32 v14, v13
	s_and_b64 s[0:1], vcc, exec
	v_cmp_lt_u64_e32 vcc, s[12:13], v[1:2]
	s_cselect_b32 s1, s13, 0
	s_cselect_b32 s0, s12, 0x10000
	s_waitcnt lgkmcnt(0)
	s_and_b32 s9, s2, 0xffff
	s_and_b64 s[2:3], vcc, exec
	s_mov_b32 s8, 0
	s_cselect_b32 s3, s13, 0
	s_cselect_b32 s2, s12, 0x10000
	s_lshl_b32 s10, s9, 1
	s_mul_i32 s11, s9, 3
	s_lshl_b32 s12, s9, 2
	s_mov_b64 s[4:5], 0
	s_branch .LBB81_9
.LBB81_8:                               ;   in Loop: Header=BB81_9 Depth=1
	s_or_b64 exec, exec, s[6:7]
	s_add_u32 s4, s4, s12
	v_mov_b32_e32 v2, s1
	s_addc_u32 s5, s5, 0
	v_mov_b32_e32 v1, s0
	v_cmp_ge_i64_e32 vcc, s[4:5], v[1:2]
	s_cbranch_vccnz .LBB81_25
.LBB81_9:                               ; =>This Inner Loop Header: Depth=1
	v_mov_b32_e32 v1, s5
	v_add_co_u32_e32 v5, vcc, s4, v0
	v_addc_co_u32_e32 v6, vcc, 0, v1, vcc
	v_cmp_gt_i64_e32 vcc, s[0:1], v[5:6]
	v_mov_b32_e32 v1, 0
	v_mov_b32_e32 v3, 0
	;; [unrolled: 1-line block ×4, first 2 shown]
	s_and_saveexec_b64 s[6:7], vcc
	s_cbranch_execz .LBB81_11
; %bb.10:                               ;   in Loop: Header=BB81_9 Depth=1
	v_lshlrev_b64 v[1:2], 1, v[5:6]
	v_mov_b32_e32 v4, s26
	v_add_co_u32_e32 v3, vcc, s25, v1
	v_addc_co_u32_e32 v4, vcc, v4, v2, vcc
	v_mov_b32_e32 v7, s28
	v_add_co_u32_e32 v1, vcc, s27, v1
	v_addc_co_u32_e32 v2, vcc, v7, v2, vcc
	global_load_ushort v7, v[3:4], off
	global_load_ushort v8, v[1:2], off
	v_mov_b32_e32 v4, s8
	v_mov_b32_e32 v2, s8
	s_waitcnt vmcnt(1)
	v_and_b32_e32 v3, 0xffff, v7
	s_waitcnt vmcnt(0)
	v_and_b32_e32 v1, 0xffff, v8
.LBB81_11:                              ;   in Loop: Header=BB81_9 Depth=1
	s_or_b64 exec, exec, s[6:7]
	v_add_co_u32_e32 v7, vcc, s9, v5
	v_addc_co_u32_e32 v8, vcc, 0, v6, vcc
	v_cmp_gt_i64_e32 vcc, s[0:1], v[7:8]
	s_and_saveexec_b64 s[6:7], vcc
	s_cbranch_execz .LBB81_13
; %bb.12:                               ;   in Loop: Header=BB81_9 Depth=1
	v_lshlrev_b64 v[9:10], 1, v[7:8]
	v_mov_b32_e32 v12, s28
	v_add_co_u32_e32 v11, vcc, s27, v9
	v_addc_co_u32_e32 v12, vcc, v12, v10, vcc
	v_mov_b32_e32 v15, s26
	v_add_co_u32_e32 v9, vcc, s25, v9
	v_addc_co_u32_e32 v10, vcc, v15, v10, vcc
	global_load_ushort v15, v[9:10], off
	global_load_ushort v16, v[11:12], off
	s_waitcnt vmcnt(1)
	v_lshl_or_b32 v3, v15, 16, v3
	s_waitcnt vmcnt(0)
	v_lshl_or_b32 v1, v16, 16, v1
.LBB81_13:                              ;   in Loop: Header=BB81_9 Depth=1
	s_or_b64 exec, exec, s[6:7]
	v_add_co_u32_e32 v9, vcc, s10, v5
	v_addc_co_u32_e32 v10, vcc, 0, v6, vcc
	v_cmp_gt_i64_e32 vcc, s[0:1], v[9:10]
	s_and_saveexec_b64 s[6:7], vcc
	s_cbranch_execz .LBB81_15
; %bb.14:                               ;   in Loop: Header=BB81_9 Depth=1
	v_lshlrev_b64 v[11:12], 1, v[9:10]
	v_mov_b32_e32 v16, s28
	v_add_co_u32_e32 v15, vcc, s27, v11
	v_addc_co_u32_e32 v16, vcc, v16, v12, vcc
	v_mov_b32_e32 v17, s26
	v_add_co_u32_e32 v11, vcc, s25, v11
	v_addc_co_u32_e32 v12, vcc, v17, v12, vcc
	global_load_ushort v17, v[11:12], off
	global_load_ushort v18, v[15:16], off
	s_waitcnt vmcnt(1)
	v_or_b32_e32 v4, v17, v4
	s_waitcnt vmcnt(0)
	v_or_b32_e32 v2, v18, v2
.LBB81_15:                              ;   in Loop: Header=BB81_9 Depth=1
	s_or_b64 exec, exec, s[6:7]
	v_add_co_u32_e32 v11, vcc, s11, v5
	v_addc_co_u32_e32 v12, vcc, 0, v6, vcc
	v_cmp_gt_i64_e32 vcc, s[0:1], v[11:12]
	s_and_saveexec_b64 s[6:7], vcc
	s_cbranch_execnz .LBB81_20
; %bb.16:                               ;   in Loop: Header=BB81_9 Depth=1
	s_or_b64 exec, exec, s[6:7]
	v_cmp_gt_u64_e32 vcc, s[2:3], v[5:6]
	s_and_saveexec_b64 s[6:7], vcc
	s_cbranch_execnz .LBB81_21
.LBB81_17:                              ;   in Loop: Header=BB81_9 Depth=1
	s_or_b64 exec, exec, s[6:7]
	v_cmp_gt_u64_e32 vcc, s[2:3], v[7:8]
	s_and_saveexec_b64 s[6:7], vcc
	s_cbranch_execnz .LBB81_22
.LBB81_18:                              ;   in Loop: Header=BB81_9 Depth=1
	s_or_b64 exec, exec, s[6:7]
	v_cmp_gt_u64_e32 vcc, s[2:3], v[9:10]
	s_and_saveexec_b64 s[6:7], vcc
	s_cbranch_execnz .LBB81_23
.LBB81_19:                              ;   in Loop: Header=BB81_9 Depth=1
	s_or_b64 exec, exec, s[6:7]
	v_cmp_gt_u64_e32 vcc, s[2:3], v[11:12]
	s_and_saveexec_b64 s[6:7], vcc
	s_cbranch_execz .LBB81_8
	s_branch .LBB81_24
.LBB81_20:                              ;   in Loop: Header=BB81_9 Depth=1
	v_lshlrev_b64 v[15:16], 1, v[11:12]
	v_mov_b32_e32 v18, s28
	v_add_co_u32_e32 v17, vcc, s27, v15
	v_addc_co_u32_e32 v18, vcc, v18, v16, vcc
	v_mov_b32_e32 v19, s26
	v_add_co_u32_e32 v15, vcc, s25, v15
	v_addc_co_u32_e32 v16, vcc, v19, v16, vcc
	global_load_ushort v19, v[15:16], off
	global_load_ushort v20, v[17:18], off
	s_waitcnt vmcnt(1)
	v_lshlrev_b32_e32 v15, 16, v19
	s_waitcnt vmcnt(0)
	v_lshlrev_b32_e32 v16, 16, v20
	v_or_b32_e32 v4, v15, v4
	v_or_b32_e32 v2, v16, v2
	s_or_b64 exec, exec, s[6:7]
	v_cmp_gt_u64_e32 vcc, s[2:3], v[5:6]
	s_and_saveexec_b64 s[6:7], vcc
	s_cbranch_execz .LBB81_17
.LBB81_21:                              ;   in Loop: Header=BB81_9 Depth=1
	v_cvt_f32_i32_sdwa v15, sext(v1) dst_sel:DWORD dst_unused:UNUSED_PAD src0_sel:WORD_0
	v_xor_b32_sdwa v16, v13, sext(v1) dst_sel:DWORD dst_unused:UNUSED_PAD src0_sel:DWORD src1_sel:WORD_0
	v_ashrrev_i32_e32 v16, 30, v16
	v_lshlrev_b64 v[5:6], 1, v[5:6]
	v_rcp_iflag_f32_e32 v17, v15
	v_or_b32_e32 v16, 1, v16
	v_mov_b32_e32 v18, s26
	v_mul_f32_e32 v17, v14, v17
	v_trunc_f32_e32 v17, v17
	v_cvt_i32_f32_e32 v19, v17
	v_mad_f32 v17, -v17, v15, v14
	v_cmp_ge_f32_e64 vcc, |v17|, |v15|
	v_cndmask_b32_e32 v15, 0, v16, vcc
	v_add_u32_e32 v15, v19, v15
	v_add_co_u32_e32 v5, vcc, s25, v5
	v_mad_legacy_u16 v15, s24, v15, v3
	v_addc_co_u32_e32 v6, vcc, v18, v6, vcc
	global_store_short v[5:6], v15, off
	s_or_b64 exec, exec, s[6:7]
	v_cmp_gt_u64_e32 vcc, s[2:3], v[7:8]
	s_and_saveexec_b64 s[6:7], vcc
	s_cbranch_execz .LBB81_18
.LBB81_22:                              ;   in Loop: Header=BB81_9 Depth=1
	v_cvt_f32_i32_sdwa v15, sext(v1) dst_sel:DWORD dst_unused:UNUSED_PAD src0_sel:WORD_1
	v_lshlrev_b64 v[5:6], 1, v[7:8]
	v_xor_b32_sdwa v16, v13, sext(v1) dst_sel:DWORD dst_unused:UNUSED_PAD src0_sel:DWORD src1_sel:WORD_1
	v_ashrrev_i32_e32 v16, 30, v16
	v_rcp_iflag_f32_e32 v7, v15
	v_or_b32_e32 v16, 1, v16
	v_lshrrev_b32_e32 v3, 16, v3
	v_mov_b32_e32 v8, s26
	v_mul_f32_e32 v7, v14, v7
	v_trunc_f32_e32 v7, v7
	v_cvt_i32_f32_e32 v17, v7
	v_mad_f32 v7, -v7, v15, v14
	v_cmp_ge_f32_e64 vcc, |v7|, |v15|
	v_cndmask_b32_e32 v7, 0, v16, vcc
	v_add_u32_e32 v7, v17, v7
	v_add_co_u32_e32 v5, vcc, s25, v5
	v_mad_legacy_u16 v3, s24, v7, v3
	v_addc_co_u32_e32 v6, vcc, v8, v6, vcc
	global_store_short v[5:6], v3, off
	s_or_b64 exec, exec, s[6:7]
	v_cmp_gt_u64_e32 vcc, s[2:3], v[9:10]
	s_and_saveexec_b64 s[6:7], vcc
	s_cbranch_execz .LBB81_19
.LBB81_23:                              ;   in Loop: Header=BB81_9 Depth=1
	v_alignbit_b32 v1, v2, v1, 16
	v_cvt_f32_i32_sdwa v3, sext(v1) dst_sel:DWORD dst_unused:UNUSED_PAD src0_sel:WORD_1
	v_lshlrev_b64 v[5:6], 1, v[9:10]
	v_xor_b32_sdwa v1, v13, sext(v1) dst_sel:DWORD dst_unused:UNUSED_PAD src0_sel:DWORD src1_sel:WORD_1
	v_ashrrev_i32_e32 v1, 30, v1
	v_rcp_iflag_f32_e32 v8, v3
	v_or_b32_e32 v1, 1, v1
	v_mov_b32_e32 v7, s26
	v_mul_f32_e32 v8, v14, v8
	v_trunc_f32_e32 v8, v8
	v_cvt_i32_f32_e32 v9, v8
	v_mad_f32 v8, -v8, v3, v14
	v_cmp_ge_f32_e64 vcc, |v8|, |v3|
	v_cndmask_b32_e32 v1, 0, v1, vcc
	v_add_u32_e32 v1, v9, v1
	v_add_co_u32_e32 v5, vcc, s25, v5
	v_mad_legacy_u16 v1, s24, v1, v4
	v_addc_co_u32_e32 v6, vcc, v7, v6, vcc
	global_store_short v[5:6], v1, off
	s_or_b64 exec, exec, s[6:7]
	v_cmp_gt_u64_e32 vcc, s[2:3], v[11:12]
	s_and_saveexec_b64 s[6:7], vcc
	s_cbranch_execz .LBB81_8
.LBB81_24:                              ;   in Loop: Header=BB81_9 Depth=1
	v_cvt_f32_i32_sdwa v3, sext(v2) dst_sel:DWORD dst_unused:UNUSED_PAD src0_sel:WORD_1
	v_xor_b32_sdwa v5, v13, sext(v2) dst_sel:DWORD dst_unused:UNUSED_PAD src0_sel:DWORD src1_sel:WORD_1
	v_ashrrev_i32_e32 v5, 30, v5
	v_lshlrev_b64 v[1:2], 1, v[11:12]
	v_rcp_iflag_f32_e32 v6, v3
	v_or_b32_e32 v5, 1, v5
	v_lshrrev_b32_e32 v4, 16, v4
	v_mov_b32_e32 v7, s26
	v_mul_f32_e32 v6, v14, v6
	v_trunc_f32_e32 v6, v6
	v_cvt_i32_f32_e32 v8, v6
	v_mad_f32 v6, -v6, v3, v14
	v_cmp_ge_f32_e64 vcc, |v6|, |v3|
	v_cndmask_b32_e32 v3, 0, v5, vcc
	v_add_u32_e32 v3, v8, v3
	v_add_co_u32_e32 v1, vcc, s25, v1
	v_mad_legacy_u16 v3, s24, v3, v4
	v_addc_co_u32_e32 v2, vcc, v7, v2, vcc
	global_store_short v[1:2], v3, off
	s_branch .LBB81_8
.LBB81_25:
	s_endpgm
	.section	.rodata,"a",@progbits
	.p2align	6, 0x0
	.amdhsa_kernel _ZN2at6native12_GLOBAL__N_125multi_tensor_apply_kernelINS1_18TensorListMetadataILi3EEENS1_32PointwiseOpScalar0dTensorFunctorIsLi3ELi2ELi0EEEJSt7dividesIsEsEEEvT_T0_DpT1_
		.amdhsa_group_segment_fixed_size 0
		.amdhsa_private_segment_fixed_size 0
		.amdhsa_kernarg_size 3408
		.amdhsa_user_sgpr_count 6
		.amdhsa_user_sgpr_private_segment_buffer 1
		.amdhsa_user_sgpr_dispatch_ptr 0
		.amdhsa_user_sgpr_queue_ptr 0
		.amdhsa_user_sgpr_kernarg_segment_ptr 1
		.amdhsa_user_sgpr_dispatch_id 0
		.amdhsa_user_sgpr_flat_scratch_init 0
		.amdhsa_user_sgpr_private_segment_size 0
		.amdhsa_uses_dynamic_stack 0
		.amdhsa_system_sgpr_private_segment_wavefront_offset 0
		.amdhsa_system_sgpr_workgroup_id_x 1
		.amdhsa_system_sgpr_workgroup_id_y 0
		.amdhsa_system_sgpr_workgroup_id_z 0
		.amdhsa_system_sgpr_workgroup_info 0
		.amdhsa_system_vgpr_workitem_id 0
		.amdhsa_next_free_vgpr 21
		.amdhsa_next_free_sgpr 31
		.amdhsa_reserve_vcc 1
		.amdhsa_reserve_flat_scratch 0
		.amdhsa_float_round_mode_32 0
		.amdhsa_float_round_mode_16_64 0
		.amdhsa_float_denorm_mode_32 3
		.amdhsa_float_denorm_mode_16_64 3
		.amdhsa_dx10_clamp 1
		.amdhsa_ieee_mode 1
		.amdhsa_fp16_overflow 0
		.amdhsa_exception_fp_ieee_invalid_op 0
		.amdhsa_exception_fp_denorm_src 0
		.amdhsa_exception_fp_ieee_div_zero 0
		.amdhsa_exception_fp_ieee_overflow 0
		.amdhsa_exception_fp_ieee_underflow 0
		.amdhsa_exception_fp_ieee_inexact 0
		.amdhsa_exception_int_div_zero 0
	.end_amdhsa_kernel
	.section	.text._ZN2at6native12_GLOBAL__N_125multi_tensor_apply_kernelINS1_18TensorListMetadataILi3EEENS1_32PointwiseOpScalar0dTensorFunctorIsLi3ELi2ELi0EEEJSt7dividesIsEsEEEvT_T0_DpT1_,"axG",@progbits,_ZN2at6native12_GLOBAL__N_125multi_tensor_apply_kernelINS1_18TensorListMetadataILi3EEENS1_32PointwiseOpScalar0dTensorFunctorIsLi3ELi2ELi0EEEJSt7dividesIsEsEEEvT_T0_DpT1_,comdat
.Lfunc_end81:
	.size	_ZN2at6native12_GLOBAL__N_125multi_tensor_apply_kernelINS1_18TensorListMetadataILi3EEENS1_32PointwiseOpScalar0dTensorFunctorIsLi3ELi2ELi0EEEJSt7dividesIsEsEEEvT_T0_DpT1_, .Lfunc_end81-_ZN2at6native12_GLOBAL__N_125multi_tensor_apply_kernelINS1_18TensorListMetadataILi3EEENS1_32PointwiseOpScalar0dTensorFunctorIsLi3ELi2ELi0EEEJSt7dividesIsEsEEEvT_T0_DpT1_
                                        ; -- End function
	.set _ZN2at6native12_GLOBAL__N_125multi_tensor_apply_kernelINS1_18TensorListMetadataILi3EEENS1_32PointwiseOpScalar0dTensorFunctorIsLi3ELi2ELi0EEEJSt7dividesIsEsEEEvT_T0_DpT1_.num_vgpr, 21
	.set _ZN2at6native12_GLOBAL__N_125multi_tensor_apply_kernelINS1_18TensorListMetadataILi3EEENS1_32PointwiseOpScalar0dTensorFunctorIsLi3ELi2ELi0EEEJSt7dividesIsEsEEEvT_T0_DpT1_.num_agpr, 0
	.set _ZN2at6native12_GLOBAL__N_125multi_tensor_apply_kernelINS1_18TensorListMetadataILi3EEENS1_32PointwiseOpScalar0dTensorFunctorIsLi3ELi2ELi0EEEJSt7dividesIsEsEEEvT_T0_DpT1_.numbered_sgpr, 31
	.set _ZN2at6native12_GLOBAL__N_125multi_tensor_apply_kernelINS1_18TensorListMetadataILi3EEENS1_32PointwiseOpScalar0dTensorFunctorIsLi3ELi2ELi0EEEJSt7dividesIsEsEEEvT_T0_DpT1_.num_named_barrier, 0
	.set _ZN2at6native12_GLOBAL__N_125multi_tensor_apply_kernelINS1_18TensorListMetadataILi3EEENS1_32PointwiseOpScalar0dTensorFunctorIsLi3ELi2ELi0EEEJSt7dividesIsEsEEEvT_T0_DpT1_.private_seg_size, 0
	.set _ZN2at6native12_GLOBAL__N_125multi_tensor_apply_kernelINS1_18TensorListMetadataILi3EEENS1_32PointwiseOpScalar0dTensorFunctorIsLi3ELi2ELi0EEEJSt7dividesIsEsEEEvT_T0_DpT1_.uses_vcc, 1
	.set _ZN2at6native12_GLOBAL__N_125multi_tensor_apply_kernelINS1_18TensorListMetadataILi3EEENS1_32PointwiseOpScalar0dTensorFunctorIsLi3ELi2ELi0EEEJSt7dividesIsEsEEEvT_T0_DpT1_.uses_flat_scratch, 0
	.set _ZN2at6native12_GLOBAL__N_125multi_tensor_apply_kernelINS1_18TensorListMetadataILi3EEENS1_32PointwiseOpScalar0dTensorFunctorIsLi3ELi2ELi0EEEJSt7dividesIsEsEEEvT_T0_DpT1_.has_dyn_sized_stack, 0
	.set _ZN2at6native12_GLOBAL__N_125multi_tensor_apply_kernelINS1_18TensorListMetadataILi3EEENS1_32PointwiseOpScalar0dTensorFunctorIsLi3ELi2ELi0EEEJSt7dividesIsEsEEEvT_T0_DpT1_.has_recursion, 0
	.set _ZN2at6native12_GLOBAL__N_125multi_tensor_apply_kernelINS1_18TensorListMetadataILi3EEENS1_32PointwiseOpScalar0dTensorFunctorIsLi3ELi2ELi0EEEJSt7dividesIsEsEEEvT_T0_DpT1_.has_indirect_call, 0
	.section	.AMDGPU.csdata,"",@progbits
; Kernel info:
; codeLenInByte = 1912
; TotalNumSgprs: 35
; NumVgprs: 21
; ScratchSize: 0
; MemoryBound: 0
; FloatMode: 240
; IeeeMode: 1
; LDSByteSize: 0 bytes/workgroup (compile time only)
; SGPRBlocks: 4
; VGPRBlocks: 5
; NumSGPRsForWavesPerEU: 35
; NumVGPRsForWavesPerEU: 21
; Occupancy: 10
; WaveLimiterHint : 0
; COMPUTE_PGM_RSRC2:SCRATCH_EN: 0
; COMPUTE_PGM_RSRC2:USER_SGPR: 6
; COMPUTE_PGM_RSRC2:TRAP_HANDLER: 0
; COMPUTE_PGM_RSRC2:TGID_X_EN: 1
; COMPUTE_PGM_RSRC2:TGID_Y_EN: 0
; COMPUTE_PGM_RSRC2:TGID_Z_EN: 0
; COMPUTE_PGM_RSRC2:TIDIG_COMP_CNT: 0
	.section	.text._ZN2at6native12_GLOBAL__N_125multi_tensor_apply_kernelINS1_18TensorListMetadataILi3EEENS1_32PointwiseOpScalar0dTensorFunctorIdLi3ELi2ELi0EEEJSt7dividesIdEdEEEvT_T0_DpT1_,"axG",@progbits,_ZN2at6native12_GLOBAL__N_125multi_tensor_apply_kernelINS1_18TensorListMetadataILi3EEENS1_32PointwiseOpScalar0dTensorFunctorIdLi3ELi2ELi0EEEJSt7dividesIdEdEEEvT_T0_DpT1_,comdat
	.globl	_ZN2at6native12_GLOBAL__N_125multi_tensor_apply_kernelINS1_18TensorListMetadataILi3EEENS1_32PointwiseOpScalar0dTensorFunctorIdLi3ELi2ELi0EEEJSt7dividesIdEdEEEvT_T0_DpT1_ ; -- Begin function _ZN2at6native12_GLOBAL__N_125multi_tensor_apply_kernelINS1_18TensorListMetadataILi3EEENS1_32PointwiseOpScalar0dTensorFunctorIdLi3ELi2ELi0EEEJSt7dividesIdEdEEEvT_T0_DpT1_
	.p2align	8
	.type	_ZN2at6native12_GLOBAL__N_125multi_tensor_apply_kernelINS1_18TensorListMetadataILi3EEENS1_32PointwiseOpScalar0dTensorFunctorIdLi3ELi2ELi0EEEJSt7dividesIdEdEEEvT_T0_DpT1_,@function
_ZN2at6native12_GLOBAL__N_125multi_tensor_apply_kernelINS1_18TensorListMetadataILi3EEENS1_32PointwiseOpScalar0dTensorFunctorIdLi3ELi2ELi0EEEJSt7dividesIdEdEEEvT_T0_DpT1_: ; @_ZN2at6native12_GLOBAL__N_125multi_tensor_apply_kernelINS1_18TensorListMetadataILi3EEENS1_32PointwiseOpScalar0dTensorFunctorIdLi3ELi2ELi0EEEJSt7dividesIdEdEEEvT_T0_DpT1_
; %bb.0:
	v_mov_b32_e32 v1, s6
	global_load_ubyte v1, v1, s[4:5] offset:1536
	s_add_u32 s0, s4, s6
	s_mul_hi_u32 s1, s6, 3
	s_mul_i32 s6, s6, 3
	s_addc_u32 s2, s5, 0
	s_add_u32 s0, s0, s6
	s_addc_u32 s1, s2, s1
	s_load_dword s6, s[0:1], 0x740
	s_load_dwordx2 s[12:13], s[4:5], 0xc50
	s_mov_b32 s1, 0
	s_mov_b32 s9, s1
	s_waitcnt lgkmcnt(0)
	s_ashr_i32 s7, s6, 31
	s_lshl_b64 s[2:3], s[6:7], 19
	s_waitcnt vmcnt(0)
	v_readfirstlane_b32 s0, v1
	s_lshl_b32 s0, s0, 3
	s_load_dwordx2 s[18:19], s[4:5], s0 offset:0x0
	s_load_dwordx2 s[10:11], s[4:5], s0 offset:0x180
	;; [unrolled: 1-line block ×4, first 2 shown]
	s_waitcnt lgkmcnt(0)
	s_add_u32 s28, s18, s2
	s_addc_u32 s29, s19, s3
	s_and_b32 s0, s28, 31
	s_add_u32 s8, s10, s2
	s_add_u32 s30, s20, s2
	s_addc_u32 s31, s21, s3
	s_or_b32 s8, s30, s8
	s_and_b32 s8, s8, 31
	s_cmp_lg_u32 s8, 0
	s_load_dwordx2 s[14:15], s[10:11], 0x0
	s_cselect_b64 s[10:11], -1, 0
	s_lshl_b64 s[6:7], s[6:7], 16
	s_sub_u32 s16, s22, s6
	s_subb_u32 s17, s23, s7
	s_and_b32 s8, s22, 3
	s_or_b64 s[0:1], s[0:1], s[8:9]
	s_cmp_lg_u64 s[0:1], 0
	s_cselect_b64 s[0:1], -1, 0
	s_or_b64 s[0:1], s[10:11], s[0:1]
	s_andn2_b64 vcc, exec, s[0:1]
	s_mov_b64 s[0:1], -1
	s_cbranch_vccz .LBB82_5
; %bb.1:
	v_mov_b32_e32 v1, 0x10000
	v_mov_b32_e32 v2, 0
	v_cmp_lt_i64_e32 vcc, s[16:17], v[1:2]
	v_mov_b32_e32 v2, 0
	s_and_b64 s[0:1], vcc, exec
	s_cselect_b32 s23, s17, 0
	s_cselect_b32 s22, s16, 0x10000
	v_lshlrev_b32_e32 v1, 2, v0
	v_cmp_gt_i64_e32 vcc, s[22:23], v[1:2]
	s_and_saveexec_b64 s[24:25], vcc
	s_cbranch_execz .LBB82_4
; %bb.2:
	v_cmp_eq_f64_e64 s[0:1], s[12:13], 1.0
	s_load_dword s6, s[4:5], 0xc64
	v_mov_b32_e32 v1, v2
	v_lshlrev_b32_e32 v2, 5, v0
	v_mov_b32_e32 v4, s3
	v_add_co_u32_e32 v3, vcc, s2, v2
	s_waitcnt lgkmcnt(0)
	s_and_b32 s33, s6, 0xffff
	v_mov_b32_e32 v2, v1
	v_addc_co_u32_e32 v4, vcc, 0, v4, vcc
	s_lshl_b32 s34, s33, 5
	s_mov_b64 s[26:27], 0
	v_mov_b32_e32 v5, s19
	v_mov_b32_e32 v6, s21
	v_mov_b32_e32 v1, v0
.LBB82_3:                               ; =>This Inner Loop Header: Depth=1
	v_add_co_u32_e32 v15, vcc, s20, v3
	v_addc_co_u32_e32 v16, vcc, v6, v4, vcc
	global_load_dwordx4 v[7:10], v[15:16], off
	global_load_dwordx4 v[11:14], v[15:16], off offset:16
	v_add_co_u32_e32 v1, vcc, s33, v1
	v_addc_co_u32_e32 v2, vcc, 0, v2, vcc
	v_lshlrev_b64 v[15:16], 2, v[1:2]
	v_cmp_le_i64_e64 s[2:3], s[22:23], v[15:16]
	s_or_b64 s[26:27], s[2:3], s[26:27]
	s_waitcnt vmcnt(1)
	v_div_scale_f64 v[15:16], s[6:7], v[7:8], v[7:8], s[14:15]
	v_div_scale_f64 v[17:18], vcc, s[14:15], v[7:8], s[14:15]
	v_div_scale_f64 v[19:20], s[6:7], v[9:10], v[9:10], s[14:15]
	v_div_scale_f64 v[21:22], s[6:7], s[14:15], v[9:10], s[14:15]
	s_waitcnt vmcnt(0)
	v_div_scale_f64 v[23:24], s[8:9], v[11:12], v[11:12], s[14:15]
	v_div_scale_f64 v[27:28], s[10:11], v[13:14], v[13:14], s[14:15]
	;; [unrolled: 1-line block ×3, first 2 shown]
	v_rcp_f64_e32 v[29:30], v[15:16]
	v_fma_f64 v[31:32], -v[15:16], v[29:30], 1.0
	v_fma_f64 v[29:30], v[29:30], v[31:32], v[29:30]
	v_fma_f64 v[31:32], -v[15:16], v[29:30], 1.0
	v_fma_f64 v[29:30], v[29:30], v[31:32], v[29:30]
	v_mul_f64 v[31:32], v[17:18], v[29:30]
	v_fma_f64 v[15:16], -v[15:16], v[31:32], v[17:18]
	v_div_scale_f64 v[17:18], s[10:11], s[14:15], v[13:14], s[14:15]
	v_div_fmas_f64 v[29:30], v[15:16], v[29:30], v[31:32]
	v_rcp_f64_e32 v[15:16], v[19:20]
	s_mov_b64 vcc, s[6:7]
	v_div_fixup_f64 v[7:8], v[29:30], v[7:8], s[14:15]
	v_fma_f64 v[31:32], -v[19:20], v[15:16], 1.0
	v_fma_f64 v[15:16], v[15:16], v[31:32], v[15:16]
	v_fma_f64 v[31:32], -v[19:20], v[15:16], 1.0
	v_fma_f64 v[15:16], v[15:16], v[31:32], v[15:16]
	v_mul_f64 v[31:32], v[21:22], v[15:16]
	v_fma_f64 v[19:20], -v[19:20], v[31:32], v[21:22]
	v_rcp_f64_e32 v[21:22], v[23:24]
	v_div_fmas_f64 v[31:32], v[19:20], v[15:16], v[31:32]
	v_rcp_f64_e32 v[15:16], v[27:28]
	v_add_co_u32_e32 v33, vcc, s18, v3
	v_addc_co_u32_e32 v34, vcc, v5, v4, vcc
	s_mov_b64 vcc, s[8:9]
	v_fma_f64 v[19:20], -v[23:24], v[21:22], 1.0
	v_div_fixup_f64 v[9:10], v[31:32], v[9:10], s[14:15]
	v_fma_f64 v[19:20], v[21:22], v[19:20], v[21:22]
	v_fma_f64 v[21:22], -v[27:28], v[15:16], 1.0
	v_fma_f64 v[15:16], v[15:16], v[21:22], v[15:16]
	v_fma_f64 v[21:22], -v[23:24], v[19:20], 1.0
	;; [unrolled: 2-line block ×3, first 2 shown]
	v_fma_f64 v[21:22], v[15:16], v[21:22], v[15:16]
	v_mul_f64 v[15:16], v[25:26], v[19:20]
	v_fma_f64 v[23:24], -v[23:24], v[15:16], v[25:26]
	v_mul_f64 v[25:26], v[17:18], v[21:22]
	v_div_fmas_f64 v[23:24], v[23:24], v[19:20], v[15:16]
	v_fma_f64 v[27:28], -v[27:28], v[25:26], v[17:18]
	s_mov_b64 vcc, s[10:11]
	global_load_dwordx4 v[15:18], v[33:34], off
	v_div_fmas_f64 v[25:26], v[27:28], v[21:22], v[25:26]
	global_load_dwordx4 v[19:22], v[33:34], off offset:16
	v_add_co_u32_e32 v3, vcc, s34, v3
	v_addc_co_u32_e32 v4, vcc, 0, v4, vcc
	v_div_fixup_f64 v[11:12], v[23:24], v[11:12], s[14:15]
	v_div_fixup_f64 v[13:14], v[25:26], v[13:14], s[14:15]
	s_waitcnt vmcnt(1)
	v_add_f64 v[23:24], v[15:16], v[7:8]
	v_fma_f64 v[7:8], s[12:13], v[7:8], v[15:16]
	v_add_f64 v[15:16], v[17:18], v[9:10]
	v_fma_f64 v[9:10], s[12:13], v[9:10], v[17:18]
	s_waitcnt vmcnt(0)
	v_add_f64 v[17:18], v[19:20], v[11:12]
	v_fma_f64 v[11:12], s[12:13], v[11:12], v[19:20]
	v_add_f64 v[19:20], v[21:22], v[13:14]
	v_fma_f64 v[13:14], s[12:13], v[13:14], v[21:22]
	v_cndmask_b32_e64 v8, v8, v24, s[0:1]
	v_cndmask_b32_e64 v7, v7, v23, s[0:1]
	;; [unrolled: 1-line block ×4, first 2 shown]
	global_store_dwordx4 v[33:34], v[7:10], off
	v_cndmask_b32_e64 v12, v12, v18, s[0:1]
	v_cndmask_b32_e64 v11, v11, v17, s[0:1]
	;; [unrolled: 1-line block ×4, first 2 shown]
	global_store_dwordx4 v[33:34], v[11:14], off offset:16
	s_andn2_b64 exec, exec, s[26:27]
	s_cbranch_execnz .LBB82_3
.LBB82_4:
	s_or_b64 exec, exec, s[24:25]
	s_mov_b64 s[0:1], 0
.LBB82_5:
	s_andn2_b64 vcc, exec, s[0:1]
	s_cbranch_vccnz .LBB82_25
; %bb.6:
	v_cmp_lt_i64_e64 s[0:1], s[16:17], 1
	s_and_b64 vcc, exec, s[0:1]
	s_cbranch_vccnz .LBB82_25
; %bb.7:
	v_mov_b32_e32 v1, 0x10000
	v_mov_b32_e32 v2, 0
	v_cmp_lt_i64_e32 vcc, s[16:17], v[1:2]
	s_load_dword s4, s[4:5], 0xc64
	s_and_b64 s[0:1], vcc, exec
	v_cmp_eq_f64_e64 s[0:1], s[12:13], 1.0
	v_cmp_lt_u64_e32 vcc, s[16:17], v[1:2]
	s_cselect_b32 s3, s17, 0
	s_cselect_b32 s2, s16, 0x10000
	s_waitcnt lgkmcnt(0)
	s_and_b32 s10, s4, 0xffff
	s_and_b64 s[4:5], vcc, exec
	s_cselect_b32 s5, s17, 0
	s_cselect_b32 s4, s16, 0x10000
	s_lshl_b32 s11, s10, 1
	s_mul_i32 s16, s10, 3
	s_lshl_b32 s17, s10, 2
	s_mov_b64 s[6:7], 0
	s_branch .LBB82_9
.LBB82_8:                               ;   in Loop: Header=BB82_9 Depth=1
	s_or_b64 exec, exec, s[8:9]
	s_add_u32 s6, s6, s17
	s_waitcnt vmcnt(0)
	v_mov_b32_e32 v1, s2
	s_addc_u32 s7, s7, 0
	v_mov_b32_e32 v2, s3
	v_cmp_ge_i64_e32 vcc, s[6:7], v[1:2]
	s_cbranch_vccnz .LBB82_25
.LBB82_9:                               ; =>This Inner Loop Header: Depth=1
	v_mov_b32_e32 v1, s7
	v_add_co_u32_e32 v11, vcc, s6, v0
	v_addc_co_u32_e32 v12, vcc, 0, v1, vcc
	v_cmp_gt_i64_e32 vcc, s[2:3], v[11:12]
	v_mov_b32_e32 v3, 0
	v_mov_b32_e32 v23, 0
	;; [unrolled: 1-line block ×6, first 2 shown]
	s_and_saveexec_b64 s[8:9], vcc
	s_cbranch_execz .LBB82_11
; %bb.10:                               ;   in Loop: Header=BB82_9 Depth=1
	v_lshlrev_b64 v[1:2], 3, v[11:12]
	v_mov_b32_e32 v6, s29
	v_add_co_u32_e32 v5, vcc, s28, v1
	v_addc_co_u32_e32 v6, vcc, v6, v2, vcc
	v_mov_b32_e32 v7, s31
	v_add_co_u32_e32 v1, vcc, s30, v1
	v_addc_co_u32_e32 v2, vcc, v7, v2, vcc
	global_load_dwordx2 v[21:22], v[5:6], off
	global_load_dwordx2 v[23:24], v[1:2], off
.LBB82_11:                              ;   in Loop: Header=BB82_9 Depth=1
	s_or_b64 exec, exec, s[8:9]
	v_add_co_u32_e32 v9, vcc, s10, v11
	v_addc_co_u32_e32 v10, vcc, 0, v12, vcc
	v_cmp_gt_i64_e32 vcc, s[2:3], v[9:10]
	v_mov_b32_e32 v17, 0
	v_mov_b32_e32 v18, 0
	s_and_saveexec_b64 s[8:9], vcc
	s_cbranch_execz .LBB82_13
; %bb.12:                               ;   in Loop: Header=BB82_9 Depth=1
	v_lshlrev_b64 v[1:2], 3, v[9:10]
	v_mov_b32_e32 v3, s29
	v_add_co_u32_e32 v5, vcc, s28, v1
	v_addc_co_u32_e32 v6, vcc, v3, v2, vcc
	v_mov_b32_e32 v3, s31
	v_add_co_u32_e32 v1, vcc, s30, v1
	v_addc_co_u32_e32 v2, vcc, v3, v2, vcc
	global_load_dwordx2 v[17:18], v[5:6], off
	global_load_dwordx2 v[3:4], v[1:2], off
.LBB82_13:                              ;   in Loop: Header=BB82_9 Depth=1
	s_or_b64 exec, exec, s[8:9]
	v_add_co_u32_e32 v7, vcc, s11, v11
	v_addc_co_u32_e32 v8, vcc, 0, v12, vcc
	v_cmp_gt_i64_e32 vcc, s[2:3], v[7:8]
	v_mov_b32_e32 v1, 0
	v_mov_b32_e32 v19, 0
	;; [unrolled: 1-line block ×6, first 2 shown]
	s_and_saveexec_b64 s[8:9], vcc
	s_cbranch_execz .LBB82_15
; %bb.14:                               ;   in Loop: Header=BB82_9 Depth=1
	v_lshlrev_b64 v[5:6], 3, v[7:8]
	v_mov_b32_e32 v14, s29
	v_add_co_u32_e32 v13, vcc, s28, v5
	v_addc_co_u32_e32 v14, vcc, v14, v6, vcc
	v_mov_b32_e32 v15, s31
	v_add_co_u32_e32 v5, vcc, s30, v5
	v_addc_co_u32_e32 v6, vcc, v15, v6, vcc
	global_load_dwordx2 v[15:16], v[13:14], off
	global_load_dwordx2 v[19:20], v[5:6], off
.LBB82_15:                              ;   in Loop: Header=BB82_9 Depth=1
	s_or_b64 exec, exec, s[8:9]
	v_add_co_u32_e32 v5, vcc, s16, v11
	v_addc_co_u32_e32 v6, vcc, 0, v12, vcc
	v_cmp_gt_i64_e32 vcc, s[2:3], v[5:6]
	v_mov_b32_e32 v13, 0
	v_mov_b32_e32 v14, 0
	s_and_saveexec_b64 s[8:9], vcc
	s_cbranch_execnz .LBB82_20
; %bb.16:                               ;   in Loop: Header=BB82_9 Depth=1
	s_or_b64 exec, exec, s[8:9]
	v_cmp_gt_u64_e32 vcc, s[4:5], v[11:12]
	s_and_saveexec_b64 s[8:9], vcc
	s_cbranch_execnz .LBB82_21
.LBB82_17:                              ;   in Loop: Header=BB82_9 Depth=1
	s_or_b64 exec, exec, s[8:9]
	v_cmp_gt_u64_e32 vcc, s[4:5], v[9:10]
	s_and_saveexec_b64 s[8:9], vcc
	s_cbranch_execnz .LBB82_22
.LBB82_18:                              ;   in Loop: Header=BB82_9 Depth=1
	s_or_b64 exec, exec, s[8:9]
	v_cmp_gt_u64_e32 vcc, s[4:5], v[7:8]
	s_and_saveexec_b64 s[8:9], vcc
	s_cbranch_execnz .LBB82_23
.LBB82_19:                              ;   in Loop: Header=BB82_9 Depth=1
	s_or_b64 exec, exec, s[8:9]
	v_cmp_gt_u64_e32 vcc, s[4:5], v[5:6]
	s_and_saveexec_b64 s[8:9], vcc
	s_cbranch_execz .LBB82_8
	s_branch .LBB82_24
.LBB82_20:                              ;   in Loop: Header=BB82_9 Depth=1
	v_lshlrev_b64 v[1:2], 3, v[5:6]
	v_mov_b32_e32 v13, s29
	v_add_co_u32_e32 v25, vcc, s28, v1
	v_addc_co_u32_e32 v26, vcc, v13, v2, vcc
	v_mov_b32_e32 v13, s31
	v_add_co_u32_e32 v27, vcc, s30, v1
	v_addc_co_u32_e32 v28, vcc, v13, v2, vcc
	global_load_dwordx2 v[13:14], v[25:26], off
	global_load_dwordx2 v[1:2], v[27:28], off
	s_or_b64 exec, exec, s[8:9]
	v_cmp_gt_u64_e32 vcc, s[4:5], v[11:12]
	s_and_saveexec_b64 s[8:9], vcc
	s_cbranch_execz .LBB82_17
.LBB82_21:                              ;   in Loop: Header=BB82_9 Depth=1
	s_waitcnt vmcnt(0)
	v_div_scale_f64 v[25:26], s[18:19], v[23:24], v[23:24], s[14:15]
	v_lshlrev_b64 v[11:12], 3, v[11:12]
	v_rcp_f64_e32 v[27:28], v[25:26]
	v_fma_f64 v[29:30], -v[25:26], v[27:28], 1.0
	v_fma_f64 v[27:28], v[27:28], v[29:30], v[27:28]
	v_div_scale_f64 v[29:30], vcc, s[14:15], v[23:24], s[14:15]
	v_fma_f64 v[31:32], -v[25:26], v[27:28], 1.0
	v_fma_f64 v[27:28], v[27:28], v[31:32], v[27:28]
	v_mul_f64 v[31:32], v[29:30], v[27:28]
	v_fma_f64 v[25:26], -v[25:26], v[31:32], v[29:30]
	v_div_fmas_f64 v[25:26], v[25:26], v[27:28], v[31:32]
	v_add_co_u32_e32 v11, vcc, s28, v11
	v_div_fixup_f64 v[23:24], v[25:26], v[23:24], s[14:15]
	v_add_f64 v[25:26], v[21:22], v[23:24]
	v_fma_f64 v[21:22], s[12:13], v[23:24], v[21:22]
	v_mov_b32_e32 v23, s29
	v_addc_co_u32_e32 v12, vcc, v23, v12, vcc
	v_cndmask_b32_e64 v22, v22, v26, s[0:1]
	v_cndmask_b32_e64 v21, v21, v25, s[0:1]
	global_store_dwordx2 v[11:12], v[21:22], off
	s_or_b64 exec, exec, s[8:9]
	v_cmp_gt_u64_e32 vcc, s[4:5], v[9:10]
	s_and_saveexec_b64 s[8:9], vcc
	s_cbranch_execz .LBB82_18
.LBB82_22:                              ;   in Loop: Header=BB82_9 Depth=1
	s_waitcnt vmcnt(0)
	v_div_scale_f64 v[11:12], s[18:19], v[3:4], v[3:4], s[14:15]
	v_lshlrev_b64 v[9:10], 3, v[9:10]
	v_rcp_f64_e32 v[21:22], v[11:12]
	v_fma_f64 v[23:24], -v[11:12], v[21:22], 1.0
	v_fma_f64 v[21:22], v[21:22], v[23:24], v[21:22]
	v_div_scale_f64 v[23:24], vcc, s[14:15], v[3:4], s[14:15]
	v_fma_f64 v[25:26], -v[11:12], v[21:22], 1.0
	v_fma_f64 v[21:22], v[21:22], v[25:26], v[21:22]
	v_mul_f64 v[25:26], v[23:24], v[21:22]
	v_fma_f64 v[11:12], -v[11:12], v[25:26], v[23:24]
	v_div_fmas_f64 v[11:12], v[11:12], v[21:22], v[25:26]
	v_add_co_u32_e32 v9, vcc, s28, v9
	v_div_fixup_f64 v[3:4], v[11:12], v[3:4], s[14:15]
	v_add_f64 v[11:12], v[17:18], v[3:4]
	v_fma_f64 v[3:4], s[12:13], v[3:4], v[17:18]
	v_mov_b32_e32 v17, s29
	v_addc_co_u32_e32 v10, vcc, v17, v10, vcc
	v_cndmask_b32_e64 v4, v4, v12, s[0:1]
	v_cndmask_b32_e64 v3, v3, v11, s[0:1]
	global_store_dwordx2 v[9:10], v[3:4], off
	s_or_b64 exec, exec, s[8:9]
	v_cmp_gt_u64_e32 vcc, s[4:5], v[7:8]
	s_and_saveexec_b64 s[8:9], vcc
	s_cbranch_execz .LBB82_19
.LBB82_23:                              ;   in Loop: Header=BB82_9 Depth=1
	s_waitcnt vmcnt(0)
	v_div_scale_f64 v[3:4], s[18:19], v[19:20], v[19:20], s[14:15]
	v_lshlrev_b64 v[7:8], 3, v[7:8]
	v_rcp_f64_e32 v[9:10], v[3:4]
	v_fma_f64 v[11:12], -v[3:4], v[9:10], 1.0
	v_fma_f64 v[9:10], v[9:10], v[11:12], v[9:10]
	v_div_scale_f64 v[11:12], vcc, s[14:15], v[19:20], s[14:15]
	v_fma_f64 v[17:18], -v[3:4], v[9:10], 1.0
	v_fma_f64 v[9:10], v[9:10], v[17:18], v[9:10]
	v_mul_f64 v[17:18], v[11:12], v[9:10]
	v_fma_f64 v[3:4], -v[3:4], v[17:18], v[11:12]
	v_mov_b32_e32 v11, s29
	v_div_fmas_f64 v[3:4], v[3:4], v[9:10], v[17:18]
	v_add_co_u32_e32 v7, vcc, s28, v7
	v_addc_co_u32_e32 v8, vcc, v11, v8, vcc
	v_div_fixup_f64 v[3:4], v[3:4], v[19:20], s[14:15]
	v_add_f64 v[9:10], v[15:16], v[3:4]
	v_fma_f64 v[3:4], s[12:13], v[3:4], v[15:16]
	v_cndmask_b32_e64 v4, v4, v10, s[0:1]
	v_cndmask_b32_e64 v3, v3, v9, s[0:1]
	global_store_dwordx2 v[7:8], v[3:4], off
	s_or_b64 exec, exec, s[8:9]
	v_cmp_gt_u64_e32 vcc, s[4:5], v[5:6]
	s_and_saveexec_b64 s[8:9], vcc
	s_cbranch_execz .LBB82_8
.LBB82_24:                              ;   in Loop: Header=BB82_9 Depth=1
	s_waitcnt vmcnt(0)
	v_div_scale_f64 v[3:4], s[18:19], v[1:2], v[1:2], s[14:15]
	v_lshlrev_b64 v[5:6], 3, v[5:6]
	v_rcp_f64_e32 v[7:8], v[3:4]
	v_fma_f64 v[9:10], -v[3:4], v[7:8], 1.0
	v_fma_f64 v[7:8], v[7:8], v[9:10], v[7:8]
	v_div_scale_f64 v[9:10], vcc, s[14:15], v[1:2], s[14:15]
	v_fma_f64 v[11:12], -v[3:4], v[7:8], 1.0
	v_fma_f64 v[7:8], v[7:8], v[11:12], v[7:8]
	v_mul_f64 v[11:12], v[9:10], v[7:8]
	v_fma_f64 v[3:4], -v[3:4], v[11:12], v[9:10]
	v_div_fmas_f64 v[3:4], v[3:4], v[7:8], v[11:12]
	v_mov_b32_e32 v7, s29
	v_div_fixup_f64 v[1:2], v[3:4], v[1:2], s[14:15]
	v_add_f64 v[3:4], v[13:14], v[1:2]
	v_fma_f64 v[1:2], s[12:13], v[1:2], v[13:14]
	v_cndmask_b32_e64 v1, v1, v3, s[0:1]
	v_add_co_u32_e32 v3, vcc, s28, v5
	v_cndmask_b32_e64 v2, v2, v4, s[0:1]
	v_addc_co_u32_e32 v4, vcc, v7, v6, vcc
	global_store_dwordx2 v[3:4], v[1:2], off
	s_branch .LBB82_8
.LBB82_25:
	s_endpgm
	.section	.rodata,"a",@progbits
	.p2align	6, 0x0
	.amdhsa_kernel _ZN2at6native12_GLOBAL__N_125multi_tensor_apply_kernelINS1_18TensorListMetadataILi3EEENS1_32PointwiseOpScalar0dTensorFunctorIdLi3ELi2ELi0EEEJSt7dividesIdEdEEEvT_T0_DpT1_
		.amdhsa_group_segment_fixed_size 0
		.amdhsa_private_segment_fixed_size 0
		.amdhsa_kernarg_size 3416
		.amdhsa_user_sgpr_count 6
		.amdhsa_user_sgpr_private_segment_buffer 1
		.amdhsa_user_sgpr_dispatch_ptr 0
		.amdhsa_user_sgpr_queue_ptr 0
		.amdhsa_user_sgpr_kernarg_segment_ptr 1
		.amdhsa_user_sgpr_dispatch_id 0
		.amdhsa_user_sgpr_flat_scratch_init 0
		.amdhsa_user_sgpr_private_segment_size 0
		.amdhsa_uses_dynamic_stack 0
		.amdhsa_system_sgpr_private_segment_wavefront_offset 0
		.amdhsa_system_sgpr_workgroup_id_x 1
		.amdhsa_system_sgpr_workgroup_id_y 0
		.amdhsa_system_sgpr_workgroup_id_z 0
		.amdhsa_system_sgpr_workgroup_info 0
		.amdhsa_system_vgpr_workitem_id 0
		.amdhsa_next_free_vgpr 35
		.amdhsa_next_free_sgpr 35
		.amdhsa_reserve_vcc 1
		.amdhsa_reserve_flat_scratch 0
		.amdhsa_float_round_mode_32 0
		.amdhsa_float_round_mode_16_64 0
		.amdhsa_float_denorm_mode_32 3
		.amdhsa_float_denorm_mode_16_64 3
		.amdhsa_dx10_clamp 1
		.amdhsa_ieee_mode 1
		.amdhsa_fp16_overflow 0
		.amdhsa_exception_fp_ieee_invalid_op 0
		.amdhsa_exception_fp_denorm_src 0
		.amdhsa_exception_fp_ieee_div_zero 0
		.amdhsa_exception_fp_ieee_overflow 0
		.amdhsa_exception_fp_ieee_underflow 0
		.amdhsa_exception_fp_ieee_inexact 0
		.amdhsa_exception_int_div_zero 0
	.end_amdhsa_kernel
	.section	.text._ZN2at6native12_GLOBAL__N_125multi_tensor_apply_kernelINS1_18TensorListMetadataILi3EEENS1_32PointwiseOpScalar0dTensorFunctorIdLi3ELi2ELi0EEEJSt7dividesIdEdEEEvT_T0_DpT1_,"axG",@progbits,_ZN2at6native12_GLOBAL__N_125multi_tensor_apply_kernelINS1_18TensorListMetadataILi3EEENS1_32PointwiseOpScalar0dTensorFunctorIdLi3ELi2ELi0EEEJSt7dividesIdEdEEEvT_T0_DpT1_,comdat
.Lfunc_end82:
	.size	_ZN2at6native12_GLOBAL__N_125multi_tensor_apply_kernelINS1_18TensorListMetadataILi3EEENS1_32PointwiseOpScalar0dTensorFunctorIdLi3ELi2ELi0EEEJSt7dividesIdEdEEEvT_T0_DpT1_, .Lfunc_end82-_ZN2at6native12_GLOBAL__N_125multi_tensor_apply_kernelINS1_18TensorListMetadataILi3EEENS1_32PointwiseOpScalar0dTensorFunctorIdLi3ELi2ELi0EEEJSt7dividesIdEdEEEvT_T0_DpT1_
                                        ; -- End function
	.set _ZN2at6native12_GLOBAL__N_125multi_tensor_apply_kernelINS1_18TensorListMetadataILi3EEENS1_32PointwiseOpScalar0dTensorFunctorIdLi3ELi2ELi0EEEJSt7dividesIdEdEEEvT_T0_DpT1_.num_vgpr, 35
	.set _ZN2at6native12_GLOBAL__N_125multi_tensor_apply_kernelINS1_18TensorListMetadataILi3EEENS1_32PointwiseOpScalar0dTensorFunctorIdLi3ELi2ELi0EEEJSt7dividesIdEdEEEvT_T0_DpT1_.num_agpr, 0
	.set _ZN2at6native12_GLOBAL__N_125multi_tensor_apply_kernelINS1_18TensorListMetadataILi3EEENS1_32PointwiseOpScalar0dTensorFunctorIdLi3ELi2ELi0EEEJSt7dividesIdEdEEEvT_T0_DpT1_.numbered_sgpr, 35
	.set _ZN2at6native12_GLOBAL__N_125multi_tensor_apply_kernelINS1_18TensorListMetadataILi3EEENS1_32PointwiseOpScalar0dTensorFunctorIdLi3ELi2ELi0EEEJSt7dividesIdEdEEEvT_T0_DpT1_.num_named_barrier, 0
	.set _ZN2at6native12_GLOBAL__N_125multi_tensor_apply_kernelINS1_18TensorListMetadataILi3EEENS1_32PointwiseOpScalar0dTensorFunctorIdLi3ELi2ELi0EEEJSt7dividesIdEdEEEvT_T0_DpT1_.private_seg_size, 0
	.set _ZN2at6native12_GLOBAL__N_125multi_tensor_apply_kernelINS1_18TensorListMetadataILi3EEENS1_32PointwiseOpScalar0dTensorFunctorIdLi3ELi2ELi0EEEJSt7dividesIdEdEEEvT_T0_DpT1_.uses_vcc, 1
	.set _ZN2at6native12_GLOBAL__N_125multi_tensor_apply_kernelINS1_18TensorListMetadataILi3EEENS1_32PointwiseOpScalar0dTensorFunctorIdLi3ELi2ELi0EEEJSt7dividesIdEdEEEvT_T0_DpT1_.uses_flat_scratch, 0
	.set _ZN2at6native12_GLOBAL__N_125multi_tensor_apply_kernelINS1_18TensorListMetadataILi3EEENS1_32PointwiseOpScalar0dTensorFunctorIdLi3ELi2ELi0EEEJSt7dividesIdEdEEEvT_T0_DpT1_.has_dyn_sized_stack, 0
	.set _ZN2at6native12_GLOBAL__N_125multi_tensor_apply_kernelINS1_18TensorListMetadataILi3EEENS1_32PointwiseOpScalar0dTensorFunctorIdLi3ELi2ELi0EEEJSt7dividesIdEdEEEvT_T0_DpT1_.has_recursion, 0
	.set _ZN2at6native12_GLOBAL__N_125multi_tensor_apply_kernelINS1_18TensorListMetadataILi3EEENS1_32PointwiseOpScalar0dTensorFunctorIdLi3ELi2ELi0EEEJSt7dividesIdEdEEEvT_T0_DpT1_.has_indirect_call, 0
	.section	.AMDGPU.csdata,"",@progbits
; Kernel info:
; codeLenInByte = 2184
; TotalNumSgprs: 39
; NumVgprs: 35
; ScratchSize: 0
; MemoryBound: 0
; FloatMode: 240
; IeeeMode: 1
; LDSByteSize: 0 bytes/workgroup (compile time only)
; SGPRBlocks: 4
; VGPRBlocks: 8
; NumSGPRsForWavesPerEU: 39
; NumVGPRsForWavesPerEU: 35
; Occupancy: 7
; WaveLimiterHint : 0
; COMPUTE_PGM_RSRC2:SCRATCH_EN: 0
; COMPUTE_PGM_RSRC2:USER_SGPR: 6
; COMPUTE_PGM_RSRC2:TRAP_HANDLER: 0
; COMPUTE_PGM_RSRC2:TGID_X_EN: 1
; COMPUTE_PGM_RSRC2:TGID_Y_EN: 0
; COMPUTE_PGM_RSRC2:TGID_Z_EN: 0
; COMPUTE_PGM_RSRC2:TIDIG_COMP_CNT: 0
	.section	.text._ZN2at6native12_GLOBAL__N_125multi_tensor_apply_kernelINS1_18TensorListMetadataILi3EEENS1_32PointwiseOpScalar0dTensorFunctorIfLi3ELi2ELi0EEEJSt7dividesIfEfEEEvT_T0_DpT1_,"axG",@progbits,_ZN2at6native12_GLOBAL__N_125multi_tensor_apply_kernelINS1_18TensorListMetadataILi3EEENS1_32PointwiseOpScalar0dTensorFunctorIfLi3ELi2ELi0EEEJSt7dividesIfEfEEEvT_T0_DpT1_,comdat
	.globl	_ZN2at6native12_GLOBAL__N_125multi_tensor_apply_kernelINS1_18TensorListMetadataILi3EEENS1_32PointwiseOpScalar0dTensorFunctorIfLi3ELi2ELi0EEEJSt7dividesIfEfEEEvT_T0_DpT1_ ; -- Begin function _ZN2at6native12_GLOBAL__N_125multi_tensor_apply_kernelINS1_18TensorListMetadataILi3EEENS1_32PointwiseOpScalar0dTensorFunctorIfLi3ELi2ELi0EEEJSt7dividesIfEfEEEvT_T0_DpT1_
	.p2align	8
	.type	_ZN2at6native12_GLOBAL__N_125multi_tensor_apply_kernelINS1_18TensorListMetadataILi3EEENS1_32PointwiseOpScalar0dTensorFunctorIfLi3ELi2ELi0EEEJSt7dividesIfEfEEEvT_T0_DpT1_,@function
_ZN2at6native12_GLOBAL__N_125multi_tensor_apply_kernelINS1_18TensorListMetadataILi3EEENS1_32PointwiseOpScalar0dTensorFunctorIfLi3ELi2ELi0EEEJSt7dividesIfEfEEEvT_T0_DpT1_: ; @_ZN2at6native12_GLOBAL__N_125multi_tensor_apply_kernelINS1_18TensorListMetadataILi3EEENS1_32PointwiseOpScalar0dTensorFunctorIfLi3ELi2ELi0EEEJSt7dividesIfEfEEEvT_T0_DpT1_
; %bb.0:
	v_mov_b32_e32 v1, s6
	global_load_ubyte v1, v1, s[4:5] offset:1536
	s_add_u32 s0, s4, s6
	s_mul_hi_u32 s1, s6, 3
	s_mul_i32 s6, s6, 3
	s_addc_u32 s2, s5, 0
	s_add_u32 s0, s0, s6
	s_addc_u32 s1, s2, s1
	s_load_dword s6, s[0:1], 0x740
	s_load_dword s16, s[4:5], 0xc4c
	s_mov_b32 s1, 0
	s_mov_b32 s11, s1
	s_waitcnt lgkmcnt(0)
	s_ashr_i32 s7, s6, 31
	s_lshl_b64 s[14:15], s[6:7], 18
	s_waitcnt vmcnt(0)
	v_readfirstlane_b32 s0, v1
	s_lshl_b32 s0, s0, 3
	s_load_dwordx2 s[2:3], s[4:5], s0 offset:0x0
	s_load_dwordx2 s[12:13], s[4:5], s0 offset:0x180
	;; [unrolled: 1-line block ×4, first 2 shown]
	s_waitcnt lgkmcnt(0)
	s_add_u32 s17, s2, s14
	s_addc_u32 s19, s3, s15
	s_and_b32 s0, s17, 15
	s_add_u32 s10, s12, s14
	s_add_u32 s20, s8, s14
	s_addc_u32 s21, s9, s15
	s_or_b32 s10, s20, s10
	s_and_b32 s10, s10, 15
	s_cmp_lg_u32 s10, 0
	s_load_dword s18, s[12:13], 0x0
	s_cselect_b64 s[12:13], -1, 0
	s_lshl_b64 s[6:7], s[6:7], 16
	s_sub_u32 s6, s22, s6
	s_subb_u32 s7, s23, s7
	s_and_b32 s10, s22, 3
	s_or_b64 s[0:1], s[0:1], s[10:11]
	s_cmp_lg_u64 s[0:1], 0
	s_cselect_b64 s[0:1], -1, 0
	s_or_b64 s[0:1], s[12:13], s[0:1]
	s_andn2_b64 vcc, exec, s[0:1]
	s_mov_b64 s[0:1], -1
	s_cbranch_vccz .LBB83_5
; %bb.1:
	v_mov_b32_e32 v1, 0x10000
	v_mov_b32_e32 v2, 0
	v_cmp_lt_i64_e32 vcc, s[6:7], v[1:2]
	v_mov_b32_e32 v2, 0
	s_and_b64 s[0:1], vcc, exec
	s_cselect_b32 s11, s7, 0
	s_cselect_b32 s10, s6, 0x10000
	v_lshlrev_b32_e32 v1, 2, v0
	v_cmp_gt_i64_e32 vcc, s[10:11], v[1:2]
	s_and_saveexec_b64 s[12:13], vcc
	s_cbranch_execz .LBB83_4
; %bb.2:
	s_load_dword s22, s[4:5], 0xc5c
	v_mov_b32_e32 v1, v2
	v_lshlrev_b32_e32 v2, 4, v0
	v_mov_b32_e32 v4, s15
	v_add_co_u32_e32 v3, vcc, s14, v2
	s_waitcnt lgkmcnt(0)
	s_and_b32 s22, s22, 0xffff
	v_mov_b32_e32 v2, v1
	v_cmp_eq_f32_e64 s[0:1], s16, 1.0
	v_addc_co_u32_e32 v4, vcc, 0, v4, vcc
	s_lshl_b32 s23, s22, 4
	s_mov_b64 s[14:15], 0
	v_mov_b32_e32 v5, s3
	v_mov_b32_e32 v6, s9
	;; [unrolled: 1-line block ×3, first 2 shown]
.LBB83_3:                               ; =>This Inner Loop Header: Depth=1
	v_add_co_u32_e32 v15, vcc, s2, v3
	v_addc_co_u32_e32 v16, vcc, v5, v4, vcc
	v_add_co_u32_e32 v11, vcc, s8, v3
	v_addc_co_u32_e32 v12, vcc, v6, v4, vcc
	global_load_dwordx4 v[11:14], v[11:12], off
	s_waitcnt vmcnt(0)
	v_div_scale_f32 v17, s[24:25], v11, v11, s18
	global_load_dwordx4 v[7:10], v[15:16], off
	v_rcp_f32_e32 v18, v17
	v_fma_f32 v19, -v17, v18, 1.0
	v_fmac_f32_e32 v18, v19, v18
	v_div_scale_f32 v19, vcc, s18, v11, s18
	v_mul_f32_e32 v20, v19, v18
	v_fma_f32 v21, -v17, v20, v19
	v_fmac_f32_e32 v20, v21, v18
	v_fma_f32 v17, -v17, v20, v19
	v_div_fmas_f32 v17, v17, v18, v20
	v_div_fixup_f32 v11, v17, v11, s18
	s_waitcnt vmcnt(0)
	v_add_f32_e32 v17, v7, v11
	v_fma_f32 v7, s16, v11, v7
	v_div_scale_f32 v11, s[24:25], v12, v12, s18
	v_cndmask_b32_e64 v7, v7, v17, s[0:1]
	v_rcp_f32_e32 v17, v11
	v_fma_f32 v18, -v11, v17, 1.0
	v_fmac_f32_e32 v17, v18, v17
	v_div_scale_f32 v18, vcc, s18, v12, s18
	v_mul_f32_e32 v19, v18, v17
	v_fma_f32 v20, -v11, v19, v18
	v_fmac_f32_e32 v19, v20, v17
	v_fma_f32 v11, -v11, v19, v18
	v_div_fmas_f32 v11, v11, v17, v19
	v_div_fixup_f32 v11, v11, v12, s18
	v_add_f32_e32 v12, v8, v11
	v_fma_f32 v8, s16, v11, v8
	v_div_scale_f32 v11, s[24:25], v13, v13, s18
	v_cndmask_b32_e64 v8, v8, v12, s[0:1]
	v_rcp_f32_e32 v12, v11
	v_fma_f32 v17, -v11, v12, 1.0
	v_fmac_f32_e32 v12, v17, v12
	v_div_scale_f32 v17, vcc, s18, v13, s18
	v_mul_f32_e32 v18, v17, v12
	v_fma_f32 v19, -v11, v18, v17
	v_fmac_f32_e32 v18, v19, v12
	v_fma_f32 v11, -v11, v18, v17
	v_div_fmas_f32 v11, v11, v12, v18
	v_div_fixup_f32 v11, v11, v13, s18
	v_add_f32_e32 v12, v9, v11
	v_fma_f32 v9, s16, v11, v9
	v_div_scale_f32 v11, s[24:25], v14, v14, s18
	v_cndmask_b32_e64 v9, v9, v12, s[0:1]
	v_rcp_f32_e32 v12, v11
	v_fma_f32 v13, -v11, v12, 1.0
	v_fmac_f32_e32 v12, v13, v12
	v_div_scale_f32 v13, vcc, s18, v14, s18
	v_mul_f32_e32 v17, v13, v12
	v_fma_f32 v18, -v11, v17, v13
	v_fmac_f32_e32 v17, v18, v12
	v_fma_f32 v11, -v11, v17, v13
	v_div_fmas_f32 v11, v11, v12, v17
	v_add_co_u32_e32 v1, vcc, s22, v1
	v_addc_co_u32_e32 v2, vcc, 0, v2, vcc
	v_add_co_u32_e32 v3, vcc, s23, v3
	v_addc_co_u32_e32 v4, vcc, 0, v4, vcc
	v_div_fixup_f32 v11, v11, v14, s18
	v_add_f32_e32 v12, v10, v11
	v_fmac_f32_e32 v10, s16, v11
	v_cndmask_b32_e64 v10, v10, v12, s[0:1]
	global_store_dwordx4 v[15:16], v[7:10], off
	s_nop 0
	v_lshlrev_b64 v[7:8], 2, v[1:2]
	v_cmp_le_i64_e32 vcc, s[10:11], v[7:8]
	s_or_b64 s[14:15], vcc, s[14:15]
	s_andn2_b64 exec, exec, s[14:15]
	s_cbranch_execnz .LBB83_3
.LBB83_4:
	s_or_b64 exec, exec, s[12:13]
	s_mov_b64 s[0:1], 0
.LBB83_5:
	s_andn2_b64 vcc, exec, s[0:1]
	s_cbranch_vccnz .LBB83_25
; %bb.6:
	v_cmp_lt_i64_e64 s[0:1], s[6:7], 1
	s_and_b64 vcc, exec, s[0:1]
	s_cbranch_vccnz .LBB83_25
; %bb.7:
	v_mov_b32_e32 v1, 0x10000
	s_load_dword s4, s[4:5], 0xc5c
	v_mov_b32_e32 v2, 0
	v_cmp_lt_i64_e32 vcc, s[6:7], v[1:2]
	s_and_b64 s[0:1], vcc, exec
	v_cmp_lt_u64_e32 vcc, s[6:7], v[1:2]
	s_cselect_b32 s3, s7, 0
	s_cselect_b32 s2, s6, 0x10000
	s_waitcnt lgkmcnt(0)
	s_and_b32 s10, s4, 0xffff
	s_and_b64 s[4:5], vcc, exec
	v_cmp_eq_f32_e64 s[0:1], s16, 1.0
	s_cselect_b32 s5, s7, 0
	s_cselect_b32 s4, s6, 0x10000
	s_lshl_b32 s11, s10, 1
	s_mul_i32 s12, s10, 3
	s_lshl_b32 s13, s10, 2
	s_mov_b64 s[6:7], 0
	s_branch .LBB83_9
.LBB83_8:                               ;   in Loop: Header=BB83_9 Depth=1
	s_or_b64 exec, exec, s[8:9]
	s_add_u32 s6, s6, s13
	v_mov_b32_e32 v1, s2
	s_addc_u32 s7, s7, 0
	v_mov_b32_e32 v2, s3
	v_cmp_ge_i64_e32 vcc, s[6:7], v[1:2]
	s_cbranch_vccnz .LBB83_25
.LBB83_9:                               ; =>This Inner Loop Header: Depth=1
	v_mov_b32_e32 v1, s7
	v_add_co_u32_e32 v7, vcc, s6, v0
	v_addc_co_u32_e32 v8, vcc, 0, v1, vcc
	v_cmp_gt_i64_e32 vcc, s[2:3], v[7:8]
	s_waitcnt vmcnt(0)
	v_mov_b32_e32 v16, 0
	v_mov_b32_e32 v15, 0
	s_and_saveexec_b64 s[8:9], vcc
	s_cbranch_execz .LBB83_11
; %bb.10:                               ;   in Loop: Header=BB83_9 Depth=1
	v_lshlrev_b64 v[1:2], 2, v[7:8]
	v_mov_b32_e32 v4, s19
	v_add_co_u32_e32 v3, vcc, s17, v1
	v_addc_co_u32_e32 v4, vcc, v4, v2, vcc
	v_mov_b32_e32 v5, s21
	v_add_co_u32_e32 v1, vcc, s20, v1
	v_addc_co_u32_e32 v2, vcc, v5, v2, vcc
	global_load_dword v15, v[3:4], off
	global_load_dword v16, v[1:2], off
.LBB83_11:                              ;   in Loop: Header=BB83_9 Depth=1
	s_or_b64 exec, exec, s[8:9]
	v_add_co_u32_e32 v5, vcc, s10, v7
	v_addc_co_u32_e32 v6, vcc, 0, v8, vcc
	v_cmp_gt_i64_e32 vcc, s[2:3], v[5:6]
	v_mov_b32_e32 v9, 0
	v_mov_b32_e32 v14, 0
	;; [unrolled: 1-line block ×3, first 2 shown]
	s_and_saveexec_b64 s[8:9], vcc
	s_cbranch_execz .LBB83_13
; %bb.12:                               ;   in Loop: Header=BB83_9 Depth=1
	v_lshlrev_b64 v[1:2], 2, v[5:6]
	v_mov_b32_e32 v4, s19
	v_add_co_u32_e32 v3, vcc, s17, v1
	v_addc_co_u32_e32 v4, vcc, v4, v2, vcc
	v_mov_b32_e32 v10, s21
	v_add_co_u32_e32 v1, vcc, s20, v1
	v_addc_co_u32_e32 v2, vcc, v10, v2, vcc
	global_load_dword v13, v[3:4], off
	global_load_dword v14, v[1:2], off
.LBB83_13:                              ;   in Loop: Header=BB83_9 Depth=1
	s_or_b64 exec, exec, s[8:9]
	v_add_co_u32_e32 v3, vcc, s11, v7
	v_addc_co_u32_e32 v4, vcc, 0, v8, vcc
	v_cmp_gt_i64_e32 vcc, s[2:3], v[3:4]
	v_mov_b32_e32 v12, 0
	s_and_saveexec_b64 s[8:9], vcc
	s_cbranch_execz .LBB83_15
; %bb.14:                               ;   in Loop: Header=BB83_9 Depth=1
	v_lshlrev_b64 v[1:2], 2, v[3:4]
	v_mov_b32_e32 v9, s19
	v_add_co_u32_e32 v10, vcc, s17, v1
	v_addc_co_u32_e32 v11, vcc, v9, v2, vcc
	v_mov_b32_e32 v9, s21
	v_add_co_u32_e32 v1, vcc, s20, v1
	v_addc_co_u32_e32 v2, vcc, v9, v2, vcc
	global_load_dword v12, v[10:11], off
	global_load_dword v9, v[1:2], off
.LBB83_15:                              ;   in Loop: Header=BB83_9 Depth=1
	s_or_b64 exec, exec, s[8:9]
	v_add_co_u32_e32 v1, vcc, s12, v7
	v_addc_co_u32_e32 v2, vcc, 0, v8, vcc
	v_cmp_gt_i64_e32 vcc, s[2:3], v[1:2]
	v_mov_b32_e32 v11, 0
	v_mov_b32_e32 v10, 0
	s_and_saveexec_b64 s[8:9], vcc
	s_cbranch_execnz .LBB83_20
; %bb.16:                               ;   in Loop: Header=BB83_9 Depth=1
	s_or_b64 exec, exec, s[8:9]
	v_cmp_gt_u64_e32 vcc, s[4:5], v[7:8]
	s_and_saveexec_b64 s[8:9], vcc
	s_cbranch_execnz .LBB83_21
.LBB83_17:                              ;   in Loop: Header=BB83_9 Depth=1
	s_or_b64 exec, exec, s[8:9]
	v_cmp_gt_u64_e32 vcc, s[4:5], v[5:6]
	s_and_saveexec_b64 s[8:9], vcc
	s_cbranch_execnz .LBB83_22
.LBB83_18:                              ;   in Loop: Header=BB83_9 Depth=1
	s_or_b64 exec, exec, s[8:9]
	v_cmp_gt_u64_e32 vcc, s[4:5], v[3:4]
	s_and_saveexec_b64 s[8:9], vcc
	s_cbranch_execnz .LBB83_23
.LBB83_19:                              ;   in Loop: Header=BB83_9 Depth=1
	s_or_b64 exec, exec, s[8:9]
	v_cmp_gt_u64_e32 vcc, s[4:5], v[1:2]
	s_and_saveexec_b64 s[8:9], vcc
	s_cbranch_execz .LBB83_8
	s_branch .LBB83_24
.LBB83_20:                              ;   in Loop: Header=BB83_9 Depth=1
	v_lshlrev_b64 v[10:11], 2, v[1:2]
	v_mov_b32_e32 v18, s19
	v_add_co_u32_e32 v17, vcc, s17, v10
	v_addc_co_u32_e32 v18, vcc, v18, v11, vcc
	v_mov_b32_e32 v20, s21
	v_add_co_u32_e32 v19, vcc, s20, v10
	v_addc_co_u32_e32 v20, vcc, v20, v11, vcc
	global_load_dword v10, v[17:18], off
	global_load_dword v11, v[19:20], off
	s_or_b64 exec, exec, s[8:9]
	v_cmp_gt_u64_e32 vcc, s[4:5], v[7:8]
	s_and_saveexec_b64 s[8:9], vcc
	s_cbranch_execz .LBB83_17
.LBB83_21:                              ;   in Loop: Header=BB83_9 Depth=1
	s_waitcnt vmcnt(0)
	v_div_scale_f32 v17, s[14:15], v16, v16, s18
	v_div_scale_f32 v18, vcc, s18, v16, s18
	v_lshlrev_b64 v[7:8], 2, v[7:8]
	v_rcp_f32_e32 v19, v17
	v_fma_f32 v20, -v17, v19, 1.0
	v_fmac_f32_e32 v19, v20, v19
	v_mul_f32_e32 v20, v18, v19
	v_fma_f32 v21, -v17, v20, v18
	v_fmac_f32_e32 v20, v21, v19
	v_fma_f32 v17, -v17, v20, v18
	v_div_fmas_f32 v17, v17, v19, v20
	v_mov_b32_e32 v18, s19
	v_add_co_u32_e32 v7, vcc, s17, v7
	v_addc_co_u32_e32 v8, vcc, v18, v8, vcc
	v_div_fixup_f32 v16, v17, v16, s18
	v_add_f32_e32 v17, v15, v16
	v_fmac_f32_e32 v15, s16, v16
	v_cndmask_b32_e64 v15, v15, v17, s[0:1]
	global_store_dword v[7:8], v15, off
	s_or_b64 exec, exec, s[8:9]
	v_cmp_gt_u64_e32 vcc, s[4:5], v[5:6]
	s_and_saveexec_b64 s[8:9], vcc
	s_cbranch_execz .LBB83_18
.LBB83_22:                              ;   in Loop: Header=BB83_9 Depth=1
	s_waitcnt vmcnt(0)
	v_div_scale_f32 v7, s[14:15], v14, v14, s18
	v_div_scale_f32 v8, vcc, s18, v14, s18
	v_lshlrev_b64 v[5:6], 2, v[5:6]
	v_rcp_f32_e32 v15, v7
	v_fma_f32 v16, -v7, v15, 1.0
	v_fmac_f32_e32 v15, v16, v15
	v_mul_f32_e32 v16, v8, v15
	v_fma_f32 v17, -v7, v16, v8
	v_fmac_f32_e32 v16, v17, v15
	v_fma_f32 v7, -v7, v16, v8
	v_div_fmas_f32 v7, v7, v15, v16
	v_mov_b32_e32 v8, s19
	v_add_co_u32_e32 v5, vcc, s17, v5
	v_addc_co_u32_e32 v6, vcc, v8, v6, vcc
	v_div_fixup_f32 v7, v7, v14, s18
	v_add_f32_e32 v14, v13, v7
	v_fmac_f32_e32 v13, s16, v7
	v_cndmask_b32_e64 v7, v13, v14, s[0:1]
	global_store_dword v[5:6], v7, off
	s_or_b64 exec, exec, s[8:9]
	v_cmp_gt_u64_e32 vcc, s[4:5], v[3:4]
	s_and_saveexec_b64 s[8:9], vcc
	s_cbranch_execz .LBB83_19
.LBB83_23:                              ;   in Loop: Header=BB83_9 Depth=1
	s_waitcnt vmcnt(0)
	v_div_scale_f32 v5, s[14:15], v9, v9, s18
	v_div_scale_f32 v6, vcc, s18, v9, s18
	v_lshlrev_b64 v[3:4], 2, v[3:4]
	v_rcp_f32_e32 v7, v5
	v_fma_f32 v8, -v5, v7, 1.0
	v_fmac_f32_e32 v7, v8, v7
	v_mul_f32_e32 v8, v6, v7
	v_fma_f32 v13, -v5, v8, v6
	v_fmac_f32_e32 v8, v13, v7
	v_fma_f32 v5, -v5, v8, v6
	v_div_fmas_f32 v5, v5, v7, v8
	v_mov_b32_e32 v6, s19
	v_add_co_u32_e32 v3, vcc, s17, v3
	v_addc_co_u32_e32 v4, vcc, v6, v4, vcc
	v_div_fixup_f32 v5, v5, v9, s18
	v_add_f32_e32 v7, v12, v5
	v_fmac_f32_e32 v12, s16, v5
	v_cndmask_b32_e64 v5, v12, v7, s[0:1]
	global_store_dword v[3:4], v5, off
	s_or_b64 exec, exec, s[8:9]
	v_cmp_gt_u64_e32 vcc, s[4:5], v[1:2]
	s_and_saveexec_b64 s[8:9], vcc
	s_cbranch_execz .LBB83_8
.LBB83_24:                              ;   in Loop: Header=BB83_9 Depth=1
	s_waitcnt vmcnt(0)
	v_div_scale_f32 v3, s[14:15], v11, v11, s18
	v_div_scale_f32 v4, vcc, s18, v11, s18
	v_lshlrev_b64 v[1:2], 2, v[1:2]
	v_rcp_f32_e32 v5, v3
	v_fma_f32 v6, -v3, v5, 1.0
	v_fmac_f32_e32 v5, v6, v5
	v_mul_f32_e32 v6, v4, v5
	v_fma_f32 v7, -v3, v6, v4
	v_fmac_f32_e32 v6, v7, v5
	v_fma_f32 v3, -v3, v6, v4
	v_div_fmas_f32 v3, v3, v5, v6
	v_mov_b32_e32 v4, s19
	v_add_co_u32_e32 v1, vcc, s17, v1
	v_addc_co_u32_e32 v2, vcc, v4, v2, vcc
	v_div_fixup_f32 v3, v3, v11, s18
	v_add_f32_e32 v5, v10, v3
	v_fmac_f32_e32 v10, s16, v3
	v_cndmask_b32_e64 v3, v10, v5, s[0:1]
	global_store_dword v[1:2], v3, off
	s_branch .LBB83_8
.LBB83_25:
	s_endpgm
	.section	.rodata,"a",@progbits
	.p2align	6, 0x0
	.amdhsa_kernel _ZN2at6native12_GLOBAL__N_125multi_tensor_apply_kernelINS1_18TensorListMetadataILi3EEENS1_32PointwiseOpScalar0dTensorFunctorIfLi3ELi2ELi0EEEJSt7dividesIfEfEEEvT_T0_DpT1_
		.amdhsa_group_segment_fixed_size 0
		.amdhsa_private_segment_fixed_size 0
		.amdhsa_kernarg_size 3408
		.amdhsa_user_sgpr_count 6
		.amdhsa_user_sgpr_private_segment_buffer 1
		.amdhsa_user_sgpr_dispatch_ptr 0
		.amdhsa_user_sgpr_queue_ptr 0
		.amdhsa_user_sgpr_kernarg_segment_ptr 1
		.amdhsa_user_sgpr_dispatch_id 0
		.amdhsa_user_sgpr_flat_scratch_init 0
		.amdhsa_user_sgpr_private_segment_size 0
		.amdhsa_uses_dynamic_stack 0
		.amdhsa_system_sgpr_private_segment_wavefront_offset 0
		.amdhsa_system_sgpr_workgroup_id_x 1
		.amdhsa_system_sgpr_workgroup_id_y 0
		.amdhsa_system_sgpr_workgroup_id_z 0
		.amdhsa_system_sgpr_workgroup_info 0
		.amdhsa_system_vgpr_workitem_id 0
		.amdhsa_next_free_vgpr 22
		.amdhsa_next_free_sgpr 26
		.amdhsa_reserve_vcc 1
		.amdhsa_reserve_flat_scratch 0
		.amdhsa_float_round_mode_32 0
		.amdhsa_float_round_mode_16_64 0
		.amdhsa_float_denorm_mode_32 3
		.amdhsa_float_denorm_mode_16_64 3
		.amdhsa_dx10_clamp 1
		.amdhsa_ieee_mode 1
		.amdhsa_fp16_overflow 0
		.amdhsa_exception_fp_ieee_invalid_op 0
		.amdhsa_exception_fp_denorm_src 0
		.amdhsa_exception_fp_ieee_div_zero 0
		.amdhsa_exception_fp_ieee_overflow 0
		.amdhsa_exception_fp_ieee_underflow 0
		.amdhsa_exception_fp_ieee_inexact 0
		.amdhsa_exception_int_div_zero 0
	.end_amdhsa_kernel
	.section	.text._ZN2at6native12_GLOBAL__N_125multi_tensor_apply_kernelINS1_18TensorListMetadataILi3EEENS1_32PointwiseOpScalar0dTensorFunctorIfLi3ELi2ELi0EEEJSt7dividesIfEfEEEvT_T0_DpT1_,"axG",@progbits,_ZN2at6native12_GLOBAL__N_125multi_tensor_apply_kernelINS1_18TensorListMetadataILi3EEENS1_32PointwiseOpScalar0dTensorFunctorIfLi3ELi2ELi0EEEJSt7dividesIfEfEEEvT_T0_DpT1_,comdat
.Lfunc_end83:
	.size	_ZN2at6native12_GLOBAL__N_125multi_tensor_apply_kernelINS1_18TensorListMetadataILi3EEENS1_32PointwiseOpScalar0dTensorFunctorIfLi3ELi2ELi0EEEJSt7dividesIfEfEEEvT_T0_DpT1_, .Lfunc_end83-_ZN2at6native12_GLOBAL__N_125multi_tensor_apply_kernelINS1_18TensorListMetadataILi3EEENS1_32PointwiseOpScalar0dTensorFunctorIfLi3ELi2ELi0EEEJSt7dividesIfEfEEEvT_T0_DpT1_
                                        ; -- End function
	.set _ZN2at6native12_GLOBAL__N_125multi_tensor_apply_kernelINS1_18TensorListMetadataILi3EEENS1_32PointwiseOpScalar0dTensorFunctorIfLi3ELi2ELi0EEEJSt7dividesIfEfEEEvT_T0_DpT1_.num_vgpr, 22
	.set _ZN2at6native12_GLOBAL__N_125multi_tensor_apply_kernelINS1_18TensorListMetadataILi3EEENS1_32PointwiseOpScalar0dTensorFunctorIfLi3ELi2ELi0EEEJSt7dividesIfEfEEEvT_T0_DpT1_.num_agpr, 0
	.set _ZN2at6native12_GLOBAL__N_125multi_tensor_apply_kernelINS1_18TensorListMetadataILi3EEENS1_32PointwiseOpScalar0dTensorFunctorIfLi3ELi2ELi0EEEJSt7dividesIfEfEEEvT_T0_DpT1_.numbered_sgpr, 26
	.set _ZN2at6native12_GLOBAL__N_125multi_tensor_apply_kernelINS1_18TensorListMetadataILi3EEENS1_32PointwiseOpScalar0dTensorFunctorIfLi3ELi2ELi0EEEJSt7dividesIfEfEEEvT_T0_DpT1_.num_named_barrier, 0
	.set _ZN2at6native12_GLOBAL__N_125multi_tensor_apply_kernelINS1_18TensorListMetadataILi3EEENS1_32PointwiseOpScalar0dTensorFunctorIfLi3ELi2ELi0EEEJSt7dividesIfEfEEEvT_T0_DpT1_.private_seg_size, 0
	.set _ZN2at6native12_GLOBAL__N_125multi_tensor_apply_kernelINS1_18TensorListMetadataILi3EEENS1_32PointwiseOpScalar0dTensorFunctorIfLi3ELi2ELi0EEEJSt7dividesIfEfEEEvT_T0_DpT1_.uses_vcc, 1
	.set _ZN2at6native12_GLOBAL__N_125multi_tensor_apply_kernelINS1_18TensorListMetadataILi3EEENS1_32PointwiseOpScalar0dTensorFunctorIfLi3ELi2ELi0EEEJSt7dividesIfEfEEEvT_T0_DpT1_.uses_flat_scratch, 0
	.set _ZN2at6native12_GLOBAL__N_125multi_tensor_apply_kernelINS1_18TensorListMetadataILi3EEENS1_32PointwiseOpScalar0dTensorFunctorIfLi3ELi2ELi0EEEJSt7dividesIfEfEEEvT_T0_DpT1_.has_dyn_sized_stack, 0
	.set _ZN2at6native12_GLOBAL__N_125multi_tensor_apply_kernelINS1_18TensorListMetadataILi3EEENS1_32PointwiseOpScalar0dTensorFunctorIfLi3ELi2ELi0EEEJSt7dividesIfEfEEEvT_T0_DpT1_.has_recursion, 0
	.set _ZN2at6native12_GLOBAL__N_125multi_tensor_apply_kernelINS1_18TensorListMetadataILi3EEENS1_32PointwiseOpScalar0dTensorFunctorIfLi3ELi2ELi0EEEJSt7dividesIfEfEEEvT_T0_DpT1_.has_indirect_call, 0
	.section	.AMDGPU.csdata,"",@progbits
; Kernel info:
; codeLenInByte = 1896
; TotalNumSgprs: 30
; NumVgprs: 22
; ScratchSize: 0
; MemoryBound: 0
; FloatMode: 240
; IeeeMode: 1
; LDSByteSize: 0 bytes/workgroup (compile time only)
; SGPRBlocks: 3
; VGPRBlocks: 5
; NumSGPRsForWavesPerEU: 30
; NumVGPRsForWavesPerEU: 22
; Occupancy: 10
; WaveLimiterHint : 0
; COMPUTE_PGM_RSRC2:SCRATCH_EN: 0
; COMPUTE_PGM_RSRC2:USER_SGPR: 6
; COMPUTE_PGM_RSRC2:TRAP_HANDLER: 0
; COMPUTE_PGM_RSRC2:TGID_X_EN: 1
; COMPUTE_PGM_RSRC2:TGID_Y_EN: 0
; COMPUTE_PGM_RSRC2:TGID_Z_EN: 0
; COMPUTE_PGM_RSRC2:TIDIG_COMP_CNT: 0
	.section	.text._ZN2at6native12_GLOBAL__N_125multi_tensor_apply_kernelINS1_18TensorListMetadataILi3EEENS1_32PointwiseOpScalar0dTensorFunctorIN3c107complexIdEELi3ELi2ELi0EEEJSt7dividesIS8_ES8_EEEvT_T0_DpT1_,"axG",@progbits,_ZN2at6native12_GLOBAL__N_125multi_tensor_apply_kernelINS1_18TensorListMetadataILi3EEENS1_32PointwiseOpScalar0dTensorFunctorIN3c107complexIdEELi3ELi2ELi0EEEJSt7dividesIS8_ES8_EEEvT_T0_DpT1_,comdat
	.globl	_ZN2at6native12_GLOBAL__N_125multi_tensor_apply_kernelINS1_18TensorListMetadataILi3EEENS1_32PointwiseOpScalar0dTensorFunctorIN3c107complexIdEELi3ELi2ELi0EEEJSt7dividesIS8_ES8_EEEvT_T0_DpT1_ ; -- Begin function _ZN2at6native12_GLOBAL__N_125multi_tensor_apply_kernelINS1_18TensorListMetadataILi3EEENS1_32PointwiseOpScalar0dTensorFunctorIN3c107complexIdEELi3ELi2ELi0EEEJSt7dividesIS8_ES8_EEEvT_T0_DpT1_
	.p2align	8
	.type	_ZN2at6native12_GLOBAL__N_125multi_tensor_apply_kernelINS1_18TensorListMetadataILi3EEENS1_32PointwiseOpScalar0dTensorFunctorIN3c107complexIdEELi3ELi2ELi0EEEJSt7dividesIS8_ES8_EEEvT_T0_DpT1_,@function
_ZN2at6native12_GLOBAL__N_125multi_tensor_apply_kernelINS1_18TensorListMetadataILi3EEENS1_32PointwiseOpScalar0dTensorFunctorIN3c107complexIdEELi3ELi2ELi0EEEJSt7dividesIS8_ES8_EEEvT_T0_DpT1_: ; @_ZN2at6native12_GLOBAL__N_125multi_tensor_apply_kernelINS1_18TensorListMetadataILi3EEENS1_32PointwiseOpScalar0dTensorFunctorIN3c107complexIdEELi3ELi2ELi0EEEJSt7dividesIS8_ES8_EEEvT_T0_DpT1_
; %bb.0:
	v_mov_b32_e32 v1, s6
	global_load_ubyte v1, v1, s[4:5] offset:1536
	s_add_u32 s0, s4, s6
	s_mul_hi_u32 s1, s6, 3
	s_mul_i32 s6, s6, 3
	s_addc_u32 s2, s5, 0
	s_add_u32 s0, s0, s6
	s_addc_u32 s1, s2, s1
	s_load_dword s2, s[0:1], 0x740
	s_load_dwordx4 s[8:11], s[4:5], 0xc50
	s_mov_b32 s1, 0
	s_mov_b32 s7, s1
	s_waitcnt lgkmcnt(0)
	s_ashr_i32 s3, s2, 31
	s_lshl_b64 s[20:21], s[2:3], 20
	s_waitcnt vmcnt(0)
	v_lshlrev_b32_e32 v1, 3, v1
	v_readfirstlane_b32 s0, v1
	s_load_dwordx2 s[16:17], s[4:5], s0 offset:0x0
	s_load_dwordx2 s[18:19], s[4:5], s0 offset:0x180
	;; [unrolled: 1-line block ×4, first 2 shown]
	s_waitcnt lgkmcnt(0)
	s_add_u32 s16, s16, s20
	s_addc_u32 s17, s17, s21
	s_add_u32 s0, s18, s20
	s_load_dwordx4 s[12:15], s[18:19], 0x0
	s_add_u32 s18, s24, s20
	s_addc_u32 s19, s25, s21
	s_or_b32 s6, s18, s0
	s_lshl_b64 s[2:3], s[2:3], 16
	s_and_b32 s0, s16, 63
	s_and_b32 s6, s6, 63
	s_cmp_lg_u32 s6, 0
	s_cselect_b64 s[20:21], -1, 0
	s_sub_u32 s24, s22, s2
	s_subb_u32 s25, s23, s3
	s_and_b32 s6, s22, 3
	s_or_b64 s[0:1], s[0:1], s[6:7]
	s_cmp_lg_u64 s[0:1], 0
	s_cselect_b64 s[0:1], -1, 0
	s_or_b64 s[0:1], s[20:21], s[0:1]
	s_andn2_b64 vcc, exec, s[0:1]
	s_mov_b64 s[0:1], -1
	s_cbranch_vccz .LBB84_85
; %bb.1:
	v_mov_b32_e32 v1, 0x10000
	v_mov_b32_e32 v2, 0
	v_cmp_lt_i64_e32 vcc, s[24:25], v[1:2]
	v_mov_b32_e32 v2, 0
	s_and_b64 s[0:1], vcc, exec
	s_cselect_b32 s21, s25, 0
	s_cselect_b32 s20, s24, 0x10000
	v_lshlrev_b32_e32 v1, 2, v0
	v_cmp_gt_i64_e32 vcc, s[20:21], v[1:2]
	s_and_saveexec_b64 s[22:23], vcc
	s_cbranch_execz .LBB84_84
; %bb.2:
	v_cmp_neq_f64_e64 s[0:1], s[8:9], 1.0
	v_cmp_neq_f64_e64 s[2:3], s[10:11], 0
	s_load_dword s6, s[4:5], 0xc6c
	v_mov_b32_e32 v1, v2
	v_mov_b32_e32 v34, v1
	s_mov_b64 s[26:27], 0
	v_lshlrev_b32_e32 v45, 6, v0
	s_waitcnt lgkmcnt(0)
	s_and_b32 s33, s6, 0xffff
	s_lshl_b32 s40, s33, 6
	s_or_b64 s[28:29], s[0:1], s[2:3]
	s_mov_b64 s[30:31], s[16:17]
	s_mov_b64 s[34:35], s[18:19]
	v_mov_b32_e32 v33, v0
	s_branch .LBB84_5
.LBB84_3:                               ;   in Loop: Header=BB84_5 Depth=1
	s_or_b64 exec, exec, s[0:1]
.LBB84_4:                               ;   in Loop: Header=BB84_5 Depth=1
	s_waitcnt vmcnt(0)
	v_add_f64 v[15:16], v[15:16], v[39:40]
	v_add_f64 v[13:14], v[13:14], v[37:38]
	;; [unrolled: 1-line block ×8, first 2 shown]
	v_add_co_u32_e32 v33, vcc, s33, v33
	v_addc_co_u32_e32 v34, vcc, 0, v34, vcc
	global_store_dwordx4 v[35:36], v[13:16], off
	global_store_dwordx4 v[35:36], v[9:12], off offset:16
	global_store_dwordx4 v[35:36], v[5:8], off offset:32
	s_add_u32 s34, s34, s40
	v_lshlrev_b64 v[5:6], 2, v[33:34]
	s_addc_u32 s35, s35, 0
	s_add_u32 s30, s30, s40
	v_cmp_le_i64_e32 vcc, s[20:21], v[5:6]
	s_addc_u32 s31, s31, 0
	s_or_b64 s[26:27], vcc, s[26:27]
	global_store_dwordx4 v[35:36], v[1:4], off offset:48
	s_andn2_b64 exec, exec, s[26:27]
	s_cbranch_execz .LBB84_84
.LBB84_5:                               ; =>This Inner Loop Header: Depth=1
	v_mov_b32_e32 v1, s35
	v_add_co_u32_e32 v37, vcc, s34, v45
	v_addc_co_u32_e32 v38, vcc, 0, v1, vcc
	global_load_dwordx4 v[29:32], v[37:38], off
	v_mov_b32_e32 v1, s31
	v_add_co_u32_e32 v35, vcc, s30, v45
	v_addc_co_u32_e32 v36, vcc, 0, v1, vcc
	global_load_dwordx4 v[25:28], v[37:38], off offset:16
	global_load_dwordx4 v[17:20], v[37:38], off offset:48
	;; [unrolled: 1-line block ×6, first 2 shown]
	global_load_dwordx4 v[13:16], v[35:36], off
	s_mov_b64 s[2:3], -1
                                        ; implicit-def: $vgpr39_vgpr40
	s_waitcnt vmcnt(7)
	v_cmp_gt_f64_e32 vcc, 0, v[29:30]
	v_xor_b32_e32 v37, 0x80000000, v30
	v_xor_b32_e32 v38, 0x80000000, v32
	v_mov_b32_e32 v41, v29
	v_mov_b32_e32 v43, v31
	v_cndmask_b32_e32 v42, v30, v37, vcc
	v_cmp_gt_f64_e32 vcc, 0, v[31:32]
	v_cndmask_b32_e32 v44, v32, v38, vcc
	v_cmp_ge_f64_e64 s[0:1], v[41:42], v[43:44]
	s_and_b64 vcc, exec, s[28:29]
                                        ; implicit-def: $vgpr37_vgpr38
	s_cbranch_vccz .LBB84_15
; %bb.6:                                ;   in Loop: Header=BB84_5 Depth=1
                                        ; implicit-def: $vgpr37_vgpr38
                                        ; implicit-def: $vgpr39_vgpr40
	s_and_saveexec_b64 s[2:3], s[0:1]
	s_xor_b64 s[6:7], exec, s[2:3]
	s_cbranch_execz .LBB84_12
; %bb.7:                                ;   in Loop: Header=BB84_5 Depth=1
	v_cmp_neq_f64_e32 vcc, 0, v[29:30]
	v_cmp_neq_f64_e64 s[2:3], 0, v[31:32]
                                        ; implicit-def: $vgpr37_vgpr38
                                        ; implicit-def: $vgpr39_vgpr40
	s_or_b64 s[2:3], vcc, s[2:3]
	s_and_saveexec_b64 s[36:37], s[2:3]
	s_xor_b64 s[2:3], exec, s[36:37]
	s_cbranch_execz .LBB84_9
; %bb.8:                                ;   in Loop: Header=BB84_5 Depth=1
	v_div_scale_f64 v[37:38], s[36:37], v[29:30], v[29:30], v[31:32]
	v_rcp_f64_e32 v[39:40], v[37:38]
	v_fma_f64 v[46:47], -v[37:38], v[39:40], 1.0
	v_fma_f64 v[39:40], v[39:40], v[46:47], v[39:40]
	v_div_scale_f64 v[46:47], vcc, v[31:32], v[29:30], v[31:32]
	v_fma_f64 v[48:49], -v[37:38], v[39:40], 1.0
	v_fma_f64 v[39:40], v[39:40], v[48:49], v[39:40]
	v_mul_f64 v[48:49], v[46:47], v[39:40]
	v_fma_f64 v[37:38], -v[37:38], v[48:49], v[46:47]
	v_div_fmas_f64 v[37:38], v[37:38], v[39:40], v[48:49]
	v_div_fixup_f64 v[37:38], v[37:38], v[29:30], v[31:32]
	v_fma_f64 v[39:40], v[31:32], v[37:38], v[29:30]
	v_div_scale_f64 v[46:47], s[36:37], v[39:40], v[39:40], 1.0
	v_rcp_f64_e32 v[48:49], v[46:47]
	v_fma_f64 v[50:51], -v[46:47], v[48:49], 1.0
	v_fma_f64 v[48:49], v[48:49], v[50:51], v[48:49]
	v_div_scale_f64 v[50:51], vcc, 1.0, v[39:40], 1.0
	v_fma_f64 v[52:53], -v[46:47], v[48:49], 1.0
	v_fma_f64 v[48:49], v[48:49], v[52:53], v[48:49]
	v_mul_f64 v[52:53], v[50:51], v[48:49]
	v_fma_f64 v[46:47], -v[46:47], v[52:53], v[50:51]
	v_mov_b32_e32 v51, s15
	v_mov_b32_e32 v50, s14
	v_div_fmas_f64 v[46:47], v[46:47], v[48:49], v[52:53]
	v_mov_b32_e32 v49, s13
	v_mov_b32_e32 v48, s12
	v_fma_f64 v[48:49], s[14:15], v[37:38], v[48:49]
	v_fma_f64 v[37:38], -s[12:13], v[37:38], v[50:51]
	v_div_fixup_f64 v[46:47], v[46:47], v[39:40], 1.0
	v_mul_f64 v[39:40], v[48:49], v[46:47]
	v_mul_f64 v[37:38], v[37:38], v[46:47]
.LBB84_9:                               ;   in Loop: Header=BB84_5 Depth=1
	s_andn2_saveexec_b64 s[36:37], s[2:3]
	s_cbranch_execz .LBB84_11
; %bb.10:                               ;   in Loop: Header=BB84_5 Depth=1
	v_div_scale_f64 v[37:38], s[2:3], v[41:42], v[41:42], s[12:13]
	v_div_scale_f64 v[39:40], s[2:3], v[43:44], v[43:44], s[14:15]
	;; [unrolled: 1-line block ×3, first 2 shown]
	v_rcp_f64_e32 v[46:47], v[37:38]
	v_rcp_f64_e32 v[48:49], v[39:40]
	v_fma_f64 v[50:51], -v[37:38], v[46:47], 1.0
	v_fma_f64 v[52:53], -v[39:40], v[48:49], 1.0
	v_fma_f64 v[46:47], v[46:47], v[50:51], v[46:47]
	v_div_scale_f64 v[50:51], vcc, s[12:13], v[41:42], s[12:13]
	v_fma_f64 v[48:49], v[48:49], v[52:53], v[48:49]
	v_fma_f64 v[52:53], -v[37:38], v[46:47], 1.0
	v_fma_f64 v[56:57], -v[39:40], v[48:49], 1.0
	v_fma_f64 v[46:47], v[46:47], v[52:53], v[46:47]
	v_fma_f64 v[48:49], v[48:49], v[56:57], v[48:49]
	v_mul_f64 v[52:53], v[50:51], v[46:47]
	v_mul_f64 v[56:57], v[54:55], v[48:49]
	v_fma_f64 v[37:38], -v[37:38], v[52:53], v[50:51]
	v_fma_f64 v[39:40], -v[39:40], v[56:57], v[54:55]
	v_div_fmas_f64 v[37:38], v[37:38], v[46:47], v[52:53]
	s_mov_b64 vcc, s[2:3]
	v_div_fmas_f64 v[46:47], v[39:40], v[48:49], v[56:57]
	v_div_fixup_f64 v[39:40], v[37:38], v[41:42], s[12:13]
	v_div_fixup_f64 v[37:38], v[46:47], v[43:44], s[14:15]
.LBB84_11:                              ;   in Loop: Header=BB84_5 Depth=1
	s_or_b64 exec, exec, s[36:37]
.LBB84_12:                              ;   in Loop: Header=BB84_5 Depth=1
	s_andn2_saveexec_b64 s[2:3], s[6:7]
	s_cbranch_execz .LBB84_14
; %bb.13:                               ;   in Loop: Header=BB84_5 Depth=1
	v_div_scale_f64 v[37:38], s[6:7], v[31:32], v[31:32], v[29:30]
	v_rcp_f64_e32 v[39:40], v[37:38]
	v_fma_f64 v[46:47], -v[37:38], v[39:40], 1.0
	v_fma_f64 v[39:40], v[39:40], v[46:47], v[39:40]
	v_div_scale_f64 v[46:47], vcc, v[29:30], v[31:32], v[29:30]
	v_fma_f64 v[48:49], -v[37:38], v[39:40], 1.0
	v_fma_f64 v[39:40], v[39:40], v[48:49], v[39:40]
	v_mul_f64 v[48:49], v[46:47], v[39:40]
	v_fma_f64 v[37:38], -v[37:38], v[48:49], v[46:47]
	v_div_fmas_f64 v[37:38], v[37:38], v[39:40], v[48:49]
	v_div_fixup_f64 v[37:38], v[37:38], v[31:32], v[29:30]
	v_fma_f64 v[39:40], v[29:30], v[37:38], v[31:32]
	v_div_scale_f64 v[46:47], s[6:7], v[39:40], v[39:40], 1.0
	v_rcp_f64_e32 v[48:49], v[46:47]
	v_fma_f64 v[50:51], -v[46:47], v[48:49], 1.0
	v_fma_f64 v[48:49], v[48:49], v[50:51], v[48:49]
	v_div_scale_f64 v[50:51], vcc, 1.0, v[39:40], 1.0
	v_fma_f64 v[52:53], -v[46:47], v[48:49], 1.0
	v_fma_f64 v[48:49], v[48:49], v[52:53], v[48:49]
	v_mul_f64 v[52:53], v[50:51], v[48:49]
	v_fma_f64 v[46:47], -v[46:47], v[52:53], v[50:51]
	v_mov_b32_e32 v51, s13
	v_mov_b32_e32 v50, s12
	v_div_fmas_f64 v[46:47], v[46:47], v[48:49], v[52:53]
	v_mov_b32_e32 v49, s15
	v_mov_b32_e32 v48, s14
	v_fma_f64 v[48:49], s[12:13], v[37:38], v[48:49]
	v_fma_f64 v[37:38], s[14:15], v[37:38], -v[50:51]
	v_div_fixup_f64 v[46:47], v[46:47], v[39:40], 1.0
	v_mul_f64 v[39:40], v[48:49], v[46:47]
	v_mul_f64 v[37:38], v[37:38], v[46:47]
.LBB84_14:                              ;   in Loop: Header=BB84_5 Depth=1
	s_or_b64 exec, exec, s[2:3]
	v_mul_f64 v[46:47], s[10:11], v[37:38]
	v_mul_f64 v[48:49], s[8:9], v[37:38]
	s_mov_b64 s[2:3], 0
	v_fma_f64 v[37:38], s[8:9], v[39:40], -v[46:47]
	v_fma_f64 v[39:40], s[10:11], v[39:40], v[48:49]
.LBB84_15:                              ;   in Loop: Header=BB84_5 Depth=1
	s_and_b64 vcc, exec, s[2:3]
	s_cbranch_vccz .LBB84_25
; %bb.16:                               ;   in Loop: Header=BB84_5 Depth=1
                                        ; implicit-def: $vgpr39_vgpr40
                                        ; implicit-def: $vgpr37_vgpr38
	s_and_saveexec_b64 s[2:3], s[0:1]
	s_xor_b64 s[2:3], exec, s[2:3]
	s_cbranch_execz .LBB84_22
; %bb.17:                               ;   in Loop: Header=BB84_5 Depth=1
	v_cmp_neq_f64_e32 vcc, 0, v[29:30]
	v_cmp_neq_f64_e64 s[0:1], 0, v[31:32]
                                        ; implicit-def: $vgpr39_vgpr40
                                        ; implicit-def: $vgpr37_vgpr38
	s_or_b64 s[0:1], vcc, s[0:1]
	s_and_saveexec_b64 s[6:7], s[0:1]
	s_xor_b64 s[0:1], exec, s[6:7]
	s_cbranch_execz .LBB84_19
; %bb.18:                               ;   in Loop: Header=BB84_5 Depth=1
	v_div_scale_f64 v[37:38], s[6:7], v[29:30], v[29:30], v[31:32]
	v_rcp_f64_e32 v[39:40], v[37:38]
	v_fma_f64 v[41:42], -v[37:38], v[39:40], 1.0
	v_fma_f64 v[39:40], v[39:40], v[41:42], v[39:40]
	v_div_scale_f64 v[41:42], vcc, v[31:32], v[29:30], v[31:32]
	v_fma_f64 v[43:44], -v[37:38], v[39:40], 1.0
	v_fma_f64 v[39:40], v[39:40], v[43:44], v[39:40]
	v_mul_f64 v[43:44], v[41:42], v[39:40]
	v_fma_f64 v[37:38], -v[37:38], v[43:44], v[41:42]
	v_div_fmas_f64 v[37:38], v[37:38], v[39:40], v[43:44]
	v_div_fixup_f64 v[37:38], v[37:38], v[29:30], v[31:32]
	v_fma_f64 v[29:30], v[31:32], v[37:38], v[29:30]
	v_div_scale_f64 v[31:32], s[6:7], v[29:30], v[29:30], 1.0
	v_rcp_f64_e32 v[39:40], v[31:32]
	v_fma_f64 v[41:42], -v[31:32], v[39:40], 1.0
	v_fma_f64 v[39:40], v[39:40], v[41:42], v[39:40]
	v_div_scale_f64 v[41:42], vcc, 1.0, v[29:30], 1.0
	v_fma_f64 v[43:44], -v[31:32], v[39:40], 1.0
	v_fma_f64 v[39:40], v[39:40], v[43:44], v[39:40]
	v_mul_f64 v[43:44], v[41:42], v[39:40]
	v_fma_f64 v[31:32], -v[31:32], v[43:44], v[41:42]
	v_mov_b32_e32 v42, s15
	v_mov_b32_e32 v41, s14
	v_div_fmas_f64 v[31:32], v[31:32], v[39:40], v[43:44]
	v_mov_b32_e32 v40, s13
	v_mov_b32_e32 v39, s12
	v_fma_f64 v[39:40], s[14:15], v[37:38], v[39:40]
                                        ; implicit-def: $vgpr43_vgpr44
	v_div_fixup_f64 v[29:30], v[31:32], v[29:30], 1.0
	v_fma_f64 v[31:32], -s[12:13], v[37:38], v[41:42]
                                        ; implicit-def: $vgpr41_vgpr42
	v_mul_f64 v[37:38], v[39:40], v[29:30]
	v_mul_f64 v[39:40], v[31:32], v[29:30]
.LBB84_19:                              ;   in Loop: Header=BB84_5 Depth=1
	s_andn2_saveexec_b64 s[6:7], s[0:1]
	s_cbranch_execz .LBB84_21
; %bb.20:                               ;   in Loop: Header=BB84_5 Depth=1
	v_div_scale_f64 v[29:30], s[0:1], v[41:42], v[41:42], s[12:13]
	v_div_scale_f64 v[31:32], s[0:1], v[43:44], v[43:44], s[14:15]
	;; [unrolled: 1-line block ×3, first 2 shown]
	v_rcp_f64_e32 v[37:38], v[29:30]
	v_rcp_f64_e32 v[39:40], v[31:32]
	v_fma_f64 v[46:47], -v[29:30], v[37:38], 1.0
	v_fma_f64 v[48:49], -v[31:32], v[39:40], 1.0
	v_fma_f64 v[37:38], v[37:38], v[46:47], v[37:38]
	v_div_scale_f64 v[46:47], vcc, s[12:13], v[41:42], s[12:13]
	v_fma_f64 v[39:40], v[39:40], v[48:49], v[39:40]
	v_fma_f64 v[48:49], -v[29:30], v[37:38], 1.0
	v_fma_f64 v[52:53], -v[31:32], v[39:40], 1.0
	v_fma_f64 v[37:38], v[37:38], v[48:49], v[37:38]
	v_fma_f64 v[39:40], v[39:40], v[52:53], v[39:40]
	v_mul_f64 v[48:49], v[46:47], v[37:38]
	v_mul_f64 v[52:53], v[50:51], v[39:40]
	v_fma_f64 v[29:30], -v[29:30], v[48:49], v[46:47]
	v_fma_f64 v[31:32], -v[31:32], v[52:53], v[50:51]
	v_div_fmas_f64 v[29:30], v[29:30], v[37:38], v[48:49]
	s_mov_b64 vcc, s[0:1]
	v_div_fmas_f64 v[31:32], v[31:32], v[39:40], v[52:53]
	v_div_fixup_f64 v[37:38], v[29:30], v[41:42], s[12:13]
	v_div_fixup_f64 v[39:40], v[31:32], v[43:44], s[14:15]
.LBB84_21:                              ;   in Loop: Header=BB84_5 Depth=1
	s_or_b64 exec, exec, s[6:7]
                                        ; implicit-def: $vgpr31_vgpr32
.LBB84_22:                              ;   in Loop: Header=BB84_5 Depth=1
	s_andn2_saveexec_b64 s[0:1], s[2:3]
	s_cbranch_execz .LBB84_24
; %bb.23:                               ;   in Loop: Header=BB84_5 Depth=1
	v_div_scale_f64 v[37:38], s[2:3], v[31:32], v[31:32], v[29:30]
	v_rcp_f64_e32 v[39:40], v[37:38]
	v_fma_f64 v[41:42], -v[37:38], v[39:40], 1.0
	v_fma_f64 v[39:40], v[39:40], v[41:42], v[39:40]
	v_div_scale_f64 v[41:42], vcc, v[29:30], v[31:32], v[29:30]
	v_fma_f64 v[43:44], -v[37:38], v[39:40], 1.0
	v_fma_f64 v[39:40], v[39:40], v[43:44], v[39:40]
	v_mul_f64 v[43:44], v[41:42], v[39:40]
	v_fma_f64 v[37:38], -v[37:38], v[43:44], v[41:42]
	v_div_fmas_f64 v[37:38], v[37:38], v[39:40], v[43:44]
	v_div_fixup_f64 v[37:38], v[37:38], v[31:32], v[29:30]
	v_fma_f64 v[29:30], v[29:30], v[37:38], v[31:32]
	v_div_scale_f64 v[31:32], s[2:3], v[29:30], v[29:30], 1.0
	v_rcp_f64_e32 v[39:40], v[31:32]
	v_fma_f64 v[41:42], -v[31:32], v[39:40], 1.0
	v_fma_f64 v[39:40], v[39:40], v[41:42], v[39:40]
	v_div_scale_f64 v[41:42], vcc, 1.0, v[29:30], 1.0
	v_fma_f64 v[43:44], -v[31:32], v[39:40], 1.0
	v_fma_f64 v[39:40], v[39:40], v[43:44], v[39:40]
	v_mul_f64 v[43:44], v[41:42], v[39:40]
	v_fma_f64 v[31:32], -v[31:32], v[43:44], v[41:42]
	v_mov_b32_e32 v42, s13
	v_mov_b32_e32 v41, s12
	v_div_fmas_f64 v[31:32], v[31:32], v[39:40], v[43:44]
	v_mov_b32_e32 v40, s15
	v_mov_b32_e32 v39, s14
	v_fma_f64 v[39:40], s[12:13], v[37:38], v[39:40]
	v_div_fixup_f64 v[29:30], v[31:32], v[29:30], 1.0
	v_fma_f64 v[31:32], s[14:15], v[37:38], -v[41:42]
	v_mul_f64 v[37:38], v[39:40], v[29:30]
	v_mul_f64 v[39:40], v[31:32], v[29:30]
.LBB84_24:                              ;   in Loop: Header=BB84_5 Depth=1
	s_or_b64 exec, exec, s[0:1]
.LBB84_25:                              ;   in Loop: Header=BB84_5 Depth=1
	s_waitcnt vmcnt(6)
	v_cmp_gt_f64_e32 vcc, 0, v[25:26]
	v_xor_b32_e32 v29, 0x80000000, v26
	v_mov_b32_e32 v41, v25
	v_mov_b32_e32 v43, v27
	s_mov_b64 s[6:7], -1
                                        ; implicit-def: $vgpr31_vgpr32
	v_cndmask_b32_e32 v42, v26, v29, vcc
	v_cmp_gt_f64_e32 vcc, 0, v[27:28]
	v_xor_b32_e32 v29, 0x80000000, v28
	v_cndmask_b32_e32 v44, v28, v29, vcc
	v_cmp_ge_f64_e64 s[2:3], v[41:42], v[43:44]
	v_cndmask_b32_e64 v29, 0, 1, s[28:29]
	v_cmp_ne_u32_e64 s[0:1], 1, v29
	s_andn2_b64 vcc, exec, s[28:29]
                                        ; implicit-def: $vgpr29_vgpr30
	s_cbranch_vccnz .LBB84_35
; %bb.26:                               ;   in Loop: Header=BB84_5 Depth=1
                                        ; implicit-def: $vgpr29_vgpr30
                                        ; implicit-def: $vgpr31_vgpr32
	s_and_saveexec_b64 s[6:7], s[2:3]
	s_xor_b64 s[36:37], exec, s[6:7]
	s_cbranch_execz .LBB84_32
; %bb.27:                               ;   in Loop: Header=BB84_5 Depth=1
	v_cmp_neq_f64_e32 vcc, 0, v[25:26]
	v_cmp_neq_f64_e64 s[6:7], 0, v[27:28]
                                        ; implicit-def: $vgpr29_vgpr30
                                        ; implicit-def: $vgpr31_vgpr32
	s_or_b64 s[6:7], vcc, s[6:7]
	s_and_saveexec_b64 s[38:39], s[6:7]
	s_xor_b64 s[6:7], exec, s[38:39]
	s_cbranch_execz .LBB84_29
; %bb.28:                               ;   in Loop: Header=BB84_5 Depth=1
	v_div_scale_f64 v[29:30], s[38:39], v[25:26], v[25:26], v[27:28]
	v_rcp_f64_e32 v[31:32], v[29:30]
	v_fma_f64 v[46:47], -v[29:30], v[31:32], 1.0
	v_fma_f64 v[31:32], v[31:32], v[46:47], v[31:32]
	v_div_scale_f64 v[46:47], vcc, v[27:28], v[25:26], v[27:28]
	v_fma_f64 v[48:49], -v[29:30], v[31:32], 1.0
	v_fma_f64 v[31:32], v[31:32], v[48:49], v[31:32]
	v_mul_f64 v[48:49], v[46:47], v[31:32]
	v_fma_f64 v[29:30], -v[29:30], v[48:49], v[46:47]
	v_div_fmas_f64 v[29:30], v[29:30], v[31:32], v[48:49]
	v_div_fixup_f64 v[29:30], v[29:30], v[25:26], v[27:28]
	v_fma_f64 v[31:32], v[27:28], v[29:30], v[25:26]
	v_div_scale_f64 v[46:47], s[38:39], v[31:32], v[31:32], 1.0
	v_rcp_f64_e32 v[48:49], v[46:47]
	v_fma_f64 v[50:51], -v[46:47], v[48:49], 1.0
	v_fma_f64 v[48:49], v[48:49], v[50:51], v[48:49]
	v_div_scale_f64 v[50:51], vcc, 1.0, v[31:32], 1.0
	v_fma_f64 v[52:53], -v[46:47], v[48:49], 1.0
	v_fma_f64 v[48:49], v[48:49], v[52:53], v[48:49]
	v_mul_f64 v[52:53], v[50:51], v[48:49]
	v_fma_f64 v[46:47], -v[46:47], v[52:53], v[50:51]
	v_mov_b32_e32 v51, s15
	v_mov_b32_e32 v50, s14
	v_div_fmas_f64 v[46:47], v[46:47], v[48:49], v[52:53]
	v_mov_b32_e32 v49, s13
	v_mov_b32_e32 v48, s12
	v_fma_f64 v[48:49], s[14:15], v[29:30], v[48:49]
	v_fma_f64 v[29:30], -s[12:13], v[29:30], v[50:51]
	v_div_fixup_f64 v[46:47], v[46:47], v[31:32], 1.0
	v_mul_f64 v[31:32], v[48:49], v[46:47]
	v_mul_f64 v[29:30], v[29:30], v[46:47]
.LBB84_29:                              ;   in Loop: Header=BB84_5 Depth=1
	s_andn2_saveexec_b64 s[38:39], s[6:7]
	s_cbranch_execz .LBB84_31
; %bb.30:                               ;   in Loop: Header=BB84_5 Depth=1
	v_div_scale_f64 v[29:30], s[6:7], v[41:42], v[41:42], s[12:13]
	v_div_scale_f64 v[31:32], s[6:7], v[43:44], v[43:44], s[14:15]
	;; [unrolled: 1-line block ×3, first 2 shown]
	v_rcp_f64_e32 v[46:47], v[29:30]
	v_rcp_f64_e32 v[48:49], v[31:32]
	v_fma_f64 v[50:51], -v[29:30], v[46:47], 1.0
	v_fma_f64 v[52:53], -v[31:32], v[48:49], 1.0
	v_fma_f64 v[46:47], v[46:47], v[50:51], v[46:47]
	v_div_scale_f64 v[50:51], vcc, s[12:13], v[41:42], s[12:13]
	v_fma_f64 v[48:49], v[48:49], v[52:53], v[48:49]
	v_fma_f64 v[52:53], -v[29:30], v[46:47], 1.0
	v_fma_f64 v[56:57], -v[31:32], v[48:49], 1.0
	v_fma_f64 v[46:47], v[46:47], v[52:53], v[46:47]
	v_fma_f64 v[48:49], v[48:49], v[56:57], v[48:49]
	v_mul_f64 v[52:53], v[50:51], v[46:47]
	v_mul_f64 v[56:57], v[54:55], v[48:49]
	v_fma_f64 v[29:30], -v[29:30], v[52:53], v[50:51]
	v_fma_f64 v[31:32], -v[31:32], v[56:57], v[54:55]
	v_div_fmas_f64 v[29:30], v[29:30], v[46:47], v[52:53]
	s_mov_b64 vcc, s[6:7]
	v_div_fmas_f64 v[46:47], v[31:32], v[48:49], v[56:57]
	v_div_fixup_f64 v[31:32], v[29:30], v[41:42], s[12:13]
	v_div_fixup_f64 v[29:30], v[46:47], v[43:44], s[14:15]
.LBB84_31:                              ;   in Loop: Header=BB84_5 Depth=1
	s_or_b64 exec, exec, s[38:39]
.LBB84_32:                              ;   in Loop: Header=BB84_5 Depth=1
	s_andn2_saveexec_b64 s[6:7], s[36:37]
	s_cbranch_execz .LBB84_34
; %bb.33:                               ;   in Loop: Header=BB84_5 Depth=1
	v_div_scale_f64 v[29:30], s[36:37], v[27:28], v[27:28], v[25:26]
	v_rcp_f64_e32 v[31:32], v[29:30]
	v_fma_f64 v[46:47], -v[29:30], v[31:32], 1.0
	v_fma_f64 v[31:32], v[31:32], v[46:47], v[31:32]
	v_div_scale_f64 v[46:47], vcc, v[25:26], v[27:28], v[25:26]
	v_fma_f64 v[48:49], -v[29:30], v[31:32], 1.0
	v_fma_f64 v[31:32], v[31:32], v[48:49], v[31:32]
	v_mul_f64 v[48:49], v[46:47], v[31:32]
	v_fma_f64 v[29:30], -v[29:30], v[48:49], v[46:47]
	v_div_fmas_f64 v[29:30], v[29:30], v[31:32], v[48:49]
	v_div_fixup_f64 v[29:30], v[29:30], v[27:28], v[25:26]
	v_fma_f64 v[31:32], v[25:26], v[29:30], v[27:28]
	v_div_scale_f64 v[46:47], s[36:37], v[31:32], v[31:32], 1.0
	v_rcp_f64_e32 v[48:49], v[46:47]
	v_fma_f64 v[50:51], -v[46:47], v[48:49], 1.0
	v_fma_f64 v[48:49], v[48:49], v[50:51], v[48:49]
	v_div_scale_f64 v[50:51], vcc, 1.0, v[31:32], 1.0
	v_fma_f64 v[52:53], -v[46:47], v[48:49], 1.0
	v_fma_f64 v[48:49], v[48:49], v[52:53], v[48:49]
	v_mul_f64 v[52:53], v[50:51], v[48:49]
	v_fma_f64 v[46:47], -v[46:47], v[52:53], v[50:51]
	v_mov_b32_e32 v51, s13
	v_mov_b32_e32 v50, s12
	v_div_fmas_f64 v[46:47], v[46:47], v[48:49], v[52:53]
	v_mov_b32_e32 v49, s15
	v_mov_b32_e32 v48, s14
	v_fma_f64 v[48:49], s[12:13], v[29:30], v[48:49]
	v_fma_f64 v[29:30], s[14:15], v[29:30], -v[50:51]
	v_div_fixup_f64 v[46:47], v[46:47], v[31:32], 1.0
	v_mul_f64 v[31:32], v[48:49], v[46:47]
	v_mul_f64 v[29:30], v[29:30], v[46:47]
.LBB84_34:                              ;   in Loop: Header=BB84_5 Depth=1
	s_or_b64 exec, exec, s[6:7]
	v_mul_f64 v[46:47], s[10:11], v[29:30]
	v_mul_f64 v[48:49], s[8:9], v[29:30]
	s_mov_b64 s[6:7], 0
	v_fma_f64 v[29:30], s[8:9], v[31:32], -v[46:47]
	v_fma_f64 v[31:32], s[10:11], v[31:32], v[48:49]
.LBB84_35:                              ;   in Loop: Header=BB84_5 Depth=1
	s_and_b64 vcc, exec, s[6:7]
	s_cbranch_vccz .LBB84_45
; %bb.36:                               ;   in Loop: Header=BB84_5 Depth=1
                                        ; implicit-def: $vgpr31_vgpr32
                                        ; implicit-def: $vgpr29_vgpr30
	s_and_saveexec_b64 s[6:7], s[2:3]
	s_xor_b64 s[6:7], exec, s[6:7]
	s_cbranch_execz .LBB84_42
; %bb.37:                               ;   in Loop: Header=BB84_5 Depth=1
	v_cmp_neq_f64_e32 vcc, 0, v[25:26]
	v_cmp_neq_f64_e64 s[2:3], 0, v[27:28]
                                        ; implicit-def: $vgpr31_vgpr32
                                        ; implicit-def: $vgpr29_vgpr30
	s_or_b64 s[2:3], vcc, s[2:3]
	s_and_saveexec_b64 s[36:37], s[2:3]
	s_xor_b64 s[2:3], exec, s[36:37]
	s_cbranch_execz .LBB84_39
; %bb.38:                               ;   in Loop: Header=BB84_5 Depth=1
	v_div_scale_f64 v[29:30], s[36:37], v[25:26], v[25:26], v[27:28]
	v_rcp_f64_e32 v[31:32], v[29:30]
	v_fma_f64 v[41:42], -v[29:30], v[31:32], 1.0
	v_fma_f64 v[31:32], v[31:32], v[41:42], v[31:32]
	v_div_scale_f64 v[41:42], vcc, v[27:28], v[25:26], v[27:28]
	v_fma_f64 v[43:44], -v[29:30], v[31:32], 1.0
	v_fma_f64 v[31:32], v[31:32], v[43:44], v[31:32]
	v_mul_f64 v[43:44], v[41:42], v[31:32]
	v_fma_f64 v[29:30], -v[29:30], v[43:44], v[41:42]
	v_div_fmas_f64 v[29:30], v[29:30], v[31:32], v[43:44]
	v_div_fixup_f64 v[29:30], v[29:30], v[25:26], v[27:28]
	v_fma_f64 v[25:26], v[27:28], v[29:30], v[25:26]
	v_div_scale_f64 v[27:28], s[36:37], v[25:26], v[25:26], 1.0
	v_rcp_f64_e32 v[31:32], v[27:28]
	v_fma_f64 v[41:42], -v[27:28], v[31:32], 1.0
	v_fma_f64 v[31:32], v[31:32], v[41:42], v[31:32]
	v_div_scale_f64 v[41:42], vcc, 1.0, v[25:26], 1.0
	v_fma_f64 v[43:44], -v[27:28], v[31:32], 1.0
	v_fma_f64 v[31:32], v[31:32], v[43:44], v[31:32]
	v_mul_f64 v[43:44], v[41:42], v[31:32]
	v_fma_f64 v[27:28], -v[27:28], v[43:44], v[41:42]
	v_mov_b32_e32 v42, s15
	v_mov_b32_e32 v41, s14
	v_div_fmas_f64 v[27:28], v[27:28], v[31:32], v[43:44]
	v_mov_b32_e32 v32, s13
	v_mov_b32_e32 v31, s12
	v_fma_f64 v[31:32], s[14:15], v[29:30], v[31:32]
                                        ; implicit-def: $vgpr43_vgpr44
	v_div_fixup_f64 v[25:26], v[27:28], v[25:26], 1.0
	v_fma_f64 v[27:28], -s[12:13], v[29:30], v[41:42]
                                        ; implicit-def: $vgpr41_vgpr42
	v_mul_f64 v[29:30], v[31:32], v[25:26]
	v_mul_f64 v[31:32], v[27:28], v[25:26]
.LBB84_39:                              ;   in Loop: Header=BB84_5 Depth=1
	s_andn2_saveexec_b64 s[36:37], s[2:3]
	s_cbranch_execz .LBB84_41
; %bb.40:                               ;   in Loop: Header=BB84_5 Depth=1
	v_div_scale_f64 v[25:26], s[2:3], v[41:42], v[41:42], s[12:13]
	v_div_scale_f64 v[27:28], s[2:3], v[43:44], v[43:44], s[14:15]
	;; [unrolled: 1-line block ×3, first 2 shown]
	v_rcp_f64_e32 v[29:30], v[25:26]
	v_rcp_f64_e32 v[31:32], v[27:28]
	v_fma_f64 v[46:47], -v[25:26], v[29:30], 1.0
	v_fma_f64 v[48:49], -v[27:28], v[31:32], 1.0
	v_fma_f64 v[29:30], v[29:30], v[46:47], v[29:30]
	v_div_scale_f64 v[46:47], vcc, s[12:13], v[41:42], s[12:13]
	v_fma_f64 v[31:32], v[31:32], v[48:49], v[31:32]
	v_fma_f64 v[48:49], -v[25:26], v[29:30], 1.0
	v_fma_f64 v[52:53], -v[27:28], v[31:32], 1.0
	v_fma_f64 v[29:30], v[29:30], v[48:49], v[29:30]
	v_fma_f64 v[31:32], v[31:32], v[52:53], v[31:32]
	v_mul_f64 v[48:49], v[46:47], v[29:30]
	v_mul_f64 v[52:53], v[50:51], v[31:32]
	v_fma_f64 v[25:26], -v[25:26], v[48:49], v[46:47]
	v_fma_f64 v[27:28], -v[27:28], v[52:53], v[50:51]
	v_div_fmas_f64 v[25:26], v[25:26], v[29:30], v[48:49]
	s_mov_b64 vcc, s[2:3]
	v_div_fmas_f64 v[27:28], v[27:28], v[31:32], v[52:53]
	v_div_fixup_f64 v[29:30], v[25:26], v[41:42], s[12:13]
	v_div_fixup_f64 v[31:32], v[27:28], v[43:44], s[14:15]
.LBB84_41:                              ;   in Loop: Header=BB84_5 Depth=1
	s_or_b64 exec, exec, s[36:37]
                                        ; implicit-def: $vgpr27_vgpr28
.LBB84_42:                              ;   in Loop: Header=BB84_5 Depth=1
	s_andn2_saveexec_b64 s[2:3], s[6:7]
	s_cbranch_execz .LBB84_44
; %bb.43:                               ;   in Loop: Header=BB84_5 Depth=1
	v_div_scale_f64 v[29:30], s[6:7], v[27:28], v[27:28], v[25:26]
	v_rcp_f64_e32 v[31:32], v[29:30]
	v_fma_f64 v[41:42], -v[29:30], v[31:32], 1.0
	v_fma_f64 v[31:32], v[31:32], v[41:42], v[31:32]
	v_div_scale_f64 v[41:42], vcc, v[25:26], v[27:28], v[25:26]
	v_fma_f64 v[43:44], -v[29:30], v[31:32], 1.0
	v_fma_f64 v[31:32], v[31:32], v[43:44], v[31:32]
	v_mul_f64 v[43:44], v[41:42], v[31:32]
	v_fma_f64 v[29:30], -v[29:30], v[43:44], v[41:42]
	v_div_fmas_f64 v[29:30], v[29:30], v[31:32], v[43:44]
	v_div_fixup_f64 v[29:30], v[29:30], v[27:28], v[25:26]
	v_fma_f64 v[25:26], v[25:26], v[29:30], v[27:28]
	v_div_scale_f64 v[27:28], s[6:7], v[25:26], v[25:26], 1.0
	v_rcp_f64_e32 v[31:32], v[27:28]
	v_fma_f64 v[41:42], -v[27:28], v[31:32], 1.0
	v_fma_f64 v[31:32], v[31:32], v[41:42], v[31:32]
	v_div_scale_f64 v[41:42], vcc, 1.0, v[25:26], 1.0
	v_fma_f64 v[43:44], -v[27:28], v[31:32], 1.0
	v_fma_f64 v[31:32], v[31:32], v[43:44], v[31:32]
	v_mul_f64 v[43:44], v[41:42], v[31:32]
	v_fma_f64 v[27:28], -v[27:28], v[43:44], v[41:42]
	v_mov_b32_e32 v42, s13
	v_mov_b32_e32 v41, s12
	v_div_fmas_f64 v[27:28], v[27:28], v[31:32], v[43:44]
	v_mov_b32_e32 v32, s15
	v_mov_b32_e32 v31, s14
	v_fma_f64 v[31:32], s[12:13], v[29:30], v[31:32]
	v_div_fixup_f64 v[25:26], v[27:28], v[25:26], 1.0
	v_fma_f64 v[27:28], s[14:15], v[29:30], -v[41:42]
	v_mul_f64 v[29:30], v[31:32], v[25:26]
	v_mul_f64 v[31:32], v[27:28], v[25:26]
.LBB84_44:                              ;   in Loop: Header=BB84_5 Depth=1
	s_or_b64 exec, exec, s[2:3]
.LBB84_45:                              ;   in Loop: Header=BB84_5 Depth=1
	s_waitcnt vmcnt(4)
	v_cmp_gt_f64_e32 vcc, 0, v[21:22]
	v_xor_b32_e32 v25, 0x80000000, v22
	v_mov_b32_e32 v41, v21
	v_mov_b32_e32 v43, v23
	s_mov_b64 s[6:7], -1
                                        ; implicit-def: $vgpr27_vgpr28
	v_cndmask_b32_e32 v42, v22, v25, vcc
	v_cmp_gt_f64_e32 vcc, 0, v[23:24]
	v_xor_b32_e32 v25, 0x80000000, v24
	v_cndmask_b32_e32 v44, v24, v25, vcc
	v_cmp_ge_f64_e64 s[2:3], v[41:42], v[43:44]
	s_and_b64 vcc, exec, s[0:1]
                                        ; implicit-def: $vgpr25_vgpr26
	s_cbranch_vccnz .LBB84_55
; %bb.46:                               ;   in Loop: Header=BB84_5 Depth=1
                                        ; implicit-def: $vgpr25_vgpr26
                                        ; implicit-def: $vgpr27_vgpr28
	s_and_saveexec_b64 s[6:7], s[2:3]
	s_xor_b64 s[36:37], exec, s[6:7]
	s_cbranch_execz .LBB84_52
; %bb.47:                               ;   in Loop: Header=BB84_5 Depth=1
	v_cmp_neq_f64_e32 vcc, 0, v[21:22]
	v_cmp_neq_f64_e64 s[6:7], 0, v[23:24]
                                        ; implicit-def: $vgpr25_vgpr26
                                        ; implicit-def: $vgpr27_vgpr28
	s_or_b64 s[6:7], vcc, s[6:7]
	s_and_saveexec_b64 s[38:39], s[6:7]
	s_xor_b64 s[6:7], exec, s[38:39]
	s_cbranch_execz .LBB84_49
; %bb.48:                               ;   in Loop: Header=BB84_5 Depth=1
	v_div_scale_f64 v[25:26], s[38:39], v[21:22], v[21:22], v[23:24]
	v_rcp_f64_e32 v[27:28], v[25:26]
	v_fma_f64 v[46:47], -v[25:26], v[27:28], 1.0
	v_fma_f64 v[27:28], v[27:28], v[46:47], v[27:28]
	v_div_scale_f64 v[46:47], vcc, v[23:24], v[21:22], v[23:24]
	v_fma_f64 v[48:49], -v[25:26], v[27:28], 1.0
	v_fma_f64 v[27:28], v[27:28], v[48:49], v[27:28]
	v_mul_f64 v[48:49], v[46:47], v[27:28]
	v_fma_f64 v[25:26], -v[25:26], v[48:49], v[46:47]
	v_div_fmas_f64 v[25:26], v[25:26], v[27:28], v[48:49]
	v_div_fixup_f64 v[25:26], v[25:26], v[21:22], v[23:24]
	v_fma_f64 v[27:28], v[23:24], v[25:26], v[21:22]
	v_div_scale_f64 v[46:47], s[38:39], v[27:28], v[27:28], 1.0
	v_rcp_f64_e32 v[48:49], v[46:47]
	v_fma_f64 v[50:51], -v[46:47], v[48:49], 1.0
	v_fma_f64 v[48:49], v[48:49], v[50:51], v[48:49]
	v_div_scale_f64 v[50:51], vcc, 1.0, v[27:28], 1.0
	v_fma_f64 v[52:53], -v[46:47], v[48:49], 1.0
	v_fma_f64 v[48:49], v[48:49], v[52:53], v[48:49]
	v_mul_f64 v[52:53], v[50:51], v[48:49]
	v_fma_f64 v[46:47], -v[46:47], v[52:53], v[50:51]
	v_mov_b32_e32 v51, s15
	v_mov_b32_e32 v50, s14
	v_div_fmas_f64 v[46:47], v[46:47], v[48:49], v[52:53]
	v_mov_b32_e32 v49, s13
	v_mov_b32_e32 v48, s12
	v_fma_f64 v[48:49], s[14:15], v[25:26], v[48:49]
	v_fma_f64 v[25:26], -s[12:13], v[25:26], v[50:51]
	v_div_fixup_f64 v[46:47], v[46:47], v[27:28], 1.0
	v_mul_f64 v[27:28], v[48:49], v[46:47]
	v_mul_f64 v[25:26], v[25:26], v[46:47]
.LBB84_49:                              ;   in Loop: Header=BB84_5 Depth=1
	s_andn2_saveexec_b64 s[38:39], s[6:7]
	s_cbranch_execz .LBB84_51
; %bb.50:                               ;   in Loop: Header=BB84_5 Depth=1
	v_div_scale_f64 v[25:26], s[6:7], v[41:42], v[41:42], s[12:13]
	v_div_scale_f64 v[27:28], s[6:7], v[43:44], v[43:44], s[14:15]
	;; [unrolled: 1-line block ×3, first 2 shown]
	v_rcp_f64_e32 v[46:47], v[25:26]
	v_rcp_f64_e32 v[48:49], v[27:28]
	v_fma_f64 v[50:51], -v[25:26], v[46:47], 1.0
	v_fma_f64 v[52:53], -v[27:28], v[48:49], 1.0
	v_fma_f64 v[46:47], v[46:47], v[50:51], v[46:47]
	v_div_scale_f64 v[50:51], vcc, s[12:13], v[41:42], s[12:13]
	v_fma_f64 v[48:49], v[48:49], v[52:53], v[48:49]
	v_fma_f64 v[52:53], -v[25:26], v[46:47], 1.0
	v_fma_f64 v[56:57], -v[27:28], v[48:49], 1.0
	v_fma_f64 v[46:47], v[46:47], v[52:53], v[46:47]
	v_fma_f64 v[48:49], v[48:49], v[56:57], v[48:49]
	v_mul_f64 v[52:53], v[50:51], v[46:47]
	v_mul_f64 v[56:57], v[54:55], v[48:49]
	v_fma_f64 v[25:26], -v[25:26], v[52:53], v[50:51]
	v_fma_f64 v[27:28], -v[27:28], v[56:57], v[54:55]
	v_div_fmas_f64 v[25:26], v[25:26], v[46:47], v[52:53]
	s_mov_b64 vcc, s[6:7]
	v_div_fmas_f64 v[46:47], v[27:28], v[48:49], v[56:57]
	v_div_fixup_f64 v[27:28], v[25:26], v[41:42], s[12:13]
	v_div_fixup_f64 v[25:26], v[46:47], v[43:44], s[14:15]
.LBB84_51:                              ;   in Loop: Header=BB84_5 Depth=1
	s_or_b64 exec, exec, s[38:39]
.LBB84_52:                              ;   in Loop: Header=BB84_5 Depth=1
	s_andn2_saveexec_b64 s[6:7], s[36:37]
	s_cbranch_execz .LBB84_54
; %bb.53:                               ;   in Loop: Header=BB84_5 Depth=1
	v_div_scale_f64 v[25:26], s[36:37], v[23:24], v[23:24], v[21:22]
	v_rcp_f64_e32 v[27:28], v[25:26]
	v_fma_f64 v[46:47], -v[25:26], v[27:28], 1.0
	v_fma_f64 v[27:28], v[27:28], v[46:47], v[27:28]
	v_div_scale_f64 v[46:47], vcc, v[21:22], v[23:24], v[21:22]
	v_fma_f64 v[48:49], -v[25:26], v[27:28], 1.0
	v_fma_f64 v[27:28], v[27:28], v[48:49], v[27:28]
	v_mul_f64 v[48:49], v[46:47], v[27:28]
	v_fma_f64 v[25:26], -v[25:26], v[48:49], v[46:47]
	v_div_fmas_f64 v[25:26], v[25:26], v[27:28], v[48:49]
	v_div_fixup_f64 v[25:26], v[25:26], v[23:24], v[21:22]
	v_fma_f64 v[27:28], v[21:22], v[25:26], v[23:24]
	v_div_scale_f64 v[46:47], s[36:37], v[27:28], v[27:28], 1.0
	v_rcp_f64_e32 v[48:49], v[46:47]
	v_fma_f64 v[50:51], -v[46:47], v[48:49], 1.0
	v_fma_f64 v[48:49], v[48:49], v[50:51], v[48:49]
	v_div_scale_f64 v[50:51], vcc, 1.0, v[27:28], 1.0
	v_fma_f64 v[52:53], -v[46:47], v[48:49], 1.0
	v_fma_f64 v[48:49], v[48:49], v[52:53], v[48:49]
	v_mul_f64 v[52:53], v[50:51], v[48:49]
	v_fma_f64 v[46:47], -v[46:47], v[52:53], v[50:51]
	v_mov_b32_e32 v51, s13
	v_mov_b32_e32 v50, s12
	v_div_fmas_f64 v[46:47], v[46:47], v[48:49], v[52:53]
	v_mov_b32_e32 v49, s15
	v_mov_b32_e32 v48, s14
	v_fma_f64 v[48:49], s[12:13], v[25:26], v[48:49]
	v_fma_f64 v[25:26], s[14:15], v[25:26], -v[50:51]
	v_div_fixup_f64 v[46:47], v[46:47], v[27:28], 1.0
	v_mul_f64 v[27:28], v[48:49], v[46:47]
	v_mul_f64 v[25:26], v[25:26], v[46:47]
.LBB84_54:                              ;   in Loop: Header=BB84_5 Depth=1
	s_or_b64 exec, exec, s[6:7]
	v_mul_f64 v[46:47], s[10:11], v[25:26]
	v_mul_f64 v[48:49], s[8:9], v[25:26]
	s_mov_b64 s[6:7], 0
	v_fma_f64 v[25:26], s[8:9], v[27:28], -v[46:47]
	v_fma_f64 v[27:28], s[10:11], v[27:28], v[48:49]
.LBB84_55:                              ;   in Loop: Header=BB84_5 Depth=1
	s_and_b64 vcc, exec, s[6:7]
	s_cbranch_vccz .LBB84_65
; %bb.56:                               ;   in Loop: Header=BB84_5 Depth=1
                                        ; implicit-def: $vgpr27_vgpr28
                                        ; implicit-def: $vgpr25_vgpr26
	s_and_saveexec_b64 s[6:7], s[2:3]
	s_xor_b64 s[6:7], exec, s[6:7]
	s_cbranch_execz .LBB84_62
; %bb.57:                               ;   in Loop: Header=BB84_5 Depth=1
	v_cmp_neq_f64_e32 vcc, 0, v[21:22]
	v_cmp_neq_f64_e64 s[2:3], 0, v[23:24]
                                        ; implicit-def: $vgpr27_vgpr28
                                        ; implicit-def: $vgpr25_vgpr26
	s_or_b64 s[2:3], vcc, s[2:3]
	s_and_saveexec_b64 s[36:37], s[2:3]
	s_xor_b64 s[2:3], exec, s[36:37]
	s_cbranch_execz .LBB84_59
; %bb.58:                               ;   in Loop: Header=BB84_5 Depth=1
	v_div_scale_f64 v[25:26], s[36:37], v[21:22], v[21:22], v[23:24]
	v_rcp_f64_e32 v[27:28], v[25:26]
	v_fma_f64 v[41:42], -v[25:26], v[27:28], 1.0
	v_fma_f64 v[27:28], v[27:28], v[41:42], v[27:28]
	v_div_scale_f64 v[41:42], vcc, v[23:24], v[21:22], v[23:24]
	v_fma_f64 v[43:44], -v[25:26], v[27:28], 1.0
	v_fma_f64 v[27:28], v[27:28], v[43:44], v[27:28]
	v_mul_f64 v[43:44], v[41:42], v[27:28]
	v_fma_f64 v[25:26], -v[25:26], v[43:44], v[41:42]
	v_div_fmas_f64 v[25:26], v[25:26], v[27:28], v[43:44]
	v_div_fixup_f64 v[25:26], v[25:26], v[21:22], v[23:24]
	v_fma_f64 v[21:22], v[23:24], v[25:26], v[21:22]
	v_div_scale_f64 v[23:24], s[36:37], v[21:22], v[21:22], 1.0
	v_rcp_f64_e32 v[27:28], v[23:24]
	v_fma_f64 v[41:42], -v[23:24], v[27:28], 1.0
	v_fma_f64 v[27:28], v[27:28], v[41:42], v[27:28]
	v_div_scale_f64 v[41:42], vcc, 1.0, v[21:22], 1.0
	v_fma_f64 v[43:44], -v[23:24], v[27:28], 1.0
	v_fma_f64 v[27:28], v[27:28], v[43:44], v[27:28]
	v_mul_f64 v[43:44], v[41:42], v[27:28]
	v_fma_f64 v[23:24], -v[23:24], v[43:44], v[41:42]
	v_mov_b32_e32 v42, s15
	v_mov_b32_e32 v41, s14
	v_div_fmas_f64 v[23:24], v[23:24], v[27:28], v[43:44]
	v_mov_b32_e32 v28, s13
	v_mov_b32_e32 v27, s12
	v_fma_f64 v[27:28], s[14:15], v[25:26], v[27:28]
                                        ; implicit-def: $vgpr43_vgpr44
	v_div_fixup_f64 v[21:22], v[23:24], v[21:22], 1.0
	v_fma_f64 v[23:24], -s[12:13], v[25:26], v[41:42]
                                        ; implicit-def: $vgpr41_vgpr42
	v_mul_f64 v[25:26], v[27:28], v[21:22]
	v_mul_f64 v[27:28], v[23:24], v[21:22]
.LBB84_59:                              ;   in Loop: Header=BB84_5 Depth=1
	s_andn2_saveexec_b64 s[36:37], s[2:3]
	s_cbranch_execz .LBB84_61
; %bb.60:                               ;   in Loop: Header=BB84_5 Depth=1
	v_div_scale_f64 v[21:22], s[2:3], v[41:42], v[41:42], s[12:13]
	v_div_scale_f64 v[23:24], s[2:3], v[43:44], v[43:44], s[14:15]
	;; [unrolled: 1-line block ×3, first 2 shown]
	v_rcp_f64_e32 v[25:26], v[21:22]
	v_rcp_f64_e32 v[27:28], v[23:24]
	v_fma_f64 v[46:47], -v[21:22], v[25:26], 1.0
	v_fma_f64 v[48:49], -v[23:24], v[27:28], 1.0
	v_fma_f64 v[25:26], v[25:26], v[46:47], v[25:26]
	v_div_scale_f64 v[46:47], vcc, s[12:13], v[41:42], s[12:13]
	v_fma_f64 v[27:28], v[27:28], v[48:49], v[27:28]
	v_fma_f64 v[48:49], -v[21:22], v[25:26], 1.0
	v_fma_f64 v[52:53], -v[23:24], v[27:28], 1.0
	v_fma_f64 v[25:26], v[25:26], v[48:49], v[25:26]
	v_fma_f64 v[27:28], v[27:28], v[52:53], v[27:28]
	v_mul_f64 v[48:49], v[46:47], v[25:26]
	v_mul_f64 v[52:53], v[50:51], v[27:28]
	v_fma_f64 v[21:22], -v[21:22], v[48:49], v[46:47]
	v_fma_f64 v[23:24], -v[23:24], v[52:53], v[50:51]
	v_div_fmas_f64 v[21:22], v[21:22], v[25:26], v[48:49]
	s_mov_b64 vcc, s[2:3]
	v_div_fmas_f64 v[23:24], v[23:24], v[27:28], v[52:53]
	v_div_fixup_f64 v[25:26], v[21:22], v[41:42], s[12:13]
	v_div_fixup_f64 v[27:28], v[23:24], v[43:44], s[14:15]
.LBB84_61:                              ;   in Loop: Header=BB84_5 Depth=1
	s_or_b64 exec, exec, s[36:37]
                                        ; implicit-def: $vgpr23_vgpr24
.LBB84_62:                              ;   in Loop: Header=BB84_5 Depth=1
	s_andn2_saveexec_b64 s[2:3], s[6:7]
	s_cbranch_execz .LBB84_64
; %bb.63:                               ;   in Loop: Header=BB84_5 Depth=1
	v_div_scale_f64 v[25:26], s[6:7], v[23:24], v[23:24], v[21:22]
	v_rcp_f64_e32 v[27:28], v[25:26]
	v_fma_f64 v[41:42], -v[25:26], v[27:28], 1.0
	v_fma_f64 v[27:28], v[27:28], v[41:42], v[27:28]
	v_div_scale_f64 v[41:42], vcc, v[21:22], v[23:24], v[21:22]
	v_fma_f64 v[43:44], -v[25:26], v[27:28], 1.0
	v_fma_f64 v[27:28], v[27:28], v[43:44], v[27:28]
	v_mul_f64 v[43:44], v[41:42], v[27:28]
	v_fma_f64 v[25:26], -v[25:26], v[43:44], v[41:42]
	v_div_fmas_f64 v[25:26], v[25:26], v[27:28], v[43:44]
	v_div_fixup_f64 v[25:26], v[25:26], v[23:24], v[21:22]
	v_fma_f64 v[21:22], v[21:22], v[25:26], v[23:24]
	v_div_scale_f64 v[23:24], s[6:7], v[21:22], v[21:22], 1.0
	v_rcp_f64_e32 v[27:28], v[23:24]
	v_fma_f64 v[41:42], -v[23:24], v[27:28], 1.0
	v_fma_f64 v[27:28], v[27:28], v[41:42], v[27:28]
	v_div_scale_f64 v[41:42], vcc, 1.0, v[21:22], 1.0
	v_fma_f64 v[43:44], -v[23:24], v[27:28], 1.0
	v_fma_f64 v[27:28], v[27:28], v[43:44], v[27:28]
	v_mul_f64 v[43:44], v[41:42], v[27:28]
	v_fma_f64 v[23:24], -v[23:24], v[43:44], v[41:42]
	v_mov_b32_e32 v42, s13
	v_mov_b32_e32 v41, s12
	v_div_fmas_f64 v[23:24], v[23:24], v[27:28], v[43:44]
	v_mov_b32_e32 v28, s15
	v_mov_b32_e32 v27, s14
	v_fma_f64 v[27:28], s[12:13], v[25:26], v[27:28]
	v_div_fixup_f64 v[21:22], v[23:24], v[21:22], 1.0
	v_fma_f64 v[23:24], s[14:15], v[25:26], -v[41:42]
	v_mul_f64 v[25:26], v[27:28], v[21:22]
	v_mul_f64 v[27:28], v[23:24], v[21:22]
.LBB84_64:                              ;   in Loop: Header=BB84_5 Depth=1
	s_or_b64 exec, exec, s[2:3]
.LBB84_65:                              ;   in Loop: Header=BB84_5 Depth=1
	v_cmp_gt_f64_e32 vcc, 0, v[17:18]
	v_xor_b32_e32 v21, 0x80000000, v18
	v_xor_b32_e32 v23, 0x80000000, v20
                                        ; implicit-def: $vgpr43_vgpr44
                                        ; implicit-def: $vgpr41_vgpr42
	v_cndmask_b32_e32 v22, v18, v21, vcc
	v_cmp_gt_f64_e32 vcc, 0, v[19:20]
	v_mov_b32_e32 v21, v17
	v_cndmask_b32_e32 v24, v20, v23, vcc
	v_mov_b32_e32 v23, v19
	v_cmp_ge_f64_e64 s[2:3], v[21:22], v[23:24]
	s_and_b64 vcc, exec, s[0:1]
	s_mov_b64 s[0:1], -1
	s_cbranch_vccnz .LBB84_75
; %bb.66:                               ;   in Loop: Header=BB84_5 Depth=1
                                        ; implicit-def: $vgpr41_vgpr42
                                        ; implicit-def: $vgpr43_vgpr44
	s_and_saveexec_b64 s[0:1], s[2:3]
	s_xor_b64 s[6:7], exec, s[0:1]
	s_cbranch_execz .LBB84_72
; %bb.67:                               ;   in Loop: Header=BB84_5 Depth=1
	v_cmp_neq_f64_e32 vcc, 0, v[17:18]
	v_cmp_neq_f64_e64 s[0:1], 0, v[19:20]
                                        ; implicit-def: $vgpr41_vgpr42
                                        ; implicit-def: $vgpr43_vgpr44
	s_or_b64 s[0:1], vcc, s[0:1]
	s_and_saveexec_b64 s[36:37], s[0:1]
	s_xor_b64 s[0:1], exec, s[36:37]
	s_cbranch_execz .LBB84_69
; %bb.68:                               ;   in Loop: Header=BB84_5 Depth=1
	v_div_scale_f64 v[41:42], s[36:37], v[17:18], v[17:18], v[19:20]
	v_rcp_f64_e32 v[43:44], v[41:42]
	v_fma_f64 v[46:47], -v[41:42], v[43:44], 1.0
	v_fma_f64 v[43:44], v[43:44], v[46:47], v[43:44]
	v_div_scale_f64 v[46:47], vcc, v[19:20], v[17:18], v[19:20]
	v_fma_f64 v[48:49], -v[41:42], v[43:44], 1.0
	v_fma_f64 v[43:44], v[43:44], v[48:49], v[43:44]
	v_mul_f64 v[48:49], v[46:47], v[43:44]
	v_fma_f64 v[41:42], -v[41:42], v[48:49], v[46:47]
	v_div_fmas_f64 v[41:42], v[41:42], v[43:44], v[48:49]
	v_div_fixup_f64 v[41:42], v[41:42], v[17:18], v[19:20]
	v_fma_f64 v[43:44], v[19:20], v[41:42], v[17:18]
	v_div_scale_f64 v[46:47], s[36:37], v[43:44], v[43:44], 1.0
	v_rcp_f64_e32 v[48:49], v[46:47]
	v_fma_f64 v[50:51], -v[46:47], v[48:49], 1.0
	v_fma_f64 v[48:49], v[48:49], v[50:51], v[48:49]
	v_div_scale_f64 v[50:51], vcc, 1.0, v[43:44], 1.0
	v_fma_f64 v[52:53], -v[46:47], v[48:49], 1.0
	v_fma_f64 v[48:49], v[48:49], v[52:53], v[48:49]
	v_mul_f64 v[52:53], v[50:51], v[48:49]
	v_fma_f64 v[46:47], -v[46:47], v[52:53], v[50:51]
	v_mov_b32_e32 v51, s15
	v_mov_b32_e32 v50, s14
	v_div_fmas_f64 v[46:47], v[46:47], v[48:49], v[52:53]
	v_mov_b32_e32 v49, s13
	v_mov_b32_e32 v48, s12
	v_fma_f64 v[48:49], s[14:15], v[41:42], v[48:49]
	v_fma_f64 v[41:42], -s[12:13], v[41:42], v[50:51]
	v_div_fixup_f64 v[46:47], v[46:47], v[43:44], 1.0
	v_mul_f64 v[43:44], v[48:49], v[46:47]
	v_mul_f64 v[41:42], v[41:42], v[46:47]
.LBB84_69:                              ;   in Loop: Header=BB84_5 Depth=1
	s_andn2_saveexec_b64 s[36:37], s[0:1]
	s_cbranch_execz .LBB84_71
; %bb.70:                               ;   in Loop: Header=BB84_5 Depth=1
	v_div_scale_f64 v[41:42], s[0:1], v[21:22], v[21:22], s[12:13]
	v_div_scale_f64 v[43:44], s[0:1], v[23:24], v[23:24], s[14:15]
	;; [unrolled: 1-line block ×3, first 2 shown]
	v_rcp_f64_e32 v[46:47], v[41:42]
	v_rcp_f64_e32 v[48:49], v[43:44]
	v_fma_f64 v[50:51], -v[41:42], v[46:47], 1.0
	v_fma_f64 v[52:53], -v[43:44], v[48:49], 1.0
	v_fma_f64 v[46:47], v[46:47], v[50:51], v[46:47]
	v_div_scale_f64 v[50:51], vcc, s[12:13], v[21:22], s[12:13]
	v_fma_f64 v[48:49], v[48:49], v[52:53], v[48:49]
	v_fma_f64 v[52:53], -v[41:42], v[46:47], 1.0
	v_fma_f64 v[56:57], -v[43:44], v[48:49], 1.0
	v_fma_f64 v[46:47], v[46:47], v[52:53], v[46:47]
	v_fma_f64 v[48:49], v[48:49], v[56:57], v[48:49]
	v_mul_f64 v[52:53], v[50:51], v[46:47]
	v_mul_f64 v[56:57], v[54:55], v[48:49]
	v_fma_f64 v[41:42], -v[41:42], v[52:53], v[50:51]
	v_fma_f64 v[43:44], -v[43:44], v[56:57], v[54:55]
	v_div_fmas_f64 v[41:42], v[41:42], v[46:47], v[52:53]
	s_mov_b64 vcc, s[0:1]
	v_div_fmas_f64 v[46:47], v[43:44], v[48:49], v[56:57]
	v_div_fixup_f64 v[43:44], v[41:42], v[21:22], s[12:13]
	v_div_fixup_f64 v[41:42], v[46:47], v[23:24], s[14:15]
.LBB84_71:                              ;   in Loop: Header=BB84_5 Depth=1
	s_or_b64 exec, exec, s[36:37]
.LBB84_72:                              ;   in Loop: Header=BB84_5 Depth=1
	s_andn2_saveexec_b64 s[0:1], s[6:7]
	s_cbranch_execz .LBB84_74
; %bb.73:                               ;   in Loop: Header=BB84_5 Depth=1
	v_div_scale_f64 v[41:42], s[6:7], v[19:20], v[19:20], v[17:18]
	v_rcp_f64_e32 v[43:44], v[41:42]
	v_fma_f64 v[46:47], -v[41:42], v[43:44], 1.0
	v_fma_f64 v[43:44], v[43:44], v[46:47], v[43:44]
	v_div_scale_f64 v[46:47], vcc, v[17:18], v[19:20], v[17:18]
	v_fma_f64 v[48:49], -v[41:42], v[43:44], 1.0
	v_fma_f64 v[43:44], v[43:44], v[48:49], v[43:44]
	v_mul_f64 v[48:49], v[46:47], v[43:44]
	v_fma_f64 v[41:42], -v[41:42], v[48:49], v[46:47]
	v_div_fmas_f64 v[41:42], v[41:42], v[43:44], v[48:49]
	v_div_fixup_f64 v[41:42], v[41:42], v[19:20], v[17:18]
	v_fma_f64 v[43:44], v[17:18], v[41:42], v[19:20]
	v_div_scale_f64 v[46:47], s[6:7], v[43:44], v[43:44], 1.0
	v_rcp_f64_e32 v[48:49], v[46:47]
	v_fma_f64 v[50:51], -v[46:47], v[48:49], 1.0
	v_fma_f64 v[48:49], v[48:49], v[50:51], v[48:49]
	v_div_scale_f64 v[50:51], vcc, 1.0, v[43:44], 1.0
	v_fma_f64 v[52:53], -v[46:47], v[48:49], 1.0
	v_fma_f64 v[48:49], v[48:49], v[52:53], v[48:49]
	v_mul_f64 v[52:53], v[50:51], v[48:49]
	v_fma_f64 v[46:47], -v[46:47], v[52:53], v[50:51]
	v_mov_b32_e32 v51, s13
	v_mov_b32_e32 v50, s12
	v_div_fmas_f64 v[46:47], v[46:47], v[48:49], v[52:53]
	v_mov_b32_e32 v49, s15
	v_mov_b32_e32 v48, s14
	v_fma_f64 v[48:49], s[12:13], v[41:42], v[48:49]
	v_fma_f64 v[41:42], s[14:15], v[41:42], -v[50:51]
	v_div_fixup_f64 v[46:47], v[46:47], v[43:44], 1.0
	v_mul_f64 v[43:44], v[48:49], v[46:47]
	v_mul_f64 v[41:42], v[41:42], v[46:47]
.LBB84_74:                              ;   in Loop: Header=BB84_5 Depth=1
	s_or_b64 exec, exec, s[0:1]
	v_mul_f64 v[46:47], s[10:11], v[41:42]
	v_mul_f64 v[48:49], s[8:9], v[41:42]
	s_mov_b64 s[0:1], 0
	v_fma_f64 v[41:42], s[8:9], v[43:44], -v[46:47]
	v_fma_f64 v[43:44], s[10:11], v[43:44], v[48:49]
.LBB84_75:                              ;   in Loop: Header=BB84_5 Depth=1
	s_and_b64 vcc, exec, s[0:1]
	s_cbranch_vccz .LBB84_4
; %bb.76:                               ;   in Loop: Header=BB84_5 Depth=1
                                        ; implicit-def: $vgpr43_vgpr44
                                        ; implicit-def: $vgpr41_vgpr42
	s_and_saveexec_b64 s[0:1], s[2:3]
	s_xor_b64 s[2:3], exec, s[0:1]
	s_cbranch_execz .LBB84_82
; %bb.77:                               ;   in Loop: Header=BB84_5 Depth=1
	v_cmp_neq_f64_e32 vcc, 0, v[17:18]
	v_cmp_neq_f64_e64 s[0:1], 0, v[19:20]
                                        ; implicit-def: $vgpr43_vgpr44
                                        ; implicit-def: $vgpr41_vgpr42
	s_or_b64 s[0:1], vcc, s[0:1]
	s_and_saveexec_b64 s[6:7], s[0:1]
	s_xor_b64 s[0:1], exec, s[6:7]
	s_cbranch_execz .LBB84_79
; %bb.78:                               ;   in Loop: Header=BB84_5 Depth=1
	v_div_scale_f64 v[21:22], s[6:7], v[17:18], v[17:18], v[19:20]
	v_rcp_f64_e32 v[23:24], v[21:22]
	v_fma_f64 v[41:42], -v[21:22], v[23:24], 1.0
	v_fma_f64 v[23:24], v[23:24], v[41:42], v[23:24]
	v_div_scale_f64 v[41:42], vcc, v[19:20], v[17:18], v[19:20]
	v_fma_f64 v[43:44], -v[21:22], v[23:24], 1.0
	v_fma_f64 v[23:24], v[23:24], v[43:44], v[23:24]
	v_mul_f64 v[43:44], v[41:42], v[23:24]
	v_fma_f64 v[21:22], -v[21:22], v[43:44], v[41:42]
	v_div_fmas_f64 v[21:22], v[21:22], v[23:24], v[43:44]
	v_div_fixup_f64 v[21:22], v[21:22], v[17:18], v[19:20]
	v_fma_f64 v[17:18], v[19:20], v[21:22], v[17:18]
	v_div_scale_f64 v[19:20], s[6:7], v[17:18], v[17:18], 1.0
	v_rcp_f64_e32 v[23:24], v[19:20]
	v_fma_f64 v[41:42], -v[19:20], v[23:24], 1.0
	v_fma_f64 v[23:24], v[23:24], v[41:42], v[23:24]
	v_div_scale_f64 v[41:42], vcc, 1.0, v[17:18], 1.0
	v_fma_f64 v[43:44], -v[19:20], v[23:24], 1.0
	v_fma_f64 v[23:24], v[23:24], v[43:44], v[23:24]
	v_mul_f64 v[43:44], v[41:42], v[23:24]
	v_fma_f64 v[19:20], -v[19:20], v[43:44], v[41:42]
	v_mov_b32_e32 v42, s15
	v_mov_b32_e32 v41, s14
	v_div_fmas_f64 v[19:20], v[19:20], v[23:24], v[43:44]
	v_mov_b32_e32 v24, s13
	v_mov_b32_e32 v23, s12
	v_fma_f64 v[23:24], s[14:15], v[21:22], v[23:24]
	v_div_fixup_f64 v[17:18], v[19:20], v[17:18], 1.0
	v_fma_f64 v[19:20], -s[12:13], v[21:22], v[41:42]
                                        ; implicit-def: $vgpr21_vgpr22
	v_mul_f64 v[41:42], v[23:24], v[17:18]
	v_mul_f64 v[43:44], v[19:20], v[17:18]
                                        ; implicit-def: $vgpr23_vgpr24
.LBB84_79:                              ;   in Loop: Header=BB84_5 Depth=1
	s_andn2_saveexec_b64 s[6:7], s[0:1]
	s_cbranch_execz .LBB84_81
; %bb.80:                               ;   in Loop: Header=BB84_5 Depth=1
	v_div_scale_f64 v[17:18], s[0:1], v[21:22], v[21:22], s[12:13]
	v_div_scale_f64 v[19:20], s[0:1], v[23:24], v[23:24], s[14:15]
	;; [unrolled: 1-line block ×3, first 2 shown]
	v_rcp_f64_e32 v[41:42], v[17:18]
	v_rcp_f64_e32 v[43:44], v[19:20]
	v_fma_f64 v[46:47], -v[17:18], v[41:42], 1.0
	v_fma_f64 v[48:49], -v[19:20], v[43:44], 1.0
	v_fma_f64 v[41:42], v[41:42], v[46:47], v[41:42]
	v_div_scale_f64 v[46:47], vcc, s[12:13], v[21:22], s[12:13]
	v_fma_f64 v[43:44], v[43:44], v[48:49], v[43:44]
	v_fma_f64 v[48:49], -v[17:18], v[41:42], 1.0
	v_fma_f64 v[52:53], -v[19:20], v[43:44], 1.0
	v_fma_f64 v[41:42], v[41:42], v[48:49], v[41:42]
	v_fma_f64 v[43:44], v[43:44], v[52:53], v[43:44]
	v_mul_f64 v[48:49], v[46:47], v[41:42]
	v_mul_f64 v[52:53], v[50:51], v[43:44]
	v_fma_f64 v[17:18], -v[17:18], v[48:49], v[46:47]
	v_fma_f64 v[19:20], -v[19:20], v[52:53], v[50:51]
	v_div_fmas_f64 v[17:18], v[17:18], v[41:42], v[48:49]
	s_mov_b64 vcc, s[0:1]
	v_div_fmas_f64 v[19:20], v[19:20], v[43:44], v[52:53]
	v_div_fixup_f64 v[41:42], v[17:18], v[21:22], s[12:13]
	v_div_fixup_f64 v[43:44], v[19:20], v[23:24], s[14:15]
.LBB84_81:                              ;   in Loop: Header=BB84_5 Depth=1
	s_or_b64 exec, exec, s[6:7]
                                        ; implicit-def: $vgpr19_vgpr20
.LBB84_82:                              ;   in Loop: Header=BB84_5 Depth=1
	s_andn2_saveexec_b64 s[0:1], s[2:3]
	s_cbranch_execz .LBB84_3
; %bb.83:                               ;   in Loop: Header=BB84_5 Depth=1
	v_div_scale_f64 v[21:22], s[2:3], v[19:20], v[19:20], v[17:18]
	v_rcp_f64_e32 v[23:24], v[21:22]
	v_fma_f64 v[41:42], -v[21:22], v[23:24], 1.0
	v_fma_f64 v[23:24], v[23:24], v[41:42], v[23:24]
	v_div_scale_f64 v[41:42], vcc, v[17:18], v[19:20], v[17:18]
	v_fma_f64 v[43:44], -v[21:22], v[23:24], 1.0
	v_fma_f64 v[23:24], v[23:24], v[43:44], v[23:24]
	v_mul_f64 v[43:44], v[41:42], v[23:24]
	v_fma_f64 v[21:22], -v[21:22], v[43:44], v[41:42]
	v_div_fmas_f64 v[21:22], v[21:22], v[23:24], v[43:44]
	v_div_fixup_f64 v[21:22], v[21:22], v[19:20], v[17:18]
	v_fma_f64 v[17:18], v[17:18], v[21:22], v[19:20]
	v_div_scale_f64 v[19:20], s[2:3], v[17:18], v[17:18], 1.0
	v_rcp_f64_e32 v[23:24], v[19:20]
	v_fma_f64 v[41:42], -v[19:20], v[23:24], 1.0
	v_fma_f64 v[23:24], v[23:24], v[41:42], v[23:24]
	v_div_scale_f64 v[41:42], vcc, 1.0, v[17:18], 1.0
	v_fma_f64 v[43:44], -v[19:20], v[23:24], 1.0
	v_fma_f64 v[23:24], v[23:24], v[43:44], v[23:24]
	v_mul_f64 v[43:44], v[41:42], v[23:24]
	v_fma_f64 v[19:20], -v[19:20], v[43:44], v[41:42]
	v_mov_b32_e32 v42, s13
	v_mov_b32_e32 v41, s12
	v_div_fmas_f64 v[19:20], v[19:20], v[23:24], v[43:44]
	v_mov_b32_e32 v24, s15
	v_mov_b32_e32 v23, s14
	v_fma_f64 v[23:24], s[12:13], v[21:22], v[23:24]
	v_div_fixup_f64 v[17:18], v[19:20], v[17:18], 1.0
	v_fma_f64 v[19:20], s[14:15], v[21:22], -v[41:42]
	v_mul_f64 v[41:42], v[23:24], v[17:18]
	v_mul_f64 v[43:44], v[19:20], v[17:18]
	s_branch .LBB84_3
.LBB84_84:
	s_or_b64 exec, exec, s[22:23]
	s_mov_b64 s[0:1], 0
.LBB84_85:
	s_andn2_b64 vcc, exec, s[0:1]
	s_cbranch_vccnz .LBB84_185
; %bb.86:
	v_cmp_lt_i64_e64 s[0:1], s[24:25], 1
	s_and_b64 vcc, exec, s[0:1]
	s_cbranch_vccnz .LBB84_185
; %bb.87:
	v_cmp_neq_f64_e64 s[0:1], s[8:9], 1.0
	v_cmp_neq_f64_e64 s[2:3], s[10:11], 0
	v_mov_b32_e32 v1, 0x10000
	s_load_dword s20, s[4:5], 0xc6c
	v_mov_b32_e32 v2, 0
	v_cmp_lt_i64_e32 vcc, s[24:25], v[1:2]
	s_and_b64 s[4:5], vcc, exec
	v_cmp_lt_u64_e32 vcc, s[24:25], v[1:2]
	s_cselect_b32 s7, s25, 0
	s_cselect_b32 s6, s24, 0x10000
	s_waitcnt lgkmcnt(0)
	s_and_b32 s30, s20, 0xffff
	s_or_b64 s[22:23], s[0:1], s[2:3]
	s_and_b64 s[0:1], vcc, exec
	s_mov_b64 s[20:21], 0
	s_cselect_b32 s25, s25, 0
	s_cselect_b32 s24, s24, 0x10000
	s_lshl_b32 s31, s30, 1
	s_mul_i32 s33, s30, 3
	s_lshl_b32 s34, s30, 2
	s_branch .LBB84_89
.LBB84_88:                              ;   in Loop: Header=BB84_89 Depth=1
	s_or_b64 exec, exec, s[0:1]
	s_add_u32 s20, s20, s34
	v_mov_b32_e32 v1, s6
	s_addc_u32 s21, s21, 0
	v_mov_b32_e32 v2, s7
	v_cmp_ge_i64_e32 vcc, s[20:21], v[1:2]
	s_cbranch_vccnz .LBB84_185
.LBB84_89:                              ; =>This Inner Loop Header: Depth=1
	v_mov_b32_e32 v1, s21
	v_add_co_u32_e32 v33, vcc, s20, v0
	v_addc_co_u32_e32 v34, vcc, 0, v1, vcc
	v_cmp_gt_i64_e32 vcc, s[6:7], v[33:34]
	v_mov_b32_e32 v27, 0
	v_mov_b32_e32 v31, 0
	;; [unrolled: 1-line block ×10, first 2 shown]
	s_and_saveexec_b64 s[0:1], vcc
	s_cbranch_execz .LBB84_91
; %bb.90:                               ;   in Loop: Header=BB84_89 Depth=1
	v_lshlrev_b64 v[1:2], 4, v[33:34]
	v_mov_b32_e32 v3, s19
	v_add_co_u32_e32 v5, vcc, s18, v1
	v_addc_co_u32_e32 v6, vcc, v3, v2, vcc
	v_mov_b32_e32 v3, s17
	v_add_co_u32_e32 v7, vcc, s16, v1
	v_addc_co_u32_e32 v8, vcc, v3, v2, vcc
	global_load_dwordx4 v[1:4], v[7:8], off
	global_load_dwordx4 v[29:32], v[5:6], off
.LBB84_91:                              ;   in Loop: Header=BB84_89 Depth=1
	s_or_b64 exec, exec, s[0:1]
	v_add_co_u32_e32 v35, vcc, s30, v33
	v_addc_co_u32_e32 v36, vcc, 0, v34, vcc
	v_cmp_gt_i64_e32 vcc, s[6:7], v[35:36]
	v_mov_b32_e32 v25, 0
	v_mov_b32_e32 v7, 0
	v_mov_b32_e32 v5, 0
	v_mov_b32_e32 v26, 0
	v_mov_b32_e32 v8, 0
	v_mov_b32_e32 v6, 0
	s_and_saveexec_b64 s[0:1], vcc
	s_cbranch_execz .LBB84_93
; %bb.92:                               ;   in Loop: Header=BB84_89 Depth=1
	v_lshlrev_b64 v[5:6], 4, v[35:36]
	v_mov_b32_e32 v7, s19
	v_add_co_u32_e32 v9, vcc, s18, v5
	v_addc_co_u32_e32 v10, vcc, v7, v6, vcc
	v_mov_b32_e32 v7, s17
	v_add_co_u32_e32 v11, vcc, s16, v5
	v_addc_co_u32_e32 v12, vcc, v7, v6, vcc
	global_load_dwordx4 v[5:8], v[11:12], off
	global_load_dwordx4 v[25:28], v[9:10], off
.LBB84_93:                              ;   in Loop: Header=BB84_89 Depth=1
	s_or_b64 exec, exec, s[0:1]
	v_add_co_u32_e32 v37, vcc, s31, v33
	v_addc_co_u32_e32 v38, vcc, 0, v34, vcc
	v_cmp_gt_i64_e32 vcc, s[6:7], v[37:38]
	v_mov_b32_e32 v19, 0
	v_mov_b32_e32 v23, 0
	;; [unrolled: 1-line block ×10, first 2 shown]
	s_and_saveexec_b64 s[0:1], vcc
	s_cbranch_execz .LBB84_95
; %bb.94:                               ;   in Loop: Header=BB84_89 Depth=1
	v_lshlrev_b64 v[9:10], 4, v[37:38]
	v_mov_b32_e32 v11, s19
	v_add_co_u32_e32 v13, vcc, s18, v9
	v_addc_co_u32_e32 v14, vcc, v11, v10, vcc
	v_mov_b32_e32 v11, s17
	v_add_co_u32_e32 v15, vcc, s16, v9
	v_addc_co_u32_e32 v16, vcc, v11, v10, vcc
	global_load_dwordx4 v[9:12], v[15:16], off
	global_load_dwordx4 v[21:24], v[13:14], off
.LBB84_95:                              ;   in Loop: Header=BB84_89 Depth=1
	s_or_b64 exec, exec, s[0:1]
	v_add_co_u32_e32 v39, vcc, s33, v33
	v_addc_co_u32_e32 v40, vcc, 0, v34, vcc
	v_cmp_gt_i64_e32 vcc, s[6:7], v[39:40]
	v_mov_b32_e32 v17, 0
	v_mov_b32_e32 v15, 0
	;; [unrolled: 1-line block ×6, first 2 shown]
	s_and_saveexec_b64 s[0:1], vcc
	s_cbranch_execz .LBB84_97
; %bb.96:                               ;   in Loop: Header=BB84_89 Depth=1
	v_lshlrev_b64 v[13:14], 4, v[39:40]
	v_mov_b32_e32 v15, s19
	v_add_co_u32_e32 v41, vcc, s18, v13
	v_addc_co_u32_e32 v42, vcc, v15, v14, vcc
	v_mov_b32_e32 v15, s17
	v_add_co_u32_e32 v43, vcc, s16, v13
	v_addc_co_u32_e32 v44, vcc, v15, v14, vcc
	global_load_dwordx4 v[13:16], v[43:44], off
	global_load_dwordx4 v[17:20], v[41:42], off
.LBB84_97:                              ;   in Loop: Header=BB84_89 Depth=1
	s_or_b64 exec, exec, s[0:1]
	s_waitcnt vmcnt(0)
	v_cmp_gt_f64_e32 vcc, 0, v[29:30]
	v_xor_b32_e32 v41, 0x80000000, v30
	v_mov_b32_e32 v45, v29
	v_mov_b32_e32 v47, v31
	s_mov_b64 s[2:3], -1
                                        ; implicit-def: $vgpr43_vgpr44
	v_cndmask_b32_e32 v46, v30, v41, vcc
	v_cmp_gt_f64_e32 vcc, 0, v[31:32]
	v_xor_b32_e32 v41, 0x80000000, v32
	v_cndmask_b32_e32 v48, v32, v41, vcc
	v_cmp_ge_f64_e64 s[0:1], v[45:46], v[47:48]
	s_and_b64 vcc, exec, s[22:23]
                                        ; implicit-def: $vgpr41_vgpr42
	s_cbranch_vccz .LBB84_107
; %bb.98:                               ;   in Loop: Header=BB84_89 Depth=1
                                        ; implicit-def: $vgpr41_vgpr42
                                        ; implicit-def: $vgpr43_vgpr44
	s_and_saveexec_b64 s[2:3], s[0:1]
	s_xor_b64 s[4:5], exec, s[2:3]
	s_cbranch_execz .LBB84_104
; %bb.99:                               ;   in Loop: Header=BB84_89 Depth=1
	v_cmp_neq_f64_e32 vcc, 0, v[29:30]
	v_cmp_neq_f64_e64 s[2:3], 0, v[31:32]
                                        ; implicit-def: $vgpr41_vgpr42
                                        ; implicit-def: $vgpr43_vgpr44
	s_or_b64 s[2:3], s[2:3], vcc
	s_and_saveexec_b64 s[26:27], s[2:3]
	s_xor_b64 s[2:3], exec, s[26:27]
	s_cbranch_execz .LBB84_101
; %bb.100:                              ;   in Loop: Header=BB84_89 Depth=1
	v_div_scale_f64 v[41:42], s[26:27], v[29:30], v[29:30], v[31:32]
	v_rcp_f64_e32 v[43:44], v[41:42]
	v_fma_f64 v[49:50], -v[41:42], v[43:44], 1.0
	v_fma_f64 v[43:44], v[43:44], v[49:50], v[43:44]
	v_div_scale_f64 v[49:50], vcc, v[31:32], v[29:30], v[31:32]
	v_fma_f64 v[51:52], -v[41:42], v[43:44], 1.0
	v_fma_f64 v[43:44], v[43:44], v[51:52], v[43:44]
	v_mul_f64 v[51:52], v[49:50], v[43:44]
	v_fma_f64 v[41:42], -v[41:42], v[51:52], v[49:50]
	v_div_fmas_f64 v[41:42], v[41:42], v[43:44], v[51:52]
	v_div_fixup_f64 v[41:42], v[41:42], v[29:30], v[31:32]
	v_fma_f64 v[43:44], v[31:32], v[41:42], v[29:30]
	v_div_scale_f64 v[49:50], s[26:27], v[43:44], v[43:44], 1.0
	v_rcp_f64_e32 v[51:52], v[49:50]
	v_fma_f64 v[53:54], -v[49:50], v[51:52], 1.0
	v_fma_f64 v[51:52], v[51:52], v[53:54], v[51:52]
	v_div_scale_f64 v[53:54], vcc, 1.0, v[43:44], 1.0
	v_fma_f64 v[55:56], -v[49:50], v[51:52], 1.0
	v_fma_f64 v[51:52], v[51:52], v[55:56], v[51:52]
	v_mul_f64 v[55:56], v[53:54], v[51:52]
	v_fma_f64 v[49:50], -v[49:50], v[55:56], v[53:54]
	v_mov_b32_e32 v54, s15
	v_mov_b32_e32 v53, s14
	v_div_fmas_f64 v[49:50], v[49:50], v[51:52], v[55:56]
	v_mov_b32_e32 v52, s13
	v_mov_b32_e32 v51, s12
	v_fma_f64 v[51:52], s[14:15], v[41:42], v[51:52]
	v_fma_f64 v[41:42], -s[12:13], v[41:42], v[53:54]
	v_div_fixup_f64 v[49:50], v[49:50], v[43:44], 1.0
	v_mul_f64 v[43:44], v[51:52], v[49:50]
	v_mul_f64 v[41:42], v[41:42], v[49:50]
.LBB84_101:                             ;   in Loop: Header=BB84_89 Depth=1
	s_andn2_saveexec_b64 s[26:27], s[2:3]
	s_cbranch_execz .LBB84_103
; %bb.102:                              ;   in Loop: Header=BB84_89 Depth=1
	v_div_scale_f64 v[41:42], s[2:3], v[45:46], v[45:46], s[12:13]
	v_div_scale_f64 v[43:44], s[2:3], v[47:48], v[47:48], s[14:15]
	;; [unrolled: 1-line block ×3, first 2 shown]
	v_rcp_f64_e32 v[49:50], v[41:42]
	v_rcp_f64_e32 v[51:52], v[43:44]
	v_fma_f64 v[53:54], -v[41:42], v[49:50], 1.0
	v_fma_f64 v[55:56], -v[43:44], v[51:52], 1.0
	v_fma_f64 v[49:50], v[49:50], v[53:54], v[49:50]
	v_div_scale_f64 v[53:54], vcc, s[12:13], v[45:46], s[12:13]
	v_fma_f64 v[51:52], v[51:52], v[55:56], v[51:52]
	v_fma_f64 v[55:56], -v[41:42], v[49:50], 1.0
	v_fma_f64 v[59:60], -v[43:44], v[51:52], 1.0
	v_fma_f64 v[49:50], v[49:50], v[55:56], v[49:50]
	v_fma_f64 v[51:52], v[51:52], v[59:60], v[51:52]
	v_mul_f64 v[55:56], v[53:54], v[49:50]
	v_mul_f64 v[59:60], v[57:58], v[51:52]
	v_fma_f64 v[41:42], -v[41:42], v[55:56], v[53:54]
	v_fma_f64 v[43:44], -v[43:44], v[59:60], v[57:58]
	v_div_fmas_f64 v[41:42], v[41:42], v[49:50], v[55:56]
	s_mov_b64 vcc, s[2:3]
	v_div_fmas_f64 v[49:50], v[43:44], v[51:52], v[59:60]
	v_div_fixup_f64 v[43:44], v[41:42], v[45:46], s[12:13]
	v_div_fixup_f64 v[41:42], v[49:50], v[47:48], s[14:15]
.LBB84_103:                             ;   in Loop: Header=BB84_89 Depth=1
	s_or_b64 exec, exec, s[26:27]
.LBB84_104:                             ;   in Loop: Header=BB84_89 Depth=1
	s_andn2_saveexec_b64 s[2:3], s[4:5]
	s_cbranch_execz .LBB84_106
; %bb.105:                              ;   in Loop: Header=BB84_89 Depth=1
	v_div_scale_f64 v[41:42], s[4:5], v[31:32], v[31:32], v[29:30]
	v_rcp_f64_e32 v[43:44], v[41:42]
	v_fma_f64 v[49:50], -v[41:42], v[43:44], 1.0
	v_fma_f64 v[43:44], v[43:44], v[49:50], v[43:44]
	v_div_scale_f64 v[49:50], vcc, v[29:30], v[31:32], v[29:30]
	v_fma_f64 v[51:52], -v[41:42], v[43:44], 1.0
	v_fma_f64 v[43:44], v[43:44], v[51:52], v[43:44]
	v_mul_f64 v[51:52], v[49:50], v[43:44]
	v_fma_f64 v[41:42], -v[41:42], v[51:52], v[49:50]
	v_div_fmas_f64 v[41:42], v[41:42], v[43:44], v[51:52]
	v_div_fixup_f64 v[41:42], v[41:42], v[31:32], v[29:30]
	v_fma_f64 v[43:44], v[29:30], v[41:42], v[31:32]
	v_div_scale_f64 v[49:50], s[4:5], v[43:44], v[43:44], 1.0
	v_rcp_f64_e32 v[51:52], v[49:50]
	v_fma_f64 v[53:54], -v[49:50], v[51:52], 1.0
	v_fma_f64 v[51:52], v[51:52], v[53:54], v[51:52]
	v_div_scale_f64 v[53:54], vcc, 1.0, v[43:44], 1.0
	v_fma_f64 v[55:56], -v[49:50], v[51:52], 1.0
	v_fma_f64 v[51:52], v[51:52], v[55:56], v[51:52]
	v_mul_f64 v[55:56], v[53:54], v[51:52]
	v_fma_f64 v[49:50], -v[49:50], v[55:56], v[53:54]
	v_mov_b32_e32 v54, s13
	v_mov_b32_e32 v53, s12
	v_div_fmas_f64 v[49:50], v[49:50], v[51:52], v[55:56]
	v_mov_b32_e32 v52, s15
	v_mov_b32_e32 v51, s14
	v_fma_f64 v[51:52], s[12:13], v[41:42], v[51:52]
	v_fma_f64 v[41:42], s[14:15], v[41:42], -v[53:54]
	v_div_fixup_f64 v[49:50], v[49:50], v[43:44], 1.0
	v_mul_f64 v[43:44], v[51:52], v[49:50]
	v_mul_f64 v[41:42], v[41:42], v[49:50]
.LBB84_106:                             ;   in Loop: Header=BB84_89 Depth=1
	s_or_b64 exec, exec, s[2:3]
	v_mul_f64 v[49:50], s[10:11], v[41:42]
	v_mul_f64 v[51:52], s[8:9], v[41:42]
	s_mov_b64 s[2:3], 0
	v_fma_f64 v[41:42], s[8:9], v[43:44], -v[49:50]
	v_fma_f64 v[43:44], s[10:11], v[43:44], v[51:52]
.LBB84_107:                             ;   in Loop: Header=BB84_89 Depth=1
	s_and_b64 vcc, exec, s[2:3]
	s_cbranch_vccz .LBB84_117
; %bb.108:                              ;   in Loop: Header=BB84_89 Depth=1
                                        ; implicit-def: $vgpr43_vgpr44
                                        ; implicit-def: $vgpr41_vgpr42
	s_and_saveexec_b64 s[2:3], s[0:1]
	s_xor_b64 s[2:3], exec, s[2:3]
	s_cbranch_execz .LBB84_114
; %bb.109:                              ;   in Loop: Header=BB84_89 Depth=1
	v_cmp_neq_f64_e32 vcc, 0, v[29:30]
	v_cmp_neq_f64_e64 s[0:1], 0, v[31:32]
                                        ; implicit-def: $vgpr43_vgpr44
                                        ; implicit-def: $vgpr41_vgpr42
	s_or_b64 s[0:1], s[0:1], vcc
	s_and_saveexec_b64 s[4:5], s[0:1]
	s_xor_b64 s[0:1], exec, s[4:5]
	s_cbranch_execz .LBB84_111
; %bb.110:                              ;   in Loop: Header=BB84_89 Depth=1
	v_div_scale_f64 v[41:42], s[4:5], v[29:30], v[29:30], v[31:32]
	v_rcp_f64_e32 v[43:44], v[41:42]
	v_fma_f64 v[45:46], -v[41:42], v[43:44], 1.0
	v_fma_f64 v[43:44], v[43:44], v[45:46], v[43:44]
	v_div_scale_f64 v[45:46], vcc, v[31:32], v[29:30], v[31:32]
	v_fma_f64 v[47:48], -v[41:42], v[43:44], 1.0
	v_fma_f64 v[43:44], v[43:44], v[47:48], v[43:44]
	v_mul_f64 v[47:48], v[45:46], v[43:44]
	v_fma_f64 v[41:42], -v[41:42], v[47:48], v[45:46]
	v_div_fmas_f64 v[41:42], v[41:42], v[43:44], v[47:48]
	v_div_fixup_f64 v[41:42], v[41:42], v[29:30], v[31:32]
	v_fma_f64 v[29:30], v[31:32], v[41:42], v[29:30]
	v_div_scale_f64 v[31:32], s[4:5], v[29:30], v[29:30], 1.0
	v_rcp_f64_e32 v[43:44], v[31:32]
	v_fma_f64 v[45:46], -v[31:32], v[43:44], 1.0
	v_fma_f64 v[43:44], v[43:44], v[45:46], v[43:44]
	v_div_scale_f64 v[45:46], vcc, 1.0, v[29:30], 1.0
	v_fma_f64 v[47:48], -v[31:32], v[43:44], 1.0
	v_fma_f64 v[43:44], v[43:44], v[47:48], v[43:44]
	v_mul_f64 v[47:48], v[45:46], v[43:44]
	v_fma_f64 v[31:32], -v[31:32], v[47:48], v[45:46]
	v_mov_b32_e32 v46, s15
	v_mov_b32_e32 v45, s14
	v_div_fmas_f64 v[31:32], v[31:32], v[43:44], v[47:48]
	v_mov_b32_e32 v44, s13
	v_mov_b32_e32 v43, s12
	v_fma_f64 v[43:44], s[14:15], v[41:42], v[43:44]
                                        ; implicit-def: $vgpr47_vgpr48
	v_div_fixup_f64 v[29:30], v[31:32], v[29:30], 1.0
	v_fma_f64 v[31:32], -s[12:13], v[41:42], v[45:46]
                                        ; implicit-def: $vgpr45_vgpr46
	v_mul_f64 v[41:42], v[43:44], v[29:30]
	v_mul_f64 v[43:44], v[31:32], v[29:30]
.LBB84_111:                             ;   in Loop: Header=BB84_89 Depth=1
	s_andn2_saveexec_b64 s[4:5], s[0:1]
	s_cbranch_execz .LBB84_113
; %bb.112:                              ;   in Loop: Header=BB84_89 Depth=1
	v_div_scale_f64 v[29:30], s[0:1], v[45:46], v[45:46], s[12:13]
	v_div_scale_f64 v[31:32], s[0:1], v[47:48], v[47:48], s[14:15]
	;; [unrolled: 1-line block ×3, first 2 shown]
	v_rcp_f64_e32 v[41:42], v[29:30]
	v_rcp_f64_e32 v[43:44], v[31:32]
	v_fma_f64 v[49:50], -v[29:30], v[41:42], 1.0
	v_fma_f64 v[51:52], -v[31:32], v[43:44], 1.0
	v_fma_f64 v[41:42], v[41:42], v[49:50], v[41:42]
	v_div_scale_f64 v[49:50], vcc, s[12:13], v[45:46], s[12:13]
	v_fma_f64 v[43:44], v[43:44], v[51:52], v[43:44]
	v_fma_f64 v[51:52], -v[29:30], v[41:42], 1.0
	v_fma_f64 v[55:56], -v[31:32], v[43:44], 1.0
	v_fma_f64 v[41:42], v[41:42], v[51:52], v[41:42]
	v_fma_f64 v[43:44], v[43:44], v[55:56], v[43:44]
	v_mul_f64 v[51:52], v[49:50], v[41:42]
	v_mul_f64 v[55:56], v[53:54], v[43:44]
	v_fma_f64 v[29:30], -v[29:30], v[51:52], v[49:50]
	v_fma_f64 v[31:32], -v[31:32], v[55:56], v[53:54]
	v_div_fmas_f64 v[29:30], v[29:30], v[41:42], v[51:52]
	s_mov_b64 vcc, s[0:1]
	v_div_fmas_f64 v[31:32], v[31:32], v[43:44], v[55:56]
	v_div_fixup_f64 v[41:42], v[29:30], v[45:46], s[12:13]
	v_div_fixup_f64 v[43:44], v[31:32], v[47:48], s[14:15]
.LBB84_113:                             ;   in Loop: Header=BB84_89 Depth=1
	s_or_b64 exec, exec, s[4:5]
                                        ; implicit-def: $vgpr31_vgpr32
.LBB84_114:                             ;   in Loop: Header=BB84_89 Depth=1
	s_andn2_saveexec_b64 s[0:1], s[2:3]
	s_cbranch_execz .LBB84_116
; %bb.115:                              ;   in Loop: Header=BB84_89 Depth=1
	v_div_scale_f64 v[41:42], s[2:3], v[31:32], v[31:32], v[29:30]
	v_rcp_f64_e32 v[43:44], v[41:42]
	v_fma_f64 v[45:46], -v[41:42], v[43:44], 1.0
	v_fma_f64 v[43:44], v[43:44], v[45:46], v[43:44]
	v_div_scale_f64 v[45:46], vcc, v[29:30], v[31:32], v[29:30]
	v_fma_f64 v[47:48], -v[41:42], v[43:44], 1.0
	v_fma_f64 v[43:44], v[43:44], v[47:48], v[43:44]
	v_mul_f64 v[47:48], v[45:46], v[43:44]
	v_fma_f64 v[41:42], -v[41:42], v[47:48], v[45:46]
	v_div_fmas_f64 v[41:42], v[41:42], v[43:44], v[47:48]
	v_div_fixup_f64 v[41:42], v[41:42], v[31:32], v[29:30]
	v_fma_f64 v[29:30], v[29:30], v[41:42], v[31:32]
	v_div_scale_f64 v[31:32], s[2:3], v[29:30], v[29:30], 1.0
	v_rcp_f64_e32 v[43:44], v[31:32]
	v_fma_f64 v[45:46], -v[31:32], v[43:44], 1.0
	v_fma_f64 v[43:44], v[43:44], v[45:46], v[43:44]
	v_div_scale_f64 v[45:46], vcc, 1.0, v[29:30], 1.0
	v_fma_f64 v[47:48], -v[31:32], v[43:44], 1.0
	v_fma_f64 v[43:44], v[43:44], v[47:48], v[43:44]
	v_mul_f64 v[47:48], v[45:46], v[43:44]
	v_fma_f64 v[31:32], -v[31:32], v[47:48], v[45:46]
	v_mov_b32_e32 v46, s13
	v_mov_b32_e32 v45, s12
	v_div_fmas_f64 v[31:32], v[31:32], v[43:44], v[47:48]
	v_mov_b32_e32 v44, s15
	v_mov_b32_e32 v43, s14
	v_fma_f64 v[43:44], s[12:13], v[41:42], v[43:44]
	v_div_fixup_f64 v[29:30], v[31:32], v[29:30], 1.0
	v_fma_f64 v[31:32], s[14:15], v[41:42], -v[45:46]
	v_mul_f64 v[41:42], v[43:44], v[29:30]
	v_mul_f64 v[43:44], v[31:32], v[29:30]
.LBB84_116:                             ;   in Loop: Header=BB84_89 Depth=1
	s_or_b64 exec, exec, s[0:1]
.LBB84_117:                             ;   in Loop: Header=BB84_89 Depth=1
	v_cmp_gt_f64_e32 vcc, 0, v[25:26]
	v_xor_b32_e32 v29, 0x80000000, v26
	v_mov_b32_e32 v45, v25
	v_mov_b32_e32 v47, v27
	s_mov_b64 s[4:5], -1
                                        ; implicit-def: $vgpr31_vgpr32
	v_cndmask_b32_e32 v46, v26, v29, vcc
	v_cmp_gt_f64_e32 vcc, 0, v[27:28]
	v_xor_b32_e32 v29, 0x80000000, v28
	v_cndmask_b32_e32 v48, v28, v29, vcc
	v_cmp_ge_f64_e64 s[2:3], v[45:46], v[47:48]
	v_cndmask_b32_e64 v29, 0, 1, s[22:23]
	v_cmp_ne_u32_e64 s[0:1], 1, v29
	s_andn2_b64 vcc, exec, s[22:23]
                                        ; implicit-def: $vgpr29_vgpr30
	s_cbranch_vccnz .LBB84_127
; %bb.118:                              ;   in Loop: Header=BB84_89 Depth=1
                                        ; implicit-def: $vgpr29_vgpr30
                                        ; implicit-def: $vgpr31_vgpr32
	s_and_saveexec_b64 s[4:5], s[2:3]
	s_xor_b64 s[26:27], exec, s[4:5]
	s_cbranch_execz .LBB84_124
; %bb.119:                              ;   in Loop: Header=BB84_89 Depth=1
	v_cmp_neq_f64_e32 vcc, 0, v[25:26]
	v_cmp_neq_f64_e64 s[4:5], 0, v[27:28]
                                        ; implicit-def: $vgpr29_vgpr30
                                        ; implicit-def: $vgpr31_vgpr32
	s_or_b64 s[4:5], s[4:5], vcc
	s_and_saveexec_b64 s[28:29], s[4:5]
	s_xor_b64 s[4:5], exec, s[28:29]
	s_cbranch_execz .LBB84_121
; %bb.120:                              ;   in Loop: Header=BB84_89 Depth=1
	v_div_scale_f64 v[29:30], s[28:29], v[25:26], v[25:26], v[27:28]
	v_rcp_f64_e32 v[31:32], v[29:30]
	v_fma_f64 v[49:50], -v[29:30], v[31:32], 1.0
	v_fma_f64 v[31:32], v[31:32], v[49:50], v[31:32]
	v_div_scale_f64 v[49:50], vcc, v[27:28], v[25:26], v[27:28]
	v_fma_f64 v[51:52], -v[29:30], v[31:32], 1.0
	v_fma_f64 v[31:32], v[31:32], v[51:52], v[31:32]
	v_mul_f64 v[51:52], v[49:50], v[31:32]
	v_fma_f64 v[29:30], -v[29:30], v[51:52], v[49:50]
	v_div_fmas_f64 v[29:30], v[29:30], v[31:32], v[51:52]
	v_div_fixup_f64 v[29:30], v[29:30], v[25:26], v[27:28]
	v_fma_f64 v[31:32], v[27:28], v[29:30], v[25:26]
	v_div_scale_f64 v[49:50], s[28:29], v[31:32], v[31:32], 1.0
	v_rcp_f64_e32 v[51:52], v[49:50]
	v_fma_f64 v[53:54], -v[49:50], v[51:52], 1.0
	v_fma_f64 v[51:52], v[51:52], v[53:54], v[51:52]
	v_div_scale_f64 v[53:54], vcc, 1.0, v[31:32], 1.0
	v_fma_f64 v[55:56], -v[49:50], v[51:52], 1.0
	v_fma_f64 v[51:52], v[51:52], v[55:56], v[51:52]
	v_mul_f64 v[55:56], v[53:54], v[51:52]
	v_fma_f64 v[49:50], -v[49:50], v[55:56], v[53:54]
	v_mov_b32_e32 v54, s15
	v_mov_b32_e32 v53, s14
	v_div_fmas_f64 v[49:50], v[49:50], v[51:52], v[55:56]
	v_mov_b32_e32 v52, s13
	v_mov_b32_e32 v51, s12
	v_fma_f64 v[51:52], s[14:15], v[29:30], v[51:52]
	v_fma_f64 v[29:30], -s[12:13], v[29:30], v[53:54]
	v_div_fixup_f64 v[49:50], v[49:50], v[31:32], 1.0
	v_mul_f64 v[31:32], v[51:52], v[49:50]
	v_mul_f64 v[29:30], v[29:30], v[49:50]
.LBB84_121:                             ;   in Loop: Header=BB84_89 Depth=1
	s_andn2_saveexec_b64 s[28:29], s[4:5]
	s_cbranch_execz .LBB84_123
; %bb.122:                              ;   in Loop: Header=BB84_89 Depth=1
	v_div_scale_f64 v[29:30], s[4:5], v[45:46], v[45:46], s[12:13]
	v_div_scale_f64 v[31:32], s[4:5], v[47:48], v[47:48], s[14:15]
	;; [unrolled: 1-line block ×3, first 2 shown]
	v_rcp_f64_e32 v[49:50], v[29:30]
	v_rcp_f64_e32 v[51:52], v[31:32]
	v_fma_f64 v[53:54], -v[29:30], v[49:50], 1.0
	v_fma_f64 v[55:56], -v[31:32], v[51:52], 1.0
	v_fma_f64 v[49:50], v[49:50], v[53:54], v[49:50]
	v_div_scale_f64 v[53:54], vcc, s[12:13], v[45:46], s[12:13]
	v_fma_f64 v[51:52], v[51:52], v[55:56], v[51:52]
	v_fma_f64 v[55:56], -v[29:30], v[49:50], 1.0
	v_fma_f64 v[59:60], -v[31:32], v[51:52], 1.0
	v_fma_f64 v[49:50], v[49:50], v[55:56], v[49:50]
	v_fma_f64 v[51:52], v[51:52], v[59:60], v[51:52]
	v_mul_f64 v[55:56], v[53:54], v[49:50]
	v_mul_f64 v[59:60], v[57:58], v[51:52]
	v_fma_f64 v[29:30], -v[29:30], v[55:56], v[53:54]
	v_fma_f64 v[31:32], -v[31:32], v[59:60], v[57:58]
	v_div_fmas_f64 v[29:30], v[29:30], v[49:50], v[55:56]
	s_mov_b64 vcc, s[4:5]
	v_div_fmas_f64 v[49:50], v[31:32], v[51:52], v[59:60]
	v_div_fixup_f64 v[31:32], v[29:30], v[45:46], s[12:13]
	v_div_fixup_f64 v[29:30], v[49:50], v[47:48], s[14:15]
.LBB84_123:                             ;   in Loop: Header=BB84_89 Depth=1
	s_or_b64 exec, exec, s[28:29]
.LBB84_124:                             ;   in Loop: Header=BB84_89 Depth=1
	s_andn2_saveexec_b64 s[4:5], s[26:27]
	s_cbranch_execz .LBB84_126
; %bb.125:                              ;   in Loop: Header=BB84_89 Depth=1
	v_div_scale_f64 v[29:30], s[26:27], v[27:28], v[27:28], v[25:26]
	v_rcp_f64_e32 v[31:32], v[29:30]
	v_fma_f64 v[49:50], -v[29:30], v[31:32], 1.0
	v_fma_f64 v[31:32], v[31:32], v[49:50], v[31:32]
	v_div_scale_f64 v[49:50], vcc, v[25:26], v[27:28], v[25:26]
	v_fma_f64 v[51:52], -v[29:30], v[31:32], 1.0
	v_fma_f64 v[31:32], v[31:32], v[51:52], v[31:32]
	v_mul_f64 v[51:52], v[49:50], v[31:32]
	v_fma_f64 v[29:30], -v[29:30], v[51:52], v[49:50]
	v_div_fmas_f64 v[29:30], v[29:30], v[31:32], v[51:52]
	v_div_fixup_f64 v[29:30], v[29:30], v[27:28], v[25:26]
	v_fma_f64 v[31:32], v[25:26], v[29:30], v[27:28]
	v_div_scale_f64 v[49:50], s[26:27], v[31:32], v[31:32], 1.0
	v_rcp_f64_e32 v[51:52], v[49:50]
	v_fma_f64 v[53:54], -v[49:50], v[51:52], 1.0
	v_fma_f64 v[51:52], v[51:52], v[53:54], v[51:52]
	v_div_scale_f64 v[53:54], vcc, 1.0, v[31:32], 1.0
	v_fma_f64 v[55:56], -v[49:50], v[51:52], 1.0
	v_fma_f64 v[51:52], v[51:52], v[55:56], v[51:52]
	v_mul_f64 v[55:56], v[53:54], v[51:52]
	v_fma_f64 v[49:50], -v[49:50], v[55:56], v[53:54]
	v_mov_b32_e32 v54, s13
	v_mov_b32_e32 v53, s12
	v_div_fmas_f64 v[49:50], v[49:50], v[51:52], v[55:56]
	v_mov_b32_e32 v52, s15
	v_mov_b32_e32 v51, s14
	v_fma_f64 v[51:52], s[12:13], v[29:30], v[51:52]
	v_fma_f64 v[29:30], s[14:15], v[29:30], -v[53:54]
	v_div_fixup_f64 v[49:50], v[49:50], v[31:32], 1.0
	v_mul_f64 v[31:32], v[51:52], v[49:50]
	v_mul_f64 v[29:30], v[29:30], v[49:50]
.LBB84_126:                             ;   in Loop: Header=BB84_89 Depth=1
	s_or_b64 exec, exec, s[4:5]
	v_mul_f64 v[49:50], s[10:11], v[29:30]
	v_mul_f64 v[51:52], s[8:9], v[29:30]
	s_mov_b64 s[4:5], 0
	v_fma_f64 v[29:30], s[8:9], v[31:32], -v[49:50]
	v_fma_f64 v[31:32], s[10:11], v[31:32], v[51:52]
.LBB84_127:                             ;   in Loop: Header=BB84_89 Depth=1
	s_and_b64 vcc, exec, s[4:5]
	s_cbranch_vccz .LBB84_137
; %bb.128:                              ;   in Loop: Header=BB84_89 Depth=1
                                        ; implicit-def: $vgpr31_vgpr32
                                        ; implicit-def: $vgpr29_vgpr30
	s_and_saveexec_b64 s[4:5], s[2:3]
	s_xor_b64 s[4:5], exec, s[4:5]
	s_cbranch_execz .LBB84_134
; %bb.129:                              ;   in Loop: Header=BB84_89 Depth=1
	v_cmp_neq_f64_e32 vcc, 0, v[25:26]
	v_cmp_neq_f64_e64 s[2:3], 0, v[27:28]
                                        ; implicit-def: $vgpr31_vgpr32
                                        ; implicit-def: $vgpr29_vgpr30
	s_or_b64 s[2:3], s[2:3], vcc
	s_and_saveexec_b64 s[26:27], s[2:3]
	s_xor_b64 s[2:3], exec, s[26:27]
	s_cbranch_execz .LBB84_131
; %bb.130:                              ;   in Loop: Header=BB84_89 Depth=1
	v_div_scale_f64 v[29:30], s[26:27], v[25:26], v[25:26], v[27:28]
	v_rcp_f64_e32 v[31:32], v[29:30]
	v_fma_f64 v[45:46], -v[29:30], v[31:32], 1.0
	v_fma_f64 v[31:32], v[31:32], v[45:46], v[31:32]
	v_div_scale_f64 v[45:46], vcc, v[27:28], v[25:26], v[27:28]
	v_fma_f64 v[47:48], -v[29:30], v[31:32], 1.0
	v_fma_f64 v[31:32], v[31:32], v[47:48], v[31:32]
	v_mul_f64 v[47:48], v[45:46], v[31:32]
	v_fma_f64 v[29:30], -v[29:30], v[47:48], v[45:46]
	v_div_fmas_f64 v[29:30], v[29:30], v[31:32], v[47:48]
	v_div_fixup_f64 v[29:30], v[29:30], v[25:26], v[27:28]
	v_fma_f64 v[25:26], v[27:28], v[29:30], v[25:26]
	v_div_scale_f64 v[27:28], s[26:27], v[25:26], v[25:26], 1.0
	v_rcp_f64_e32 v[31:32], v[27:28]
	v_fma_f64 v[45:46], -v[27:28], v[31:32], 1.0
	v_fma_f64 v[31:32], v[31:32], v[45:46], v[31:32]
	v_div_scale_f64 v[45:46], vcc, 1.0, v[25:26], 1.0
	v_fma_f64 v[47:48], -v[27:28], v[31:32], 1.0
	v_fma_f64 v[31:32], v[31:32], v[47:48], v[31:32]
	v_mul_f64 v[47:48], v[45:46], v[31:32]
	v_fma_f64 v[27:28], -v[27:28], v[47:48], v[45:46]
	v_mov_b32_e32 v46, s15
	v_mov_b32_e32 v45, s14
	v_div_fmas_f64 v[27:28], v[27:28], v[31:32], v[47:48]
	v_mov_b32_e32 v32, s13
	v_mov_b32_e32 v31, s12
	v_fma_f64 v[31:32], s[14:15], v[29:30], v[31:32]
                                        ; implicit-def: $vgpr47_vgpr48
	v_div_fixup_f64 v[25:26], v[27:28], v[25:26], 1.0
	v_fma_f64 v[27:28], -s[12:13], v[29:30], v[45:46]
                                        ; implicit-def: $vgpr45_vgpr46
	v_mul_f64 v[29:30], v[31:32], v[25:26]
	v_mul_f64 v[31:32], v[27:28], v[25:26]
.LBB84_131:                             ;   in Loop: Header=BB84_89 Depth=1
	s_andn2_saveexec_b64 s[26:27], s[2:3]
	s_cbranch_execz .LBB84_133
; %bb.132:                              ;   in Loop: Header=BB84_89 Depth=1
	v_div_scale_f64 v[25:26], s[2:3], v[45:46], v[45:46], s[12:13]
	v_div_scale_f64 v[27:28], s[2:3], v[47:48], v[47:48], s[14:15]
	v_div_scale_f64 v[53:54], s[2:3], s[14:15], v[47:48], s[14:15]
	v_rcp_f64_e32 v[29:30], v[25:26]
	v_rcp_f64_e32 v[31:32], v[27:28]
	v_fma_f64 v[49:50], -v[25:26], v[29:30], 1.0
	v_fma_f64 v[51:52], -v[27:28], v[31:32], 1.0
	v_fma_f64 v[29:30], v[29:30], v[49:50], v[29:30]
	v_div_scale_f64 v[49:50], vcc, s[12:13], v[45:46], s[12:13]
	v_fma_f64 v[31:32], v[31:32], v[51:52], v[31:32]
	v_fma_f64 v[51:52], -v[25:26], v[29:30], 1.0
	v_fma_f64 v[55:56], -v[27:28], v[31:32], 1.0
	v_fma_f64 v[29:30], v[29:30], v[51:52], v[29:30]
	v_fma_f64 v[31:32], v[31:32], v[55:56], v[31:32]
	v_mul_f64 v[51:52], v[49:50], v[29:30]
	v_mul_f64 v[55:56], v[53:54], v[31:32]
	v_fma_f64 v[25:26], -v[25:26], v[51:52], v[49:50]
	v_fma_f64 v[27:28], -v[27:28], v[55:56], v[53:54]
	v_div_fmas_f64 v[25:26], v[25:26], v[29:30], v[51:52]
	s_mov_b64 vcc, s[2:3]
	v_div_fmas_f64 v[27:28], v[27:28], v[31:32], v[55:56]
	v_div_fixup_f64 v[29:30], v[25:26], v[45:46], s[12:13]
	v_div_fixup_f64 v[31:32], v[27:28], v[47:48], s[14:15]
.LBB84_133:                             ;   in Loop: Header=BB84_89 Depth=1
	s_or_b64 exec, exec, s[26:27]
                                        ; implicit-def: $vgpr27_vgpr28
.LBB84_134:                             ;   in Loop: Header=BB84_89 Depth=1
	s_andn2_saveexec_b64 s[2:3], s[4:5]
	s_cbranch_execz .LBB84_136
; %bb.135:                              ;   in Loop: Header=BB84_89 Depth=1
	v_div_scale_f64 v[29:30], s[4:5], v[27:28], v[27:28], v[25:26]
	v_rcp_f64_e32 v[31:32], v[29:30]
	v_fma_f64 v[45:46], -v[29:30], v[31:32], 1.0
	v_fma_f64 v[31:32], v[31:32], v[45:46], v[31:32]
	v_div_scale_f64 v[45:46], vcc, v[25:26], v[27:28], v[25:26]
	v_fma_f64 v[47:48], -v[29:30], v[31:32], 1.0
	v_fma_f64 v[31:32], v[31:32], v[47:48], v[31:32]
	v_mul_f64 v[47:48], v[45:46], v[31:32]
	v_fma_f64 v[29:30], -v[29:30], v[47:48], v[45:46]
	v_div_fmas_f64 v[29:30], v[29:30], v[31:32], v[47:48]
	v_div_fixup_f64 v[29:30], v[29:30], v[27:28], v[25:26]
	v_fma_f64 v[25:26], v[25:26], v[29:30], v[27:28]
	v_div_scale_f64 v[27:28], s[4:5], v[25:26], v[25:26], 1.0
	v_rcp_f64_e32 v[31:32], v[27:28]
	v_fma_f64 v[45:46], -v[27:28], v[31:32], 1.0
	v_fma_f64 v[31:32], v[31:32], v[45:46], v[31:32]
	v_div_scale_f64 v[45:46], vcc, 1.0, v[25:26], 1.0
	v_fma_f64 v[47:48], -v[27:28], v[31:32], 1.0
	v_fma_f64 v[31:32], v[31:32], v[47:48], v[31:32]
	v_mul_f64 v[47:48], v[45:46], v[31:32]
	v_fma_f64 v[27:28], -v[27:28], v[47:48], v[45:46]
	v_mov_b32_e32 v46, s13
	v_mov_b32_e32 v45, s12
	v_div_fmas_f64 v[27:28], v[27:28], v[31:32], v[47:48]
	v_mov_b32_e32 v32, s15
	v_mov_b32_e32 v31, s14
	v_fma_f64 v[31:32], s[12:13], v[29:30], v[31:32]
	v_div_fixup_f64 v[25:26], v[27:28], v[25:26], 1.0
	v_fma_f64 v[27:28], s[14:15], v[29:30], -v[45:46]
	v_mul_f64 v[29:30], v[31:32], v[25:26]
	v_mul_f64 v[31:32], v[27:28], v[25:26]
.LBB84_136:                             ;   in Loop: Header=BB84_89 Depth=1
	s_or_b64 exec, exec, s[2:3]
.LBB84_137:                             ;   in Loop: Header=BB84_89 Depth=1
	v_cmp_gt_f64_e32 vcc, 0, v[21:22]
	v_xor_b32_e32 v25, 0x80000000, v22
	v_mov_b32_e32 v45, v21
	v_mov_b32_e32 v47, v23
	s_mov_b64 s[4:5], -1
                                        ; implicit-def: $vgpr27_vgpr28
	v_cndmask_b32_e32 v46, v22, v25, vcc
	v_cmp_gt_f64_e32 vcc, 0, v[23:24]
	v_xor_b32_e32 v25, 0x80000000, v24
	v_cndmask_b32_e32 v48, v24, v25, vcc
	v_cmp_ge_f64_e64 s[2:3], v[45:46], v[47:48]
	s_and_b64 vcc, exec, s[0:1]
                                        ; implicit-def: $vgpr25_vgpr26
	s_cbranch_vccnz .LBB84_147
; %bb.138:                              ;   in Loop: Header=BB84_89 Depth=1
                                        ; implicit-def: $vgpr25_vgpr26
                                        ; implicit-def: $vgpr27_vgpr28
	s_and_saveexec_b64 s[4:5], s[2:3]
	s_xor_b64 s[26:27], exec, s[4:5]
	s_cbranch_execz .LBB84_144
; %bb.139:                              ;   in Loop: Header=BB84_89 Depth=1
	v_cmp_neq_f64_e32 vcc, 0, v[21:22]
	v_cmp_neq_f64_e64 s[4:5], 0, v[23:24]
                                        ; implicit-def: $vgpr25_vgpr26
                                        ; implicit-def: $vgpr27_vgpr28
	s_or_b64 s[4:5], s[4:5], vcc
	s_and_saveexec_b64 s[28:29], s[4:5]
	s_xor_b64 s[4:5], exec, s[28:29]
	s_cbranch_execz .LBB84_141
; %bb.140:                              ;   in Loop: Header=BB84_89 Depth=1
	v_div_scale_f64 v[25:26], s[28:29], v[21:22], v[21:22], v[23:24]
	v_rcp_f64_e32 v[27:28], v[25:26]
	v_fma_f64 v[49:50], -v[25:26], v[27:28], 1.0
	v_fma_f64 v[27:28], v[27:28], v[49:50], v[27:28]
	v_div_scale_f64 v[49:50], vcc, v[23:24], v[21:22], v[23:24]
	v_fma_f64 v[51:52], -v[25:26], v[27:28], 1.0
	v_fma_f64 v[27:28], v[27:28], v[51:52], v[27:28]
	v_mul_f64 v[51:52], v[49:50], v[27:28]
	v_fma_f64 v[25:26], -v[25:26], v[51:52], v[49:50]
	v_div_fmas_f64 v[25:26], v[25:26], v[27:28], v[51:52]
	v_div_fixup_f64 v[25:26], v[25:26], v[21:22], v[23:24]
	v_fma_f64 v[27:28], v[23:24], v[25:26], v[21:22]
	v_div_scale_f64 v[49:50], s[28:29], v[27:28], v[27:28], 1.0
	v_rcp_f64_e32 v[51:52], v[49:50]
	v_fma_f64 v[53:54], -v[49:50], v[51:52], 1.0
	v_fma_f64 v[51:52], v[51:52], v[53:54], v[51:52]
	v_div_scale_f64 v[53:54], vcc, 1.0, v[27:28], 1.0
	v_fma_f64 v[55:56], -v[49:50], v[51:52], 1.0
	v_fma_f64 v[51:52], v[51:52], v[55:56], v[51:52]
	v_mul_f64 v[55:56], v[53:54], v[51:52]
	v_fma_f64 v[49:50], -v[49:50], v[55:56], v[53:54]
	v_mov_b32_e32 v54, s15
	v_mov_b32_e32 v53, s14
	v_div_fmas_f64 v[49:50], v[49:50], v[51:52], v[55:56]
	v_mov_b32_e32 v52, s13
	v_mov_b32_e32 v51, s12
	v_fma_f64 v[51:52], s[14:15], v[25:26], v[51:52]
	v_fma_f64 v[25:26], -s[12:13], v[25:26], v[53:54]
	v_div_fixup_f64 v[49:50], v[49:50], v[27:28], 1.0
	v_mul_f64 v[27:28], v[51:52], v[49:50]
	v_mul_f64 v[25:26], v[25:26], v[49:50]
.LBB84_141:                             ;   in Loop: Header=BB84_89 Depth=1
	s_andn2_saveexec_b64 s[28:29], s[4:5]
	s_cbranch_execz .LBB84_143
; %bb.142:                              ;   in Loop: Header=BB84_89 Depth=1
	v_div_scale_f64 v[25:26], s[4:5], v[45:46], v[45:46], s[12:13]
	v_div_scale_f64 v[27:28], s[4:5], v[47:48], v[47:48], s[14:15]
	;; [unrolled: 1-line block ×3, first 2 shown]
	v_rcp_f64_e32 v[49:50], v[25:26]
	v_rcp_f64_e32 v[51:52], v[27:28]
	v_fma_f64 v[53:54], -v[25:26], v[49:50], 1.0
	v_fma_f64 v[55:56], -v[27:28], v[51:52], 1.0
	v_fma_f64 v[49:50], v[49:50], v[53:54], v[49:50]
	v_div_scale_f64 v[53:54], vcc, s[12:13], v[45:46], s[12:13]
	v_fma_f64 v[51:52], v[51:52], v[55:56], v[51:52]
	v_fma_f64 v[55:56], -v[25:26], v[49:50], 1.0
	v_fma_f64 v[59:60], -v[27:28], v[51:52], 1.0
	v_fma_f64 v[49:50], v[49:50], v[55:56], v[49:50]
	v_fma_f64 v[51:52], v[51:52], v[59:60], v[51:52]
	v_mul_f64 v[55:56], v[53:54], v[49:50]
	v_mul_f64 v[59:60], v[57:58], v[51:52]
	v_fma_f64 v[25:26], -v[25:26], v[55:56], v[53:54]
	v_fma_f64 v[27:28], -v[27:28], v[59:60], v[57:58]
	v_div_fmas_f64 v[25:26], v[25:26], v[49:50], v[55:56]
	s_mov_b64 vcc, s[4:5]
	v_div_fmas_f64 v[49:50], v[27:28], v[51:52], v[59:60]
	v_div_fixup_f64 v[27:28], v[25:26], v[45:46], s[12:13]
	v_div_fixup_f64 v[25:26], v[49:50], v[47:48], s[14:15]
.LBB84_143:                             ;   in Loop: Header=BB84_89 Depth=1
	s_or_b64 exec, exec, s[28:29]
.LBB84_144:                             ;   in Loop: Header=BB84_89 Depth=1
	s_andn2_saveexec_b64 s[4:5], s[26:27]
	s_cbranch_execz .LBB84_146
; %bb.145:                              ;   in Loop: Header=BB84_89 Depth=1
	v_div_scale_f64 v[25:26], s[26:27], v[23:24], v[23:24], v[21:22]
	v_rcp_f64_e32 v[27:28], v[25:26]
	v_fma_f64 v[49:50], -v[25:26], v[27:28], 1.0
	v_fma_f64 v[27:28], v[27:28], v[49:50], v[27:28]
	v_div_scale_f64 v[49:50], vcc, v[21:22], v[23:24], v[21:22]
	v_fma_f64 v[51:52], -v[25:26], v[27:28], 1.0
	v_fma_f64 v[27:28], v[27:28], v[51:52], v[27:28]
	v_mul_f64 v[51:52], v[49:50], v[27:28]
	v_fma_f64 v[25:26], -v[25:26], v[51:52], v[49:50]
	v_div_fmas_f64 v[25:26], v[25:26], v[27:28], v[51:52]
	v_div_fixup_f64 v[25:26], v[25:26], v[23:24], v[21:22]
	v_fma_f64 v[27:28], v[21:22], v[25:26], v[23:24]
	v_div_scale_f64 v[49:50], s[26:27], v[27:28], v[27:28], 1.0
	v_rcp_f64_e32 v[51:52], v[49:50]
	v_fma_f64 v[53:54], -v[49:50], v[51:52], 1.0
	v_fma_f64 v[51:52], v[51:52], v[53:54], v[51:52]
	v_div_scale_f64 v[53:54], vcc, 1.0, v[27:28], 1.0
	v_fma_f64 v[55:56], -v[49:50], v[51:52], 1.0
	v_fma_f64 v[51:52], v[51:52], v[55:56], v[51:52]
	v_mul_f64 v[55:56], v[53:54], v[51:52]
	v_fma_f64 v[49:50], -v[49:50], v[55:56], v[53:54]
	v_mov_b32_e32 v54, s13
	v_mov_b32_e32 v53, s12
	v_div_fmas_f64 v[49:50], v[49:50], v[51:52], v[55:56]
	v_mov_b32_e32 v52, s15
	v_mov_b32_e32 v51, s14
	v_fma_f64 v[51:52], s[12:13], v[25:26], v[51:52]
	v_fma_f64 v[25:26], s[14:15], v[25:26], -v[53:54]
	v_div_fixup_f64 v[49:50], v[49:50], v[27:28], 1.0
	v_mul_f64 v[27:28], v[51:52], v[49:50]
	v_mul_f64 v[25:26], v[25:26], v[49:50]
.LBB84_146:                             ;   in Loop: Header=BB84_89 Depth=1
	s_or_b64 exec, exec, s[4:5]
	v_mul_f64 v[49:50], s[10:11], v[25:26]
	v_mul_f64 v[51:52], s[8:9], v[25:26]
	s_mov_b64 s[4:5], 0
	v_fma_f64 v[25:26], s[8:9], v[27:28], -v[49:50]
	v_fma_f64 v[27:28], s[10:11], v[27:28], v[51:52]
.LBB84_147:                             ;   in Loop: Header=BB84_89 Depth=1
	s_and_b64 vcc, exec, s[4:5]
	s_cbranch_vccz .LBB84_157
; %bb.148:                              ;   in Loop: Header=BB84_89 Depth=1
                                        ; implicit-def: $vgpr27_vgpr28
                                        ; implicit-def: $vgpr25_vgpr26
	s_and_saveexec_b64 s[4:5], s[2:3]
	s_xor_b64 s[4:5], exec, s[4:5]
	s_cbranch_execz .LBB84_154
; %bb.149:                              ;   in Loop: Header=BB84_89 Depth=1
	v_cmp_neq_f64_e32 vcc, 0, v[21:22]
	v_cmp_neq_f64_e64 s[2:3], 0, v[23:24]
                                        ; implicit-def: $vgpr27_vgpr28
                                        ; implicit-def: $vgpr25_vgpr26
	s_or_b64 s[2:3], s[2:3], vcc
	s_and_saveexec_b64 s[26:27], s[2:3]
	s_xor_b64 s[2:3], exec, s[26:27]
	s_cbranch_execz .LBB84_151
; %bb.150:                              ;   in Loop: Header=BB84_89 Depth=1
	v_div_scale_f64 v[25:26], s[26:27], v[21:22], v[21:22], v[23:24]
	v_rcp_f64_e32 v[27:28], v[25:26]
	v_fma_f64 v[45:46], -v[25:26], v[27:28], 1.0
	v_fma_f64 v[27:28], v[27:28], v[45:46], v[27:28]
	v_div_scale_f64 v[45:46], vcc, v[23:24], v[21:22], v[23:24]
	v_fma_f64 v[47:48], -v[25:26], v[27:28], 1.0
	v_fma_f64 v[27:28], v[27:28], v[47:48], v[27:28]
	v_mul_f64 v[47:48], v[45:46], v[27:28]
	v_fma_f64 v[25:26], -v[25:26], v[47:48], v[45:46]
	v_div_fmas_f64 v[25:26], v[25:26], v[27:28], v[47:48]
	v_div_fixup_f64 v[25:26], v[25:26], v[21:22], v[23:24]
	v_fma_f64 v[21:22], v[23:24], v[25:26], v[21:22]
	v_div_scale_f64 v[23:24], s[26:27], v[21:22], v[21:22], 1.0
	v_rcp_f64_e32 v[27:28], v[23:24]
	v_fma_f64 v[45:46], -v[23:24], v[27:28], 1.0
	v_fma_f64 v[27:28], v[27:28], v[45:46], v[27:28]
	v_div_scale_f64 v[45:46], vcc, 1.0, v[21:22], 1.0
	v_fma_f64 v[47:48], -v[23:24], v[27:28], 1.0
	v_fma_f64 v[27:28], v[27:28], v[47:48], v[27:28]
	v_mul_f64 v[47:48], v[45:46], v[27:28]
	v_fma_f64 v[23:24], -v[23:24], v[47:48], v[45:46]
	v_mov_b32_e32 v46, s15
	v_mov_b32_e32 v45, s14
	v_div_fmas_f64 v[23:24], v[23:24], v[27:28], v[47:48]
	v_mov_b32_e32 v28, s13
	v_mov_b32_e32 v27, s12
	v_fma_f64 v[27:28], s[14:15], v[25:26], v[27:28]
                                        ; implicit-def: $vgpr47_vgpr48
	v_div_fixup_f64 v[21:22], v[23:24], v[21:22], 1.0
	v_fma_f64 v[23:24], -s[12:13], v[25:26], v[45:46]
                                        ; implicit-def: $vgpr45_vgpr46
	v_mul_f64 v[25:26], v[27:28], v[21:22]
	v_mul_f64 v[27:28], v[23:24], v[21:22]
.LBB84_151:                             ;   in Loop: Header=BB84_89 Depth=1
	s_andn2_saveexec_b64 s[26:27], s[2:3]
	s_cbranch_execz .LBB84_153
; %bb.152:                              ;   in Loop: Header=BB84_89 Depth=1
	v_div_scale_f64 v[21:22], s[2:3], v[45:46], v[45:46], s[12:13]
	v_div_scale_f64 v[23:24], s[2:3], v[47:48], v[47:48], s[14:15]
	;; [unrolled: 1-line block ×3, first 2 shown]
	v_rcp_f64_e32 v[25:26], v[21:22]
	v_rcp_f64_e32 v[27:28], v[23:24]
	v_fma_f64 v[49:50], -v[21:22], v[25:26], 1.0
	v_fma_f64 v[51:52], -v[23:24], v[27:28], 1.0
	v_fma_f64 v[25:26], v[25:26], v[49:50], v[25:26]
	v_div_scale_f64 v[49:50], vcc, s[12:13], v[45:46], s[12:13]
	v_fma_f64 v[27:28], v[27:28], v[51:52], v[27:28]
	v_fma_f64 v[51:52], -v[21:22], v[25:26], 1.0
	v_fma_f64 v[55:56], -v[23:24], v[27:28], 1.0
	v_fma_f64 v[25:26], v[25:26], v[51:52], v[25:26]
	v_fma_f64 v[27:28], v[27:28], v[55:56], v[27:28]
	v_mul_f64 v[51:52], v[49:50], v[25:26]
	v_mul_f64 v[55:56], v[53:54], v[27:28]
	v_fma_f64 v[21:22], -v[21:22], v[51:52], v[49:50]
	v_fma_f64 v[23:24], -v[23:24], v[55:56], v[53:54]
	v_div_fmas_f64 v[21:22], v[21:22], v[25:26], v[51:52]
	s_mov_b64 vcc, s[2:3]
	v_div_fmas_f64 v[23:24], v[23:24], v[27:28], v[55:56]
	v_div_fixup_f64 v[25:26], v[21:22], v[45:46], s[12:13]
	v_div_fixup_f64 v[27:28], v[23:24], v[47:48], s[14:15]
.LBB84_153:                             ;   in Loop: Header=BB84_89 Depth=1
	s_or_b64 exec, exec, s[26:27]
                                        ; implicit-def: $vgpr23_vgpr24
.LBB84_154:                             ;   in Loop: Header=BB84_89 Depth=1
	s_andn2_saveexec_b64 s[2:3], s[4:5]
	s_cbranch_execz .LBB84_156
; %bb.155:                              ;   in Loop: Header=BB84_89 Depth=1
	v_div_scale_f64 v[25:26], s[4:5], v[23:24], v[23:24], v[21:22]
	v_rcp_f64_e32 v[27:28], v[25:26]
	v_fma_f64 v[45:46], -v[25:26], v[27:28], 1.0
	v_fma_f64 v[27:28], v[27:28], v[45:46], v[27:28]
	v_div_scale_f64 v[45:46], vcc, v[21:22], v[23:24], v[21:22]
	v_fma_f64 v[47:48], -v[25:26], v[27:28], 1.0
	v_fma_f64 v[27:28], v[27:28], v[47:48], v[27:28]
	v_mul_f64 v[47:48], v[45:46], v[27:28]
	v_fma_f64 v[25:26], -v[25:26], v[47:48], v[45:46]
	v_div_fmas_f64 v[25:26], v[25:26], v[27:28], v[47:48]
	v_div_fixup_f64 v[25:26], v[25:26], v[23:24], v[21:22]
	v_fma_f64 v[21:22], v[21:22], v[25:26], v[23:24]
	v_div_scale_f64 v[23:24], s[4:5], v[21:22], v[21:22], 1.0
	v_rcp_f64_e32 v[27:28], v[23:24]
	v_fma_f64 v[45:46], -v[23:24], v[27:28], 1.0
	v_fma_f64 v[27:28], v[27:28], v[45:46], v[27:28]
	v_div_scale_f64 v[45:46], vcc, 1.0, v[21:22], 1.0
	v_fma_f64 v[47:48], -v[23:24], v[27:28], 1.0
	v_fma_f64 v[27:28], v[27:28], v[47:48], v[27:28]
	v_mul_f64 v[47:48], v[45:46], v[27:28]
	v_fma_f64 v[23:24], -v[23:24], v[47:48], v[45:46]
	v_mov_b32_e32 v46, s13
	v_mov_b32_e32 v45, s12
	v_div_fmas_f64 v[23:24], v[23:24], v[27:28], v[47:48]
	v_mov_b32_e32 v28, s15
	v_mov_b32_e32 v27, s14
	v_fma_f64 v[27:28], s[12:13], v[25:26], v[27:28]
	v_div_fixup_f64 v[21:22], v[23:24], v[21:22], 1.0
	v_fma_f64 v[23:24], s[14:15], v[25:26], -v[45:46]
	v_mul_f64 v[25:26], v[27:28], v[21:22]
	v_mul_f64 v[27:28], v[23:24], v[21:22]
.LBB84_156:                             ;   in Loop: Header=BB84_89 Depth=1
	s_or_b64 exec, exec, s[2:3]
.LBB84_157:                             ;   in Loop: Header=BB84_89 Depth=1
	v_cmp_gt_f64_e32 vcc, 0, v[17:18]
	v_xor_b32_e32 v21, 0x80000000, v18
	v_xor_b32_e32 v23, 0x80000000, v20
                                        ; implicit-def: $vgpr47_vgpr48
                                        ; implicit-def: $vgpr45_vgpr46
	v_cndmask_b32_e32 v22, v18, v21, vcc
	v_cmp_gt_f64_e32 vcc, 0, v[19:20]
	v_mov_b32_e32 v21, v17
	v_cndmask_b32_e32 v24, v20, v23, vcc
	v_mov_b32_e32 v23, v19
	v_cmp_ge_f64_e64 s[2:3], v[21:22], v[23:24]
	s_and_b64 vcc, exec, s[0:1]
	s_mov_b64 s[0:1], -1
	s_cbranch_vccz .LBB84_163
; %bb.158:                              ;   in Loop: Header=BB84_89 Depth=1
	s_and_b64 vcc, exec, s[0:1]
	s_cbranch_vccnz .LBB84_172
.LBB84_159:                             ;   in Loop: Header=BB84_89 Depth=1
	v_cmp_gt_u64_e32 vcc, s[24:25], v[33:34]
	s_and_saveexec_b64 s[0:1], vcc
	s_xor_b64 s[0:1], exec, s[0:1]
	s_cbranch_execnz .LBB84_181
.LBB84_160:                             ;   in Loop: Header=BB84_89 Depth=1
	s_or_b64 exec, exec, s[0:1]
	v_cmp_gt_u64_e32 vcc, s[24:25], v[35:36]
	s_and_saveexec_b64 s[0:1], vcc
	s_cbranch_execnz .LBB84_182
.LBB84_161:                             ;   in Loop: Header=BB84_89 Depth=1
	s_or_b64 exec, exec, s[0:1]
	v_cmp_gt_u64_e32 vcc, s[24:25], v[37:38]
	s_and_saveexec_b64 s[0:1], vcc
	s_cbranch_execnz .LBB84_183
.LBB84_162:                             ;   in Loop: Header=BB84_89 Depth=1
	s_or_b64 exec, exec, s[0:1]
	v_cmp_gt_u64_e32 vcc, s[24:25], v[39:40]
	s_and_saveexec_b64 s[0:1], vcc
	s_cbranch_execz .LBB84_88
	s_branch .LBB84_184
.LBB84_163:                             ;   in Loop: Header=BB84_89 Depth=1
                                        ; implicit-def: $vgpr45_vgpr46
                                        ; implicit-def: $vgpr47_vgpr48
	s_and_saveexec_b64 s[0:1], s[2:3]
	s_xor_b64 s[4:5], exec, s[0:1]
	s_cbranch_execz .LBB84_169
; %bb.164:                              ;   in Loop: Header=BB84_89 Depth=1
	v_cmp_neq_f64_e32 vcc, 0, v[17:18]
	v_cmp_neq_f64_e64 s[0:1], 0, v[19:20]
                                        ; implicit-def: $vgpr45_vgpr46
                                        ; implicit-def: $vgpr47_vgpr48
	s_or_b64 s[0:1], s[0:1], vcc
	s_and_saveexec_b64 s[26:27], s[0:1]
	s_xor_b64 s[0:1], exec, s[26:27]
	s_cbranch_execz .LBB84_166
; %bb.165:                              ;   in Loop: Header=BB84_89 Depth=1
	v_div_scale_f64 v[45:46], s[26:27], v[17:18], v[17:18], v[19:20]
	v_rcp_f64_e32 v[47:48], v[45:46]
	v_fma_f64 v[49:50], -v[45:46], v[47:48], 1.0
	v_fma_f64 v[47:48], v[47:48], v[49:50], v[47:48]
	v_div_scale_f64 v[49:50], vcc, v[19:20], v[17:18], v[19:20]
	v_fma_f64 v[51:52], -v[45:46], v[47:48], 1.0
	v_fma_f64 v[47:48], v[47:48], v[51:52], v[47:48]
	v_mul_f64 v[51:52], v[49:50], v[47:48]
	v_fma_f64 v[45:46], -v[45:46], v[51:52], v[49:50]
	v_div_fmas_f64 v[45:46], v[45:46], v[47:48], v[51:52]
	v_div_fixup_f64 v[45:46], v[45:46], v[17:18], v[19:20]
	v_fma_f64 v[47:48], v[19:20], v[45:46], v[17:18]
	v_div_scale_f64 v[49:50], s[26:27], v[47:48], v[47:48], 1.0
	v_rcp_f64_e32 v[51:52], v[49:50]
	v_fma_f64 v[53:54], -v[49:50], v[51:52], 1.0
	v_fma_f64 v[51:52], v[51:52], v[53:54], v[51:52]
	v_div_scale_f64 v[53:54], vcc, 1.0, v[47:48], 1.0
	v_fma_f64 v[55:56], -v[49:50], v[51:52], 1.0
	v_fma_f64 v[51:52], v[51:52], v[55:56], v[51:52]
	v_mul_f64 v[55:56], v[53:54], v[51:52]
	v_fma_f64 v[49:50], -v[49:50], v[55:56], v[53:54]
	v_mov_b32_e32 v54, s15
	v_mov_b32_e32 v53, s14
	v_div_fmas_f64 v[49:50], v[49:50], v[51:52], v[55:56]
	v_mov_b32_e32 v52, s13
	v_mov_b32_e32 v51, s12
	v_fma_f64 v[51:52], s[14:15], v[45:46], v[51:52]
	v_fma_f64 v[45:46], -s[12:13], v[45:46], v[53:54]
	v_div_fixup_f64 v[49:50], v[49:50], v[47:48], 1.0
	v_mul_f64 v[47:48], v[51:52], v[49:50]
	v_mul_f64 v[45:46], v[45:46], v[49:50]
.LBB84_166:                             ;   in Loop: Header=BB84_89 Depth=1
	s_andn2_saveexec_b64 s[26:27], s[0:1]
	s_cbranch_execz .LBB84_168
; %bb.167:                              ;   in Loop: Header=BB84_89 Depth=1
	v_div_scale_f64 v[45:46], s[0:1], v[21:22], v[21:22], s[12:13]
	v_div_scale_f64 v[47:48], s[0:1], v[23:24], v[23:24], s[14:15]
	;; [unrolled: 1-line block ×3, first 2 shown]
	v_rcp_f64_e32 v[49:50], v[45:46]
	v_rcp_f64_e32 v[51:52], v[47:48]
	v_fma_f64 v[53:54], -v[45:46], v[49:50], 1.0
	v_fma_f64 v[55:56], -v[47:48], v[51:52], 1.0
	v_fma_f64 v[49:50], v[49:50], v[53:54], v[49:50]
	v_div_scale_f64 v[53:54], vcc, s[12:13], v[21:22], s[12:13]
	v_fma_f64 v[51:52], v[51:52], v[55:56], v[51:52]
	v_fma_f64 v[55:56], -v[45:46], v[49:50], 1.0
	v_fma_f64 v[59:60], -v[47:48], v[51:52], 1.0
	v_fma_f64 v[49:50], v[49:50], v[55:56], v[49:50]
	v_fma_f64 v[51:52], v[51:52], v[59:60], v[51:52]
	v_mul_f64 v[55:56], v[53:54], v[49:50]
	v_mul_f64 v[59:60], v[57:58], v[51:52]
	v_fma_f64 v[45:46], -v[45:46], v[55:56], v[53:54]
	v_fma_f64 v[47:48], -v[47:48], v[59:60], v[57:58]
	v_div_fmas_f64 v[45:46], v[45:46], v[49:50], v[55:56]
	s_mov_b64 vcc, s[0:1]
	v_div_fmas_f64 v[49:50], v[47:48], v[51:52], v[59:60]
	v_div_fixup_f64 v[47:48], v[45:46], v[21:22], s[12:13]
	v_div_fixup_f64 v[45:46], v[49:50], v[23:24], s[14:15]
.LBB84_168:                             ;   in Loop: Header=BB84_89 Depth=1
	s_or_b64 exec, exec, s[26:27]
.LBB84_169:                             ;   in Loop: Header=BB84_89 Depth=1
	s_andn2_saveexec_b64 s[0:1], s[4:5]
	s_cbranch_execz .LBB84_171
; %bb.170:                              ;   in Loop: Header=BB84_89 Depth=1
	v_div_scale_f64 v[45:46], s[4:5], v[19:20], v[19:20], v[17:18]
	v_rcp_f64_e32 v[47:48], v[45:46]
	v_fma_f64 v[49:50], -v[45:46], v[47:48], 1.0
	v_fma_f64 v[47:48], v[47:48], v[49:50], v[47:48]
	v_div_scale_f64 v[49:50], vcc, v[17:18], v[19:20], v[17:18]
	v_fma_f64 v[51:52], -v[45:46], v[47:48], 1.0
	v_fma_f64 v[47:48], v[47:48], v[51:52], v[47:48]
	v_mul_f64 v[51:52], v[49:50], v[47:48]
	v_fma_f64 v[45:46], -v[45:46], v[51:52], v[49:50]
	v_div_fmas_f64 v[45:46], v[45:46], v[47:48], v[51:52]
	v_div_fixup_f64 v[45:46], v[45:46], v[19:20], v[17:18]
	v_fma_f64 v[47:48], v[17:18], v[45:46], v[19:20]
	v_div_scale_f64 v[49:50], s[4:5], v[47:48], v[47:48], 1.0
	v_rcp_f64_e32 v[51:52], v[49:50]
	v_fma_f64 v[53:54], -v[49:50], v[51:52], 1.0
	v_fma_f64 v[51:52], v[51:52], v[53:54], v[51:52]
	v_div_scale_f64 v[53:54], vcc, 1.0, v[47:48], 1.0
	v_fma_f64 v[55:56], -v[49:50], v[51:52], 1.0
	v_fma_f64 v[51:52], v[51:52], v[55:56], v[51:52]
	v_mul_f64 v[55:56], v[53:54], v[51:52]
	v_fma_f64 v[49:50], -v[49:50], v[55:56], v[53:54]
	v_mov_b32_e32 v54, s13
	v_mov_b32_e32 v53, s12
	v_div_fmas_f64 v[49:50], v[49:50], v[51:52], v[55:56]
	v_mov_b32_e32 v52, s15
	v_mov_b32_e32 v51, s14
	v_fma_f64 v[51:52], s[12:13], v[45:46], v[51:52]
	v_fma_f64 v[45:46], s[14:15], v[45:46], -v[53:54]
	v_div_fixup_f64 v[49:50], v[49:50], v[47:48], 1.0
	v_mul_f64 v[47:48], v[51:52], v[49:50]
	v_mul_f64 v[45:46], v[45:46], v[49:50]
.LBB84_171:                             ;   in Loop: Header=BB84_89 Depth=1
	s_or_b64 exec, exec, s[0:1]
	v_mul_f64 v[49:50], s[10:11], v[45:46]
	v_mul_f64 v[51:52], s[8:9], v[45:46]
	v_fma_f64 v[45:46], s[8:9], v[47:48], -v[49:50]
	v_fma_f64 v[47:48], s[10:11], v[47:48], v[51:52]
	s_branch .LBB84_159
.LBB84_172:                             ;   in Loop: Header=BB84_89 Depth=1
                                        ; implicit-def: $vgpr47_vgpr48
                                        ; implicit-def: $vgpr45_vgpr46
	s_and_saveexec_b64 s[0:1], s[2:3]
	s_xor_b64 s[2:3], exec, s[0:1]
	s_cbranch_execz .LBB84_178
; %bb.173:                              ;   in Loop: Header=BB84_89 Depth=1
	v_cmp_neq_f64_e32 vcc, 0, v[17:18]
	v_cmp_neq_f64_e64 s[0:1], 0, v[19:20]
                                        ; implicit-def: $vgpr47_vgpr48
                                        ; implicit-def: $vgpr45_vgpr46
	s_or_b64 s[0:1], s[0:1], vcc
	s_and_saveexec_b64 s[4:5], s[0:1]
	s_xor_b64 s[0:1], exec, s[4:5]
	s_cbranch_execz .LBB84_175
; %bb.174:                              ;   in Loop: Header=BB84_89 Depth=1
	v_div_scale_f64 v[21:22], s[4:5], v[17:18], v[17:18], v[19:20]
	v_rcp_f64_e32 v[23:24], v[21:22]
	v_fma_f64 v[45:46], -v[21:22], v[23:24], 1.0
	v_fma_f64 v[23:24], v[23:24], v[45:46], v[23:24]
	v_div_scale_f64 v[45:46], vcc, v[19:20], v[17:18], v[19:20]
	v_fma_f64 v[47:48], -v[21:22], v[23:24], 1.0
	v_fma_f64 v[23:24], v[23:24], v[47:48], v[23:24]
	v_mul_f64 v[47:48], v[45:46], v[23:24]
	v_fma_f64 v[21:22], -v[21:22], v[47:48], v[45:46]
	v_div_fmas_f64 v[21:22], v[21:22], v[23:24], v[47:48]
	v_div_fixup_f64 v[21:22], v[21:22], v[17:18], v[19:20]
	v_fma_f64 v[17:18], v[19:20], v[21:22], v[17:18]
	v_div_scale_f64 v[19:20], s[4:5], v[17:18], v[17:18], 1.0
	v_rcp_f64_e32 v[23:24], v[19:20]
	v_fma_f64 v[45:46], -v[19:20], v[23:24], 1.0
	v_fma_f64 v[23:24], v[23:24], v[45:46], v[23:24]
	v_div_scale_f64 v[45:46], vcc, 1.0, v[17:18], 1.0
	v_fma_f64 v[47:48], -v[19:20], v[23:24], 1.0
	v_fma_f64 v[23:24], v[23:24], v[47:48], v[23:24]
	v_mul_f64 v[47:48], v[45:46], v[23:24]
	v_fma_f64 v[19:20], -v[19:20], v[47:48], v[45:46]
	v_mov_b32_e32 v46, s15
	v_mov_b32_e32 v45, s14
	v_div_fmas_f64 v[19:20], v[19:20], v[23:24], v[47:48]
	v_mov_b32_e32 v24, s13
	v_mov_b32_e32 v23, s12
	v_fma_f64 v[23:24], s[14:15], v[21:22], v[23:24]
	v_div_fixup_f64 v[17:18], v[19:20], v[17:18], 1.0
	v_fma_f64 v[19:20], -s[12:13], v[21:22], v[45:46]
                                        ; implicit-def: $vgpr21_vgpr22
	v_mul_f64 v[45:46], v[23:24], v[17:18]
	v_mul_f64 v[47:48], v[19:20], v[17:18]
                                        ; implicit-def: $vgpr23_vgpr24
.LBB84_175:                             ;   in Loop: Header=BB84_89 Depth=1
	s_andn2_saveexec_b64 s[4:5], s[0:1]
	s_cbranch_execz .LBB84_177
; %bb.176:                              ;   in Loop: Header=BB84_89 Depth=1
	v_div_scale_f64 v[17:18], s[0:1], v[21:22], v[21:22], s[12:13]
	v_div_scale_f64 v[19:20], s[0:1], v[23:24], v[23:24], s[14:15]
	;; [unrolled: 1-line block ×3, first 2 shown]
	v_rcp_f64_e32 v[45:46], v[17:18]
	v_rcp_f64_e32 v[47:48], v[19:20]
	v_fma_f64 v[49:50], -v[17:18], v[45:46], 1.0
	v_fma_f64 v[51:52], -v[19:20], v[47:48], 1.0
	v_fma_f64 v[45:46], v[45:46], v[49:50], v[45:46]
	v_div_scale_f64 v[49:50], vcc, s[12:13], v[21:22], s[12:13]
	v_fma_f64 v[47:48], v[47:48], v[51:52], v[47:48]
	v_fma_f64 v[51:52], -v[17:18], v[45:46], 1.0
	v_fma_f64 v[55:56], -v[19:20], v[47:48], 1.0
	v_fma_f64 v[45:46], v[45:46], v[51:52], v[45:46]
	v_fma_f64 v[47:48], v[47:48], v[55:56], v[47:48]
	v_mul_f64 v[51:52], v[49:50], v[45:46]
	v_mul_f64 v[55:56], v[53:54], v[47:48]
	v_fma_f64 v[17:18], -v[17:18], v[51:52], v[49:50]
	v_fma_f64 v[19:20], -v[19:20], v[55:56], v[53:54]
	v_div_fmas_f64 v[17:18], v[17:18], v[45:46], v[51:52]
	s_mov_b64 vcc, s[0:1]
	v_div_fmas_f64 v[19:20], v[19:20], v[47:48], v[55:56]
	v_div_fixup_f64 v[45:46], v[17:18], v[21:22], s[12:13]
	v_div_fixup_f64 v[47:48], v[19:20], v[23:24], s[14:15]
.LBB84_177:                             ;   in Loop: Header=BB84_89 Depth=1
	s_or_b64 exec, exec, s[4:5]
                                        ; implicit-def: $vgpr19_vgpr20
.LBB84_178:                             ;   in Loop: Header=BB84_89 Depth=1
	s_andn2_saveexec_b64 s[0:1], s[2:3]
	s_cbranch_execz .LBB84_180
; %bb.179:                              ;   in Loop: Header=BB84_89 Depth=1
	v_div_scale_f64 v[21:22], s[2:3], v[19:20], v[19:20], v[17:18]
	v_rcp_f64_e32 v[23:24], v[21:22]
	v_fma_f64 v[45:46], -v[21:22], v[23:24], 1.0
	v_fma_f64 v[23:24], v[23:24], v[45:46], v[23:24]
	v_div_scale_f64 v[45:46], vcc, v[17:18], v[19:20], v[17:18]
	v_fma_f64 v[47:48], -v[21:22], v[23:24], 1.0
	v_fma_f64 v[23:24], v[23:24], v[47:48], v[23:24]
	v_mul_f64 v[47:48], v[45:46], v[23:24]
	v_fma_f64 v[21:22], -v[21:22], v[47:48], v[45:46]
	v_div_fmas_f64 v[21:22], v[21:22], v[23:24], v[47:48]
	v_div_fixup_f64 v[21:22], v[21:22], v[19:20], v[17:18]
	v_fma_f64 v[17:18], v[17:18], v[21:22], v[19:20]
	v_div_scale_f64 v[19:20], s[2:3], v[17:18], v[17:18], 1.0
	v_rcp_f64_e32 v[23:24], v[19:20]
	v_fma_f64 v[45:46], -v[19:20], v[23:24], 1.0
	v_fma_f64 v[23:24], v[23:24], v[45:46], v[23:24]
	v_div_scale_f64 v[45:46], vcc, 1.0, v[17:18], 1.0
	v_fma_f64 v[47:48], -v[19:20], v[23:24], 1.0
	v_fma_f64 v[23:24], v[23:24], v[47:48], v[23:24]
	v_mul_f64 v[47:48], v[45:46], v[23:24]
	v_fma_f64 v[19:20], -v[19:20], v[47:48], v[45:46]
	v_mov_b32_e32 v46, s13
	v_mov_b32_e32 v45, s12
	v_div_fmas_f64 v[19:20], v[19:20], v[23:24], v[47:48]
	v_mov_b32_e32 v24, s15
	v_mov_b32_e32 v23, s14
	v_fma_f64 v[23:24], s[12:13], v[21:22], v[23:24]
	v_div_fixup_f64 v[17:18], v[19:20], v[17:18], 1.0
	v_fma_f64 v[19:20], s[14:15], v[21:22], -v[45:46]
	v_mul_f64 v[45:46], v[23:24], v[17:18]
	v_mul_f64 v[47:48], v[19:20], v[17:18]
.LBB84_180:                             ;   in Loop: Header=BB84_89 Depth=1
	s_or_b64 exec, exec, s[0:1]
	v_cmp_gt_u64_e32 vcc, s[24:25], v[33:34]
	s_and_saveexec_b64 s[0:1], vcc
	s_xor_b64 s[0:1], exec, s[0:1]
	s_cbranch_execz .LBB84_160
.LBB84_181:                             ;   in Loop: Header=BB84_89 Depth=1
	v_add_f64 v[3:4], v[3:4], v[43:44]
	v_add_f64 v[1:2], v[1:2], v[41:42]
	v_lshlrev_b64 v[17:18], 4, v[33:34]
	v_mov_b32_e32 v19, s17
	v_add_co_u32_e32 v17, vcc, s16, v17
	v_addc_co_u32_e32 v18, vcc, v19, v18, vcc
	global_store_dwordx4 v[17:18], v[1:4], off
	s_or_b64 exec, exec, s[0:1]
	v_cmp_gt_u64_e32 vcc, s[24:25], v[35:36]
	s_and_saveexec_b64 s[0:1], vcc
	s_cbranch_execz .LBB84_161
.LBB84_182:                             ;   in Loop: Header=BB84_89 Depth=1
	v_add_f64 v[3:4], v[7:8], v[31:32]
	v_add_f64 v[1:2], v[5:6], v[29:30]
	v_lshlrev_b64 v[5:6], 4, v[35:36]
	v_mov_b32_e32 v7, s17
	v_add_co_u32_e32 v5, vcc, s16, v5
	v_addc_co_u32_e32 v6, vcc, v7, v6, vcc
	global_store_dwordx4 v[5:6], v[1:4], off
	s_or_b64 exec, exec, s[0:1]
	v_cmp_gt_u64_e32 vcc, s[24:25], v[37:38]
	s_and_saveexec_b64 s[0:1], vcc
	s_cbranch_execz .LBB84_162
.LBB84_183:                             ;   in Loop: Header=BB84_89 Depth=1
	v_add_f64 v[3:4], v[11:12], v[27:28]
	v_add_f64 v[1:2], v[9:10], v[25:26]
	v_lshlrev_b64 v[5:6], 4, v[37:38]
	v_mov_b32_e32 v7, s17
	v_add_co_u32_e32 v5, vcc, s16, v5
	v_addc_co_u32_e32 v6, vcc, v7, v6, vcc
	global_store_dwordx4 v[5:6], v[1:4], off
	s_or_b64 exec, exec, s[0:1]
	v_cmp_gt_u64_e32 vcc, s[24:25], v[39:40]
	s_and_saveexec_b64 s[0:1], vcc
	s_cbranch_execz .LBB84_88
.LBB84_184:                             ;   in Loop: Header=BB84_89 Depth=1
	v_add_f64 v[3:4], v[15:16], v[47:48]
	v_add_f64 v[1:2], v[13:14], v[45:46]
	v_lshlrev_b64 v[5:6], 4, v[39:40]
	v_mov_b32_e32 v7, s17
	v_add_co_u32_e32 v5, vcc, s16, v5
	v_addc_co_u32_e32 v6, vcc, v7, v6, vcc
	global_store_dwordx4 v[5:6], v[1:4], off
	s_branch .LBB84_88
.LBB84_185:
	s_endpgm
	.section	.rodata,"a",@progbits
	.p2align	6, 0x0
	.amdhsa_kernel _ZN2at6native12_GLOBAL__N_125multi_tensor_apply_kernelINS1_18TensorListMetadataILi3EEENS1_32PointwiseOpScalar0dTensorFunctorIN3c107complexIdEELi3ELi2ELi0EEEJSt7dividesIS8_ES8_EEEvT_T0_DpT1_
		.amdhsa_group_segment_fixed_size 0
		.amdhsa_private_segment_fixed_size 0
		.amdhsa_kernarg_size 3424
		.amdhsa_user_sgpr_count 6
		.amdhsa_user_sgpr_private_segment_buffer 1
		.amdhsa_user_sgpr_dispatch_ptr 0
		.amdhsa_user_sgpr_queue_ptr 0
		.amdhsa_user_sgpr_kernarg_segment_ptr 1
		.amdhsa_user_sgpr_dispatch_id 0
		.amdhsa_user_sgpr_flat_scratch_init 0
		.amdhsa_user_sgpr_private_segment_size 0
		.amdhsa_uses_dynamic_stack 0
		.amdhsa_system_sgpr_private_segment_wavefront_offset 0
		.amdhsa_system_sgpr_workgroup_id_x 1
		.amdhsa_system_sgpr_workgroup_id_y 0
		.amdhsa_system_sgpr_workgroup_id_z 0
		.amdhsa_system_sgpr_workgroup_info 0
		.amdhsa_system_vgpr_workitem_id 0
		.amdhsa_next_free_vgpr 61
		.amdhsa_next_free_sgpr 41
		.amdhsa_reserve_vcc 1
		.amdhsa_reserve_flat_scratch 0
		.amdhsa_float_round_mode_32 0
		.amdhsa_float_round_mode_16_64 0
		.amdhsa_float_denorm_mode_32 3
		.amdhsa_float_denorm_mode_16_64 3
		.amdhsa_dx10_clamp 1
		.amdhsa_ieee_mode 1
		.amdhsa_fp16_overflow 0
		.amdhsa_exception_fp_ieee_invalid_op 0
		.amdhsa_exception_fp_denorm_src 0
		.amdhsa_exception_fp_ieee_div_zero 0
		.amdhsa_exception_fp_ieee_overflow 0
		.amdhsa_exception_fp_ieee_underflow 0
		.amdhsa_exception_fp_ieee_inexact 0
		.amdhsa_exception_int_div_zero 0
	.end_amdhsa_kernel
	.section	.text._ZN2at6native12_GLOBAL__N_125multi_tensor_apply_kernelINS1_18TensorListMetadataILi3EEENS1_32PointwiseOpScalar0dTensorFunctorIN3c107complexIdEELi3ELi2ELi0EEEJSt7dividesIS8_ES8_EEEvT_T0_DpT1_,"axG",@progbits,_ZN2at6native12_GLOBAL__N_125multi_tensor_apply_kernelINS1_18TensorListMetadataILi3EEENS1_32PointwiseOpScalar0dTensorFunctorIN3c107complexIdEELi3ELi2ELi0EEEJSt7dividesIS8_ES8_EEEvT_T0_DpT1_,comdat
.Lfunc_end84:
	.size	_ZN2at6native12_GLOBAL__N_125multi_tensor_apply_kernelINS1_18TensorListMetadataILi3EEENS1_32PointwiseOpScalar0dTensorFunctorIN3c107complexIdEELi3ELi2ELi0EEEJSt7dividesIS8_ES8_EEEvT_T0_DpT1_, .Lfunc_end84-_ZN2at6native12_GLOBAL__N_125multi_tensor_apply_kernelINS1_18TensorListMetadataILi3EEENS1_32PointwiseOpScalar0dTensorFunctorIN3c107complexIdEELi3ELi2ELi0EEEJSt7dividesIS8_ES8_EEEvT_T0_DpT1_
                                        ; -- End function
	.set _ZN2at6native12_GLOBAL__N_125multi_tensor_apply_kernelINS1_18TensorListMetadataILi3EEENS1_32PointwiseOpScalar0dTensorFunctorIN3c107complexIdEELi3ELi2ELi0EEEJSt7dividesIS8_ES8_EEEvT_T0_DpT1_.num_vgpr, 61
	.set _ZN2at6native12_GLOBAL__N_125multi_tensor_apply_kernelINS1_18TensorListMetadataILi3EEENS1_32PointwiseOpScalar0dTensorFunctorIN3c107complexIdEELi3ELi2ELi0EEEJSt7dividesIS8_ES8_EEEvT_T0_DpT1_.num_agpr, 0
	.set _ZN2at6native12_GLOBAL__N_125multi_tensor_apply_kernelINS1_18TensorListMetadataILi3EEENS1_32PointwiseOpScalar0dTensorFunctorIN3c107complexIdEELi3ELi2ELi0EEEJSt7dividesIS8_ES8_EEEvT_T0_DpT1_.numbered_sgpr, 41
	.set _ZN2at6native12_GLOBAL__N_125multi_tensor_apply_kernelINS1_18TensorListMetadataILi3EEENS1_32PointwiseOpScalar0dTensorFunctorIN3c107complexIdEELi3ELi2ELi0EEEJSt7dividesIS8_ES8_EEEvT_T0_DpT1_.num_named_barrier, 0
	.set _ZN2at6native12_GLOBAL__N_125multi_tensor_apply_kernelINS1_18TensorListMetadataILi3EEENS1_32PointwiseOpScalar0dTensorFunctorIN3c107complexIdEELi3ELi2ELi0EEEJSt7dividesIS8_ES8_EEEvT_T0_DpT1_.private_seg_size, 0
	.set _ZN2at6native12_GLOBAL__N_125multi_tensor_apply_kernelINS1_18TensorListMetadataILi3EEENS1_32PointwiseOpScalar0dTensorFunctorIN3c107complexIdEELi3ELi2ELi0EEEJSt7dividesIS8_ES8_EEEvT_T0_DpT1_.uses_vcc, 1
	.set _ZN2at6native12_GLOBAL__N_125multi_tensor_apply_kernelINS1_18TensorListMetadataILi3EEENS1_32PointwiseOpScalar0dTensorFunctorIN3c107complexIdEELi3ELi2ELi0EEEJSt7dividesIS8_ES8_EEEvT_T0_DpT1_.uses_flat_scratch, 0
	.set _ZN2at6native12_GLOBAL__N_125multi_tensor_apply_kernelINS1_18TensorListMetadataILi3EEENS1_32PointwiseOpScalar0dTensorFunctorIN3c107complexIdEELi3ELi2ELi0EEEJSt7dividesIS8_ES8_EEEvT_T0_DpT1_.has_dyn_sized_stack, 0
	.set _ZN2at6native12_GLOBAL__N_125multi_tensor_apply_kernelINS1_18TensorListMetadataILi3EEENS1_32PointwiseOpScalar0dTensorFunctorIN3c107complexIdEELi3ELi2ELi0EEEJSt7dividesIS8_ES8_EEEvT_T0_DpT1_.has_recursion, 0
	.set _ZN2at6native12_GLOBAL__N_125multi_tensor_apply_kernelINS1_18TensorListMetadataILi3EEENS1_32PointwiseOpScalar0dTensorFunctorIN3c107complexIdEELi3ELi2ELi0EEEJSt7dividesIS8_ES8_EEEvT_T0_DpT1_.has_indirect_call, 0
	.section	.AMDGPU.csdata,"",@progbits
; Kernel info:
; codeLenInByte = 13312
; TotalNumSgprs: 45
; NumVgprs: 61
; ScratchSize: 0
; MemoryBound: 1
; FloatMode: 240
; IeeeMode: 1
; LDSByteSize: 0 bytes/workgroup (compile time only)
; SGPRBlocks: 5
; VGPRBlocks: 15
; NumSGPRsForWavesPerEU: 45
; NumVGPRsForWavesPerEU: 61
; Occupancy: 4
; WaveLimiterHint : 0
; COMPUTE_PGM_RSRC2:SCRATCH_EN: 0
; COMPUTE_PGM_RSRC2:USER_SGPR: 6
; COMPUTE_PGM_RSRC2:TRAP_HANDLER: 0
; COMPUTE_PGM_RSRC2:TGID_X_EN: 1
; COMPUTE_PGM_RSRC2:TGID_Y_EN: 0
; COMPUTE_PGM_RSRC2:TGID_Z_EN: 0
; COMPUTE_PGM_RSRC2:TIDIG_COMP_CNT: 0
	.section	.text._ZN2at6native12_GLOBAL__N_125multi_tensor_apply_kernelINS1_18TensorListMetadataILi3EEENS1_32PointwiseOpScalar0dTensorFunctorIN3c107complexIfEELi3ELi2ELi0EEEJSt7dividesIS8_ES8_EEEvT_T0_DpT1_,"axG",@progbits,_ZN2at6native12_GLOBAL__N_125multi_tensor_apply_kernelINS1_18TensorListMetadataILi3EEENS1_32PointwiseOpScalar0dTensorFunctorIN3c107complexIfEELi3ELi2ELi0EEEJSt7dividesIS8_ES8_EEEvT_T0_DpT1_,comdat
	.globl	_ZN2at6native12_GLOBAL__N_125multi_tensor_apply_kernelINS1_18TensorListMetadataILi3EEENS1_32PointwiseOpScalar0dTensorFunctorIN3c107complexIfEELi3ELi2ELi0EEEJSt7dividesIS8_ES8_EEEvT_T0_DpT1_ ; -- Begin function _ZN2at6native12_GLOBAL__N_125multi_tensor_apply_kernelINS1_18TensorListMetadataILi3EEENS1_32PointwiseOpScalar0dTensorFunctorIN3c107complexIfEELi3ELi2ELi0EEEJSt7dividesIS8_ES8_EEEvT_T0_DpT1_
	.p2align	8
	.type	_ZN2at6native12_GLOBAL__N_125multi_tensor_apply_kernelINS1_18TensorListMetadataILi3EEENS1_32PointwiseOpScalar0dTensorFunctorIN3c107complexIfEELi3ELi2ELi0EEEJSt7dividesIS8_ES8_EEEvT_T0_DpT1_,@function
_ZN2at6native12_GLOBAL__N_125multi_tensor_apply_kernelINS1_18TensorListMetadataILi3EEENS1_32PointwiseOpScalar0dTensorFunctorIN3c107complexIfEELi3ELi2ELi0EEEJSt7dividesIS8_ES8_EEEvT_T0_DpT1_: ; @_ZN2at6native12_GLOBAL__N_125multi_tensor_apply_kernelINS1_18TensorListMetadataILi3EEENS1_32PointwiseOpScalar0dTensorFunctorIN3c107complexIfEELi3ELi2ELi0EEEJSt7dividesIS8_ES8_EEEvT_T0_DpT1_
; %bb.0:
	v_mov_b32_e32 v1, s6
	global_load_ubyte v1, v1, s[4:5] offset:1536
	s_add_u32 s0, s4, s6
	s_mul_hi_u32 s1, s6, 3
	s_mul_i32 s6, s6, 3
	s_addc_u32 s2, s5, 0
	s_add_u32 s0, s0, s6
	s_addc_u32 s1, s2, s1
	s_load_dword s2, s[0:1], 0x740
	s_load_dwordx2 s[8:9], s[4:5], 0xc50
	s_mov_b32 s1, 0
	s_mov_b32 s7, s1
	s_waitcnt lgkmcnt(0)
	s_ashr_i32 s3, s2, 31
	s_lshl_b64 s[16:17], s[2:3], 19
	s_waitcnt vmcnt(0)
	v_lshlrev_b32_e32 v1, 3, v1
	v_readfirstlane_b32 s0, v1
	s_load_dwordx2 s[10:11], s[4:5], s0 offset:0x0
	s_load_dwordx2 s[14:15], s[4:5], s0 offset:0x180
	s_load_dwordx2 s[20:21], s[4:5], s0 offset:0x480
	s_load_dwordx2 s[18:19], s[4:5], s0 offset:0x300
	s_waitcnt lgkmcnt(0)
	s_add_u32 s10, s10, s16
	s_addc_u32 s11, s11, s17
	s_add_u32 s0, s14, s16
	s_load_dwordx2 s[12:13], s[14:15], 0x0
	s_add_u32 s14, s18, s16
	s_addc_u32 s15, s19, s17
	s_or_b32 s6, s14, s0
	s_lshl_b64 s[2:3], s[2:3], 16
	s_and_b32 s0, s10, 31
	s_and_b32 s6, s6, 31
	s_cmp_lg_u32 s6, 0
	s_cselect_b64 s[16:17], -1, 0
	s_sub_u32 s18, s20, s2
	s_subb_u32 s19, s21, s3
	s_and_b32 s6, s20, 3
	s_or_b64 s[0:1], s[0:1], s[6:7]
	s_cmp_lg_u64 s[0:1], 0
	s_cselect_b64 s[0:1], -1, 0
	s_or_b64 s[0:1], s[16:17], s[0:1]
	s_andn2_b64 vcc, exec, s[0:1]
	s_mov_b64 s[0:1], -1
	s_cbranch_vccz .LBB85_85
; %bb.1:
	v_mov_b32_e32 v1, 0x10000
	v_mov_b32_e32 v2, 0
	v_cmp_lt_i64_e32 vcc, s[18:19], v[1:2]
	v_mov_b32_e32 v2, 0
	s_and_b64 s[0:1], vcc, exec
	s_cselect_b32 s17, s19, 0
	s_cselect_b32 s16, s18, 0x10000
	v_lshlrev_b32_e32 v1, 2, v0
	v_cmp_gt_i64_e32 vcc, s[16:17], v[1:2]
	s_and_saveexec_b64 s[20:21], vcc
	s_cbranch_execz .LBB85_84
; %bb.2:
	s_load_dword s6, s[4:5], 0xc64
	s_and_b32 s2, s9, 0x7fffffff
	v_mov_b32_e32 v1, v2
	s_cmp_lg_u32 s2, 0
	v_cmp_neq_f32_e64 s[0:1], s8, 1.0
	s_cselect_b64 s[2:3], -1, 0
	s_waitcnt lgkmcnt(0)
	s_and_b32 s33, s6, 0xffff
	v_mov_b32_e32 v18, v1
	s_or_b64 s[22:23], s[0:1], s[2:3]
	v_lshlrev_b32_e32 v21, 5, v0
	s_lshl_b32 s34, s33, 5
	s_mov_b64 s[24:25], 0
	s_mov_b64 s[26:27], s[10:11]
	;; [unrolled: 1-line block ×3, first 2 shown]
	v_mov_b32_e32 v17, v0
	s_branch .LBB85_5
.LBB85_3:                               ;   in Loop: Header=BB85_5 Depth=1
	s_or_b64 exec, exec, s[0:1]
.LBB85_4:                               ;   in Loop: Header=BB85_5 Depth=1
	v_add_co_u32_e32 v17, vcc, s33, v17
	s_waitcnt vmcnt(0)
	v_add_f32_e32 v7, v7, v25
	v_add_f32_e32 v8, v8, v24
	;; [unrolled: 1-line block ×4, first 2 shown]
	v_addc_co_u32_e32 v18, vcc, 0, v18, vcc
	global_store_dwordx4 v[19:20], v[5:8], off
	s_add_u32 s28, s28, s34
	v_lshlrev_b64 v[5:6], 2, v[17:18]
	s_addc_u32 s29, s29, 0
	s_add_u32 s26, s26, s34
	v_cmp_le_i64_e32 vcc, s[16:17], v[5:6]
	s_addc_u32 s27, s27, 0
	v_add_f32_e32 v1, v1, v13
	v_add_f32_e32 v2, v2, v14
	;; [unrolled: 1-line block ×4, first 2 shown]
	s_or_b64 s[24:25], vcc, s[24:25]
	global_store_dwordx4 v[19:20], v[1:4], off offset:16
	s_andn2_b64 exec, exec, s[24:25]
	s_cbranch_execz .LBB85_84
.LBB85_5:                               ; =>This Inner Loop Header: Depth=1
	v_mov_b32_e32 v2, s29
	v_add_co_u32_e32 v1, vcc, s28, v21
	v_addc_co_u32_e32 v2, vcc, 0, v2, vcc
	global_load_dwordx4 v[13:16], v[1:2], off
	global_load_dwordx4 v[9:12], v[1:2], off offset:16
	v_mov_b32_e32 v1, s27
	v_add_co_u32_e32 v19, vcc, s26, v21
	v_addc_co_u32_e32 v20, vcc, 0, v1, vcc
	global_load_dwordx4 v[1:4], v[19:20], off offset:16
	global_load_dwordx4 v[5:8], v[19:20], off
	s_mov_b64 s[2:3], -1
	s_and_b64 vcc, exec, s[22:23]
                                        ; implicit-def: $vgpr23
                                        ; implicit-def: $vgpr22
	s_waitcnt vmcnt(3)
	v_cmp_gt_f32_e64 s[0:1], 0, v13
	v_cndmask_b32_e64 v25, v13, -v13, s[0:1]
	v_cmp_gt_f32_e64 s[0:1], 0, v14
	v_cndmask_b32_e64 v24, v14, -v14, s[0:1]
	v_cmp_ge_f32_e64 s[0:1], v25, v24
	s_cbranch_vccz .LBB85_15
; %bb.6:                                ;   in Loop: Header=BB85_5 Depth=1
                                        ; implicit-def: $vgpr23
                                        ; implicit-def: $vgpr26
	s_and_saveexec_b64 s[2:3], s[0:1]
	s_xor_b64 s[6:7], exec, s[2:3]
	s_cbranch_execz .LBB85_12
; %bb.7:                                ;   in Loop: Header=BB85_5 Depth=1
	v_cmp_neq_f32_e32 vcc, 0, v13
	v_cmp_neq_f32_e64 s[2:3], 0, v14
	s_or_b64 s[2:3], vcc, s[2:3]
                                        ; implicit-def: $vgpr23
                                        ; implicit-def: $vgpr26
	s_and_saveexec_b64 s[30:31], s[2:3]
	s_xor_b64 s[2:3], exec, s[30:31]
	s_cbranch_execz .LBB85_9
; %bb.8:                                ;   in Loop: Header=BB85_5 Depth=1
	v_div_scale_f32 v22, s[30:31], v13, v13, v14
	v_div_scale_f32 v23, vcc, v14, v13, v14
	v_rcp_f32_e32 v26, v22
	v_fma_f32 v27, -v22, v26, 1.0
	v_fmac_f32_e32 v26, v27, v26
	v_mul_f32_e32 v27, v23, v26
	v_fma_f32 v28, -v22, v27, v23
	v_fmac_f32_e32 v27, v28, v26
	v_fma_f32 v22, -v22, v27, v23
	v_div_fmas_f32 v22, v22, v26, v27
	v_div_fixup_f32 v22, v22, v13, v14
	v_fma_f32 v23, v14, v22, v13
	v_div_scale_f32 v26, s[30:31], v23, v23, 1.0
	v_div_scale_f32 v27, vcc, 1.0, v23, 1.0
	v_rcp_f32_e32 v28, v26
	v_fma_f32 v29, -v26, v28, 1.0
	v_fmac_f32_e32 v28, v29, v28
	v_mul_f32_e32 v29, v27, v28
	v_fma_f32 v30, -v26, v29, v27
	v_fmac_f32_e32 v29, v30, v28
	v_fma_f32 v26, -v26, v29, v27
	v_div_fmas_f32 v26, v26, v28, v29
	v_mov_b32_e32 v27, s12
	v_mov_b32_e32 v28, s13
	v_fma_f32 v27, s13, v22, v27
	v_fma_f32 v22, -v22, s12, v28
	v_div_fixup_f32 v23, v26, v23, 1.0
	v_mul_f32_e32 v26, v27, v23
	v_mul_f32_e32 v23, v22, v23
.LBB85_9:                               ;   in Loop: Header=BB85_5 Depth=1
	s_andn2_saveexec_b64 s[2:3], s[2:3]
	s_cbranch_execz .LBB85_11
; %bb.10:                               ;   in Loop: Header=BB85_5 Depth=1
	v_div_scale_f32 v22, s[30:31], v25, v25, s12
	v_rcp_f32_e32 v23, v22
	v_fma_f32 v26, -v22, v23, 1.0
	v_fmac_f32_e32 v23, v26, v23
	v_div_scale_f32 v26, vcc, s12, v25, s12
	v_mul_f32_e32 v27, v26, v23
	v_fma_f32 v28, -v22, v27, v26
	v_fmac_f32_e32 v27, v28, v23
	v_fma_f32 v22, -v22, v27, v26
	v_div_fmas_f32 v22, v22, v23, v27
	v_div_fixup_f32 v26, v22, v25, s12
	v_div_scale_f32 v22, s[30:31], v24, v24, s13
	v_rcp_f32_e32 v23, v22
	v_fma_f32 v27, -v22, v23, 1.0
	v_fmac_f32_e32 v23, v27, v23
	v_div_scale_f32 v27, vcc, s13, v24, s13
	v_mul_f32_e32 v28, v27, v23
	v_fma_f32 v29, -v22, v28, v27
	v_fmac_f32_e32 v28, v29, v23
	v_fma_f32 v22, -v22, v28, v27
	v_div_fmas_f32 v22, v22, v23, v28
	v_div_fixup_f32 v23, v22, v24, s13
.LBB85_11:                              ;   in Loop: Header=BB85_5 Depth=1
	s_or_b64 exec, exec, s[2:3]
.LBB85_12:                              ;   in Loop: Header=BB85_5 Depth=1
	s_andn2_saveexec_b64 s[2:3], s[6:7]
	s_cbranch_execz .LBB85_14
; %bb.13:                               ;   in Loop: Header=BB85_5 Depth=1
	v_div_scale_f32 v22, s[6:7], v14, v14, v13
	v_div_scale_f32 v23, vcc, v13, v14, v13
	v_rcp_f32_e32 v26, v22
	v_fma_f32 v27, -v22, v26, 1.0
	v_fmac_f32_e32 v26, v27, v26
	v_mul_f32_e32 v27, v23, v26
	v_fma_f32 v28, -v22, v27, v23
	v_fmac_f32_e32 v27, v28, v26
	v_fma_f32 v22, -v22, v27, v23
	v_div_fmas_f32 v22, v22, v26, v27
	v_div_fixup_f32 v22, v22, v14, v13
	v_fma_f32 v23, v13, v22, v14
	v_div_scale_f32 v26, s[6:7], v23, v23, 1.0
	v_div_scale_f32 v27, vcc, 1.0, v23, 1.0
	v_rcp_f32_e32 v28, v26
	v_fma_f32 v29, -v26, v28, 1.0
	v_fmac_f32_e32 v28, v29, v28
	v_mul_f32_e32 v29, v27, v28
	v_fma_f32 v30, -v26, v29, v27
	v_fmac_f32_e32 v29, v30, v28
	v_fma_f32 v26, -v26, v29, v27
	v_div_fmas_f32 v26, v26, v28, v29
	v_mov_b32_e32 v27, s13
	v_mov_b32_e32 v28, s12
	v_fma_f32 v27, s12, v22, v27
	v_fma_f32 v22, v22, s13, -v28
	v_div_fixup_f32 v23, v26, v23, 1.0
	v_mul_f32_e32 v26, v27, v23
	v_mul_f32_e32 v23, v22, v23
.LBB85_14:                              ;   in Loop: Header=BB85_5 Depth=1
	s_or_b64 exec, exec, s[2:3]
	v_mul_f32_e32 v22, s9, v23
	v_mul_f32_e32 v23, s8, v23
	v_fma_f32 v22, v26, s8, -v22
	v_fmac_f32_e32 v23, s9, v26
	s_mov_b64 s[2:3], 0
.LBB85_15:                              ;   in Loop: Header=BB85_5 Depth=1
	s_and_b64 vcc, exec, s[2:3]
	s_cbranch_vccz .LBB85_25
; %bb.16:                               ;   in Loop: Header=BB85_5 Depth=1
                                        ; implicit-def: $vgpr23
                                        ; implicit-def: $vgpr22
	s_and_saveexec_b64 s[2:3], s[0:1]
	s_xor_b64 s[2:3], exec, s[2:3]
	s_cbranch_execz .LBB85_22
; %bb.17:                               ;   in Loop: Header=BB85_5 Depth=1
	v_cmp_neq_f32_e32 vcc, 0, v13
	v_cmp_neq_f32_e64 s[0:1], 0, v14
	s_or_b64 s[0:1], vcc, s[0:1]
                                        ; implicit-def: $vgpr23
                                        ; implicit-def: $vgpr22
	s_and_saveexec_b64 s[6:7], s[0:1]
	s_xor_b64 s[0:1], exec, s[6:7]
	s_cbranch_execz .LBB85_19
; %bb.18:                               ;   in Loop: Header=BB85_5 Depth=1
	v_div_scale_f32 v22, s[6:7], v13, v13, v14
	v_div_scale_f32 v23, vcc, v14, v13, v14
	v_rcp_f32_e32 v24, v22
	v_fma_f32 v25, -v22, v24, 1.0
	v_fmac_f32_e32 v24, v25, v24
	v_mul_f32_e32 v25, v23, v24
	v_fma_f32 v26, -v22, v25, v23
	v_fmac_f32_e32 v25, v26, v24
	v_fma_f32 v22, -v22, v25, v23
	v_div_fmas_f32 v22, v22, v24, v25
	v_div_fixup_f32 v22, v22, v13, v14
	v_fma_f32 v23, v14, v22, v13
	v_div_scale_f32 v24, s[6:7], v23, v23, 1.0
	v_div_scale_f32 v25, vcc, 1.0, v23, 1.0
	v_rcp_f32_e32 v26, v24
	v_fma_f32 v27, -v24, v26, 1.0
	v_fmac_f32_e32 v26, v27, v26
	v_mul_f32_e32 v27, v25, v26
	v_fma_f32 v28, -v24, v27, v25
	v_fmac_f32_e32 v27, v28, v26
	v_fma_f32 v24, -v24, v27, v25
	v_div_fmas_f32 v24, v24, v26, v27
	v_mov_b32_e32 v25, s12
	v_mov_b32_e32 v26, s13
	v_fma_f32 v25, s13, v22, v25
	v_fma_f32 v26, -v22, s12, v26
	v_div_fixup_f32 v23, v24, v23, 1.0
	v_mul_f32_e32 v22, v25, v23
	v_mul_f32_e32 v23, v26, v23
                                        ; implicit-def: $vgpr25
                                        ; implicit-def: $vgpr24
.LBB85_19:                              ;   in Loop: Header=BB85_5 Depth=1
	s_andn2_saveexec_b64 s[0:1], s[0:1]
	s_cbranch_execz .LBB85_21
; %bb.20:                               ;   in Loop: Header=BB85_5 Depth=1
	v_div_scale_f32 v22, s[6:7], v25, v25, s12
	v_rcp_f32_e32 v23, v22
	v_fma_f32 v26, -v22, v23, 1.0
	v_fmac_f32_e32 v23, v26, v23
	v_div_scale_f32 v26, vcc, s12, v25, s12
	v_mul_f32_e32 v27, v26, v23
	v_fma_f32 v28, -v22, v27, v26
	v_fmac_f32_e32 v27, v28, v23
	v_fma_f32 v22, -v22, v27, v26
	v_div_fmas_f32 v22, v22, v23, v27
	v_div_scale_f32 v23, s[6:7], v24, v24, s13
	v_div_fixup_f32 v22, v22, v25, s12
	v_rcp_f32_e32 v25, v23
	v_fma_f32 v26, -v23, v25, 1.0
	v_fmac_f32_e32 v25, v26, v25
	v_div_scale_f32 v26, vcc, s13, v24, s13
	v_mul_f32_e32 v27, v26, v25
	v_fma_f32 v28, -v23, v27, v26
	v_fmac_f32_e32 v27, v28, v25
	v_fma_f32 v23, -v23, v27, v26
	v_div_fmas_f32 v23, v23, v25, v27
	v_div_fixup_f32 v23, v23, v24, s13
.LBB85_21:                              ;   in Loop: Header=BB85_5 Depth=1
	s_or_b64 exec, exec, s[0:1]
.LBB85_22:                              ;   in Loop: Header=BB85_5 Depth=1
	s_andn2_saveexec_b64 s[0:1], s[2:3]
	s_cbranch_execz .LBB85_24
; %bb.23:                               ;   in Loop: Header=BB85_5 Depth=1
	v_div_scale_f32 v22, s[2:3], v14, v14, v13
	v_div_scale_f32 v23, vcc, v13, v14, v13
	v_rcp_f32_e32 v24, v22
	v_fma_f32 v25, -v22, v24, 1.0
	v_fmac_f32_e32 v24, v25, v24
	v_mul_f32_e32 v25, v23, v24
	v_fma_f32 v26, -v22, v25, v23
	v_fmac_f32_e32 v25, v26, v24
	v_fma_f32 v22, -v22, v25, v23
	v_div_fmas_f32 v22, v22, v24, v25
	v_div_fixup_f32 v22, v22, v14, v13
	v_fma_f32 v13, v13, v22, v14
	v_div_scale_f32 v14, s[2:3], v13, v13, 1.0
	v_div_scale_f32 v23, vcc, 1.0, v13, 1.0
	v_rcp_f32_e32 v24, v14
	v_fma_f32 v25, -v14, v24, 1.0
	v_fmac_f32_e32 v24, v25, v24
	v_mul_f32_e32 v25, v23, v24
	v_fma_f32 v26, -v14, v25, v23
	v_fmac_f32_e32 v25, v26, v24
	v_fma_f32 v14, -v14, v25, v23
	v_div_fmas_f32 v14, v14, v24, v25
	v_mov_b32_e32 v23, s13
	v_mov_b32_e32 v24, s12
	v_fma_f32 v23, s12, v22, v23
	v_fma_f32 v24, v22, s13, -v24
	v_div_fixup_f32 v13, v14, v13, 1.0
	v_mul_f32_e32 v22, v23, v13
	v_mul_f32_e32 v23, v24, v13
.LBB85_24:                              ;   in Loop: Header=BB85_5 Depth=1
	s_or_b64 exec, exec, s[0:1]
.LBB85_25:                              ;   in Loop: Header=BB85_5 Depth=1
	v_cmp_gt_f32_e32 vcc, 0, v15
	v_cndmask_b32_e64 v13, v15, -v15, vcc
	v_cmp_gt_f32_e32 vcc, 0, v16
	v_cndmask_b32_e64 v14, v16, -v16, vcc
	v_cndmask_b32_e64 v24, 0, 1, s[22:23]
	v_cmp_ge_f32_e64 s[2:3], v13, v14
	v_cmp_ne_u32_e64 s[0:1], 1, v24
	s_andn2_b64 vcc, exec, s[22:23]
	s_mov_b64 s[6:7], -1
                                        ; implicit-def: $vgpr24
                                        ; implicit-def: $vgpr25
	s_cbranch_vccnz .LBB85_35
; %bb.26:                               ;   in Loop: Header=BB85_5 Depth=1
                                        ; implicit-def: $vgpr24
                                        ; implicit-def: $vgpr26
	s_and_saveexec_b64 s[6:7], s[2:3]
	s_xor_b64 s[30:31], exec, s[6:7]
	s_cbranch_execz .LBB85_32
; %bb.27:                               ;   in Loop: Header=BB85_5 Depth=1
	v_cmp_neq_f32_e32 vcc, 0, v15
	v_cmp_neq_f32_e64 s[6:7], 0, v16
	s_or_b64 s[6:7], vcc, s[6:7]
                                        ; implicit-def: $vgpr24
                                        ; implicit-def: $vgpr26
	s_and_saveexec_b64 s[36:37], s[6:7]
	s_xor_b64 s[6:7], exec, s[36:37]
	s_cbranch_execz .LBB85_29
; %bb.28:                               ;   in Loop: Header=BB85_5 Depth=1
	v_div_scale_f32 v24, s[36:37], v15, v15, v16
	v_div_scale_f32 v25, vcc, v16, v15, v16
	v_rcp_f32_e32 v26, v24
	v_fma_f32 v27, -v24, v26, 1.0
	v_fmac_f32_e32 v26, v27, v26
	v_mul_f32_e32 v27, v25, v26
	v_fma_f32 v28, -v24, v27, v25
	v_fmac_f32_e32 v27, v28, v26
	v_fma_f32 v24, -v24, v27, v25
	v_div_fmas_f32 v24, v24, v26, v27
	v_div_fixup_f32 v24, v24, v15, v16
	v_fma_f32 v25, v16, v24, v15
	v_div_scale_f32 v26, s[36:37], v25, v25, 1.0
	v_div_scale_f32 v27, vcc, 1.0, v25, 1.0
	v_rcp_f32_e32 v28, v26
	v_fma_f32 v29, -v26, v28, 1.0
	v_fmac_f32_e32 v28, v29, v28
	v_mul_f32_e32 v29, v27, v28
	v_fma_f32 v30, -v26, v29, v27
	v_fmac_f32_e32 v29, v30, v28
	v_fma_f32 v26, -v26, v29, v27
	v_div_fmas_f32 v26, v26, v28, v29
	v_mov_b32_e32 v27, s12
	v_mov_b32_e32 v28, s13
	v_fma_f32 v27, s13, v24, v27
	v_fma_f32 v24, -v24, s12, v28
	v_div_fixup_f32 v25, v26, v25, 1.0
	v_mul_f32_e32 v26, v27, v25
	v_mul_f32_e32 v24, v24, v25
.LBB85_29:                              ;   in Loop: Header=BB85_5 Depth=1
	s_andn2_saveexec_b64 s[6:7], s[6:7]
	s_cbranch_execz .LBB85_31
; %bb.30:                               ;   in Loop: Header=BB85_5 Depth=1
	v_div_scale_f32 v24, s[36:37], v13, v13, s12
	v_rcp_f32_e32 v25, v24
	v_fma_f32 v26, -v24, v25, 1.0
	v_fmac_f32_e32 v25, v26, v25
	v_div_scale_f32 v26, vcc, s12, v13, s12
	v_mul_f32_e32 v27, v26, v25
	v_fma_f32 v28, -v24, v27, v26
	v_fmac_f32_e32 v27, v28, v25
	v_fma_f32 v24, -v24, v27, v26
	v_div_fmas_f32 v24, v24, v25, v27
	v_div_fixup_f32 v26, v24, v13, s12
	v_div_scale_f32 v24, s[36:37], v14, v14, s13
	v_rcp_f32_e32 v25, v24
	v_fma_f32 v27, -v24, v25, 1.0
	v_fmac_f32_e32 v25, v27, v25
	v_div_scale_f32 v27, vcc, s13, v14, s13
	v_mul_f32_e32 v28, v27, v25
	v_fma_f32 v29, -v24, v28, v27
	v_fmac_f32_e32 v28, v29, v25
	v_fma_f32 v24, -v24, v28, v27
	v_div_fmas_f32 v24, v24, v25, v28
	v_div_fixup_f32 v24, v24, v14, s13
.LBB85_31:                              ;   in Loop: Header=BB85_5 Depth=1
	s_or_b64 exec, exec, s[6:7]
.LBB85_32:                              ;   in Loop: Header=BB85_5 Depth=1
	s_andn2_saveexec_b64 s[6:7], s[30:31]
	s_cbranch_execz .LBB85_34
; %bb.33:                               ;   in Loop: Header=BB85_5 Depth=1
	v_div_scale_f32 v24, s[30:31], v16, v16, v15
	v_div_scale_f32 v25, vcc, v15, v16, v15
	v_rcp_f32_e32 v26, v24
	v_fma_f32 v27, -v24, v26, 1.0
	v_fmac_f32_e32 v26, v27, v26
	v_mul_f32_e32 v27, v25, v26
	v_fma_f32 v28, -v24, v27, v25
	v_fmac_f32_e32 v27, v28, v26
	v_fma_f32 v24, -v24, v27, v25
	v_div_fmas_f32 v24, v24, v26, v27
	v_div_fixup_f32 v24, v24, v16, v15
	v_fma_f32 v25, v15, v24, v16
	v_div_scale_f32 v26, s[30:31], v25, v25, 1.0
	v_div_scale_f32 v27, vcc, 1.0, v25, 1.0
	v_rcp_f32_e32 v28, v26
	v_fma_f32 v29, -v26, v28, 1.0
	v_fmac_f32_e32 v28, v29, v28
	v_mul_f32_e32 v29, v27, v28
	v_fma_f32 v30, -v26, v29, v27
	v_fmac_f32_e32 v29, v30, v28
	v_fma_f32 v26, -v26, v29, v27
	v_div_fmas_f32 v26, v26, v28, v29
	v_mov_b32_e32 v27, s13
	v_mov_b32_e32 v28, s12
	v_fma_f32 v27, s12, v24, v27
	v_fma_f32 v24, v24, s13, -v28
	v_div_fixup_f32 v25, v26, v25, 1.0
	v_mul_f32_e32 v26, v27, v25
	v_mul_f32_e32 v24, v24, v25
.LBB85_34:                              ;   in Loop: Header=BB85_5 Depth=1
	s_or_b64 exec, exec, s[6:7]
	v_mul_f32_e32 v25, s9, v24
	v_mul_f32_e32 v24, s8, v24
	v_fma_f32 v25, v26, s8, -v25
	v_fmac_f32_e32 v24, s9, v26
	s_mov_b64 s[6:7], 0
.LBB85_35:                              ;   in Loop: Header=BB85_5 Depth=1
	s_and_b64 vcc, exec, s[6:7]
	s_cbranch_vccz .LBB85_45
; %bb.36:                               ;   in Loop: Header=BB85_5 Depth=1
                                        ; implicit-def: $vgpr24
                                        ; implicit-def: $vgpr25
	s_and_saveexec_b64 s[6:7], s[2:3]
	s_xor_b64 s[6:7], exec, s[6:7]
	s_cbranch_execz .LBB85_42
; %bb.37:                               ;   in Loop: Header=BB85_5 Depth=1
	v_cmp_neq_f32_e32 vcc, 0, v15
	v_cmp_neq_f32_e64 s[2:3], 0, v16
	s_or_b64 s[2:3], vcc, s[2:3]
                                        ; implicit-def: $vgpr24
                                        ; implicit-def: $vgpr25
	s_and_saveexec_b64 s[30:31], s[2:3]
	s_xor_b64 s[2:3], exec, s[30:31]
	s_cbranch_execz .LBB85_39
; %bb.38:                               ;   in Loop: Header=BB85_5 Depth=1
	v_div_scale_f32 v13, s[30:31], v15, v15, v16
	v_div_scale_f32 v14, vcc, v16, v15, v16
	v_rcp_f32_e32 v24, v13
	v_fma_f32 v25, -v13, v24, 1.0
	v_fmac_f32_e32 v24, v25, v24
	v_mul_f32_e32 v25, v14, v24
	v_fma_f32 v26, -v13, v25, v14
	v_fmac_f32_e32 v25, v26, v24
	v_fma_f32 v13, -v13, v25, v14
	v_div_fmas_f32 v13, v13, v24, v25
	v_div_fixup_f32 v13, v13, v15, v16
	v_fmac_f32_e32 v15, v16, v13
	v_div_scale_f32 v14, s[30:31], v15, v15, 1.0
	v_div_scale_f32 v16, vcc, 1.0, v15, 1.0
	v_rcp_f32_e32 v24, v14
	v_fma_f32 v25, -v14, v24, 1.0
	v_fmac_f32_e32 v24, v25, v24
	v_mul_f32_e32 v25, v16, v24
	v_fma_f32 v26, -v14, v25, v16
	v_fmac_f32_e32 v25, v26, v24
	v_fma_f32 v14, -v14, v25, v16
	v_div_fmas_f32 v14, v14, v24, v25
	v_mov_b32_e32 v16, s12
	v_mov_b32_e32 v24, s13
	v_fma_f32 v16, s13, v13, v16
	v_fma_f32 v13, -v13, s12, v24
	v_div_fixup_f32 v14, v14, v15, 1.0
	v_mul_f32_e32 v25, v16, v14
	v_mul_f32_e32 v24, v13, v14
                                        ; implicit-def: $vgpr13
                                        ; implicit-def: $vgpr14
.LBB85_39:                              ;   in Loop: Header=BB85_5 Depth=1
	s_andn2_saveexec_b64 s[30:31], s[2:3]
	s_cbranch_execz .LBB85_41
; %bb.40:                               ;   in Loop: Header=BB85_5 Depth=1
	v_div_scale_f32 v15, s[2:3], v13, v13, s12
	v_div_scale_f32 v16, s[2:3], v14, v14, s13
	v_div_scale_f32 v24, vcc, s12, v13, s12
	v_div_scale_f32 v25, s[2:3], s13, v14, s13
	v_rcp_f32_e32 v26, v15
	v_rcp_f32_e32 v27, v16
	v_fma_f32 v28, -v15, v26, 1.0
	v_fmac_f32_e32 v26, v28, v26
	v_fma_f32 v29, -v16, v27, 1.0
	v_fmac_f32_e32 v27, v29, v27
	v_mul_f32_e32 v28, v24, v26
	v_mul_f32_e32 v29, v25, v27
	v_fma_f32 v30, -v15, v28, v24
	v_fma_f32 v31, -v16, v29, v25
	v_fmac_f32_e32 v28, v30, v26
	v_fmac_f32_e32 v29, v31, v27
	v_fma_f32 v15, -v15, v28, v24
	v_fma_f32 v16, -v16, v29, v25
	v_div_fmas_f32 v15, v15, v26, v28
	s_mov_b64 vcc, s[2:3]
	v_div_fmas_f32 v16, v16, v27, v29
	v_div_fixup_f32 v25, v15, v13, s12
	v_div_fixup_f32 v24, v16, v14, s13
.LBB85_41:                              ;   in Loop: Header=BB85_5 Depth=1
	s_or_b64 exec, exec, s[30:31]
                                        ; implicit-def: $vgpr13_vgpr14_vgpr15_vgpr16
.LBB85_42:                              ;   in Loop: Header=BB85_5 Depth=1
	s_andn2_saveexec_b64 s[2:3], s[6:7]
	s_cbranch_execz .LBB85_44
; %bb.43:                               ;   in Loop: Header=BB85_5 Depth=1
	v_div_scale_f32 v13, s[6:7], v16, v16, v15
	v_div_scale_f32 v14, vcc, v15, v16, v15
	v_rcp_f32_e32 v24, v13
	v_fma_f32 v25, -v13, v24, 1.0
	v_fmac_f32_e32 v24, v25, v24
	v_mul_f32_e32 v25, v14, v24
	v_fma_f32 v26, -v13, v25, v14
	v_fmac_f32_e32 v25, v26, v24
	v_fma_f32 v13, -v13, v25, v14
	v_div_fmas_f32 v13, v13, v24, v25
	v_div_fixup_f32 v13, v13, v16, v15
	v_fmac_f32_e32 v16, v15, v13
	v_div_scale_f32 v14, s[6:7], v16, v16, 1.0
	v_div_scale_f32 v15, vcc, 1.0, v16, 1.0
	v_rcp_f32_e32 v24, v14
	v_fma_f32 v25, -v14, v24, 1.0
	v_fmac_f32_e32 v24, v25, v24
	v_mul_f32_e32 v25, v15, v24
	v_fma_f32 v26, -v14, v25, v15
	v_fmac_f32_e32 v25, v26, v24
	v_fma_f32 v14, -v14, v25, v15
	v_div_fmas_f32 v14, v14, v24, v25
	v_mov_b32_e32 v15, s13
	v_mov_b32_e32 v24, s12
	v_fma_f32 v15, s12, v13, v15
	v_fma_f32 v13, v13, s13, -v24
	v_div_fixup_f32 v14, v14, v16, 1.0
	v_mul_f32_e32 v25, v15, v14
	v_mul_f32_e32 v24, v13, v14
.LBB85_44:                              ;   in Loop: Header=BB85_5 Depth=1
	s_or_b64 exec, exec, s[2:3]
.LBB85_45:                              ;   in Loop: Header=BB85_5 Depth=1
	s_waitcnt vmcnt(2)
	v_cmp_gt_f32_e32 vcc, 0, v9
	v_cndmask_b32_e64 v16, v9, -v9, vcc
	v_cmp_gt_f32_e32 vcc, 0, v10
	v_cndmask_b32_e64 v15, v10, -v10, vcc
	v_cmp_ge_f32_e64 s[2:3], v16, v15
	s_and_b64 vcc, exec, s[0:1]
	s_mov_b64 s[6:7], -1
                                        ; implicit-def: $vgpr14
                                        ; implicit-def: $vgpr13
	s_cbranch_vccnz .LBB85_55
; %bb.46:                               ;   in Loop: Header=BB85_5 Depth=1
                                        ; implicit-def: $vgpr14
                                        ; implicit-def: $vgpr26
	s_and_saveexec_b64 s[6:7], s[2:3]
	s_xor_b64 s[30:31], exec, s[6:7]
	s_cbranch_execz .LBB85_52
; %bb.47:                               ;   in Loop: Header=BB85_5 Depth=1
	v_cmp_neq_f32_e32 vcc, 0, v9
	v_cmp_neq_f32_e64 s[6:7], 0, v10
	s_or_b64 s[6:7], vcc, s[6:7]
                                        ; implicit-def: $vgpr14
                                        ; implicit-def: $vgpr26
	s_and_saveexec_b64 s[36:37], s[6:7]
	s_xor_b64 s[6:7], exec, s[36:37]
	s_cbranch_execz .LBB85_49
; %bb.48:                               ;   in Loop: Header=BB85_5 Depth=1
	v_div_scale_f32 v13, s[36:37], v9, v9, v10
	v_div_scale_f32 v14, vcc, v10, v9, v10
	v_rcp_f32_e32 v26, v13
	v_fma_f32 v27, -v13, v26, 1.0
	v_fmac_f32_e32 v26, v27, v26
	v_mul_f32_e32 v27, v14, v26
	v_fma_f32 v28, -v13, v27, v14
	v_fmac_f32_e32 v27, v28, v26
	v_fma_f32 v13, -v13, v27, v14
	v_div_fmas_f32 v13, v13, v26, v27
	v_div_fixup_f32 v13, v13, v9, v10
	v_fma_f32 v14, v10, v13, v9
	v_div_scale_f32 v26, s[36:37], v14, v14, 1.0
	v_div_scale_f32 v27, vcc, 1.0, v14, 1.0
	v_rcp_f32_e32 v28, v26
	v_fma_f32 v29, -v26, v28, 1.0
	v_fmac_f32_e32 v28, v29, v28
	v_mul_f32_e32 v29, v27, v28
	v_fma_f32 v30, -v26, v29, v27
	v_fmac_f32_e32 v29, v30, v28
	v_fma_f32 v26, -v26, v29, v27
	v_div_fmas_f32 v26, v26, v28, v29
	v_mov_b32_e32 v27, s12
	v_mov_b32_e32 v28, s13
	v_fma_f32 v27, s13, v13, v27
	v_fma_f32 v13, -v13, s12, v28
	v_div_fixup_f32 v14, v26, v14, 1.0
	v_mul_f32_e32 v26, v27, v14
	v_mul_f32_e32 v14, v13, v14
.LBB85_49:                              ;   in Loop: Header=BB85_5 Depth=1
	s_andn2_saveexec_b64 s[6:7], s[6:7]
	s_cbranch_execz .LBB85_51
; %bb.50:                               ;   in Loop: Header=BB85_5 Depth=1
	v_div_scale_f32 v13, s[36:37], v16, v16, s12
	v_rcp_f32_e32 v14, v13
	v_fma_f32 v26, -v13, v14, 1.0
	v_fmac_f32_e32 v14, v26, v14
	v_div_scale_f32 v26, vcc, s12, v16, s12
	v_mul_f32_e32 v27, v26, v14
	v_fma_f32 v28, -v13, v27, v26
	v_fmac_f32_e32 v27, v28, v14
	v_fma_f32 v13, -v13, v27, v26
	v_div_fmas_f32 v13, v13, v14, v27
	v_div_fixup_f32 v26, v13, v16, s12
	v_div_scale_f32 v13, s[36:37], v15, v15, s13
	v_rcp_f32_e32 v14, v13
	v_fma_f32 v27, -v13, v14, 1.0
	v_fmac_f32_e32 v14, v27, v14
	v_div_scale_f32 v27, vcc, s13, v15, s13
	v_mul_f32_e32 v28, v27, v14
	v_fma_f32 v29, -v13, v28, v27
	v_fmac_f32_e32 v28, v29, v14
	v_fma_f32 v13, -v13, v28, v27
	v_div_fmas_f32 v13, v13, v14, v28
	v_div_fixup_f32 v14, v13, v15, s13
.LBB85_51:                              ;   in Loop: Header=BB85_5 Depth=1
	s_or_b64 exec, exec, s[6:7]
.LBB85_52:                              ;   in Loop: Header=BB85_5 Depth=1
	s_andn2_saveexec_b64 s[6:7], s[30:31]
	s_cbranch_execz .LBB85_54
; %bb.53:                               ;   in Loop: Header=BB85_5 Depth=1
	v_div_scale_f32 v13, s[30:31], v10, v10, v9
	v_div_scale_f32 v14, vcc, v9, v10, v9
	v_rcp_f32_e32 v26, v13
	v_fma_f32 v27, -v13, v26, 1.0
	v_fmac_f32_e32 v26, v27, v26
	v_mul_f32_e32 v27, v14, v26
	v_fma_f32 v28, -v13, v27, v14
	v_fmac_f32_e32 v27, v28, v26
	v_fma_f32 v13, -v13, v27, v14
	v_div_fmas_f32 v13, v13, v26, v27
	v_div_fixup_f32 v13, v13, v10, v9
	v_fma_f32 v14, v9, v13, v10
	v_div_scale_f32 v26, s[30:31], v14, v14, 1.0
	v_div_scale_f32 v27, vcc, 1.0, v14, 1.0
	v_rcp_f32_e32 v28, v26
	v_fma_f32 v29, -v26, v28, 1.0
	v_fmac_f32_e32 v28, v29, v28
	v_mul_f32_e32 v29, v27, v28
	v_fma_f32 v30, -v26, v29, v27
	v_fmac_f32_e32 v29, v30, v28
	v_fma_f32 v26, -v26, v29, v27
	v_div_fmas_f32 v26, v26, v28, v29
	v_mov_b32_e32 v27, s13
	v_mov_b32_e32 v28, s12
	v_fma_f32 v27, s12, v13, v27
	v_fma_f32 v13, v13, s13, -v28
	v_div_fixup_f32 v14, v26, v14, 1.0
	v_mul_f32_e32 v26, v27, v14
	v_mul_f32_e32 v14, v13, v14
.LBB85_54:                              ;   in Loop: Header=BB85_5 Depth=1
	s_or_b64 exec, exec, s[6:7]
	v_mul_f32_e32 v13, s9, v14
	v_mul_f32_e32 v14, s8, v14
	v_fma_f32 v13, v26, s8, -v13
	v_fmac_f32_e32 v14, s9, v26
	s_mov_b64 s[6:7], 0
.LBB85_55:                              ;   in Loop: Header=BB85_5 Depth=1
	s_and_b64 vcc, exec, s[6:7]
	s_cbranch_vccz .LBB85_65
; %bb.56:                               ;   in Loop: Header=BB85_5 Depth=1
                                        ; implicit-def: $vgpr14
                                        ; implicit-def: $vgpr13
	s_and_saveexec_b64 s[6:7], s[2:3]
	s_xor_b64 s[6:7], exec, s[6:7]
	s_cbranch_execz .LBB85_62
; %bb.57:                               ;   in Loop: Header=BB85_5 Depth=1
	v_cmp_neq_f32_e32 vcc, 0, v9
	v_cmp_neq_f32_e64 s[2:3], 0, v10
	s_or_b64 s[2:3], vcc, s[2:3]
                                        ; implicit-def: $vgpr14
                                        ; implicit-def: $vgpr13
	s_and_saveexec_b64 s[30:31], s[2:3]
	s_xor_b64 s[2:3], exec, s[30:31]
	s_cbranch_execz .LBB85_59
; %bb.58:                               ;   in Loop: Header=BB85_5 Depth=1
	v_div_scale_f32 v13, s[30:31], v9, v9, v10
	v_div_scale_f32 v14, vcc, v10, v9, v10
	v_rcp_f32_e32 v15, v13
	v_fma_f32 v16, -v13, v15, 1.0
	v_fmac_f32_e32 v15, v16, v15
	v_mul_f32_e32 v16, v14, v15
	v_fma_f32 v26, -v13, v16, v14
	v_fmac_f32_e32 v16, v26, v15
	v_fma_f32 v13, -v13, v16, v14
	v_div_fmas_f32 v13, v13, v15, v16
	v_div_fixup_f32 v13, v13, v9, v10
	v_fma_f32 v14, v10, v13, v9
	v_div_scale_f32 v15, s[30:31], v14, v14, 1.0
	v_div_scale_f32 v16, vcc, 1.0, v14, 1.0
	v_rcp_f32_e32 v26, v15
	v_fma_f32 v27, -v15, v26, 1.0
	v_fmac_f32_e32 v26, v27, v26
	v_mul_f32_e32 v27, v16, v26
	v_fma_f32 v28, -v15, v27, v16
	v_fmac_f32_e32 v27, v28, v26
	v_fma_f32 v15, -v15, v27, v16
	v_div_fmas_f32 v15, v15, v26, v27
	v_mov_b32_e32 v16, s12
	v_mov_b32_e32 v26, s13
	v_fma_f32 v16, s13, v13, v16
	v_fma_f32 v26, -v13, s12, v26
	v_div_fixup_f32 v14, v15, v14, 1.0
	v_mul_f32_e32 v13, v16, v14
	v_mul_f32_e32 v14, v26, v14
                                        ; implicit-def: $vgpr16
                                        ; implicit-def: $vgpr15
.LBB85_59:                              ;   in Loop: Header=BB85_5 Depth=1
	s_andn2_saveexec_b64 s[2:3], s[2:3]
	s_cbranch_execz .LBB85_61
; %bb.60:                               ;   in Loop: Header=BB85_5 Depth=1
	v_div_scale_f32 v13, s[30:31], v16, v16, s12
	v_rcp_f32_e32 v14, v13
	v_fma_f32 v26, -v13, v14, 1.0
	v_fmac_f32_e32 v14, v26, v14
	v_div_scale_f32 v26, vcc, s12, v16, s12
	v_mul_f32_e32 v27, v26, v14
	v_fma_f32 v28, -v13, v27, v26
	v_fmac_f32_e32 v27, v28, v14
	v_fma_f32 v13, -v13, v27, v26
	v_div_fmas_f32 v13, v13, v14, v27
	v_div_scale_f32 v14, s[30:31], v15, v15, s13
	v_div_fixup_f32 v13, v13, v16, s12
	v_rcp_f32_e32 v16, v14
	v_fma_f32 v26, -v14, v16, 1.0
	v_fmac_f32_e32 v16, v26, v16
	v_div_scale_f32 v26, vcc, s13, v15, s13
	v_mul_f32_e32 v27, v26, v16
	v_fma_f32 v28, -v14, v27, v26
	v_fmac_f32_e32 v27, v28, v16
	v_fma_f32 v14, -v14, v27, v26
	v_div_fmas_f32 v14, v14, v16, v27
	v_div_fixup_f32 v14, v14, v15, s13
.LBB85_61:                              ;   in Loop: Header=BB85_5 Depth=1
	s_or_b64 exec, exec, s[2:3]
.LBB85_62:                              ;   in Loop: Header=BB85_5 Depth=1
	s_andn2_saveexec_b64 s[2:3], s[6:7]
	s_cbranch_execz .LBB85_64
; %bb.63:                               ;   in Loop: Header=BB85_5 Depth=1
	v_div_scale_f32 v13, s[6:7], v10, v10, v9
	v_div_scale_f32 v14, vcc, v9, v10, v9
	v_rcp_f32_e32 v15, v13
	v_fma_f32 v16, -v13, v15, 1.0
	v_fmac_f32_e32 v15, v16, v15
	v_mul_f32_e32 v16, v14, v15
	v_fma_f32 v26, -v13, v16, v14
	v_fmac_f32_e32 v16, v26, v15
	v_fma_f32 v13, -v13, v16, v14
	v_div_fmas_f32 v13, v13, v15, v16
	v_div_fixup_f32 v13, v13, v10, v9
	v_fma_f32 v9, v9, v13, v10
	v_div_scale_f32 v10, s[6:7], v9, v9, 1.0
	v_div_scale_f32 v14, vcc, 1.0, v9, 1.0
	v_rcp_f32_e32 v15, v10
	v_fma_f32 v16, -v10, v15, 1.0
	v_fmac_f32_e32 v15, v16, v15
	v_mul_f32_e32 v16, v14, v15
	v_fma_f32 v26, -v10, v16, v14
	v_fmac_f32_e32 v16, v26, v15
	v_fma_f32 v10, -v10, v16, v14
	v_div_fmas_f32 v10, v10, v15, v16
	v_mov_b32_e32 v14, s13
	v_mov_b32_e32 v15, s12
	v_fma_f32 v14, s12, v13, v14
	v_fma_f32 v15, v13, s13, -v15
	v_div_fixup_f32 v9, v10, v9, 1.0
	v_mul_f32_e32 v13, v14, v9
	v_mul_f32_e32 v14, v15, v9
.LBB85_64:                              ;   in Loop: Header=BB85_5 Depth=1
	s_or_b64 exec, exec, s[2:3]
.LBB85_65:                              ;   in Loop: Header=BB85_5 Depth=1
	v_cmp_gt_f32_e32 vcc, 0, v11
	v_cndmask_b32_e64 v9, v11, -v11, vcc
	v_cmp_gt_f32_e32 vcc, 0, v12
	v_cndmask_b32_e64 v10, v12, -v12, vcc
	v_cmp_ge_f32_e64 s[2:3], v9, v10
	s_and_b64 vcc, exec, s[0:1]
	s_mov_b64 s[0:1], -1
                                        ; implicit-def: $vgpr16
                                        ; implicit-def: $vgpr26
	s_cbranch_vccnz .LBB85_75
; %bb.66:                               ;   in Loop: Header=BB85_5 Depth=1
                                        ; implicit-def: $vgpr16
                                        ; implicit-def: $vgpr15
	s_and_saveexec_b64 s[0:1], s[2:3]
	s_xor_b64 s[6:7], exec, s[0:1]
	s_cbranch_execz .LBB85_72
; %bb.67:                               ;   in Loop: Header=BB85_5 Depth=1
	v_cmp_neq_f32_e32 vcc, 0, v11
	v_cmp_neq_f32_e64 s[0:1], 0, v12
	s_or_b64 s[0:1], vcc, s[0:1]
                                        ; implicit-def: $vgpr16
                                        ; implicit-def: $vgpr15
	s_and_saveexec_b64 s[30:31], s[0:1]
	s_xor_b64 s[0:1], exec, s[30:31]
	s_cbranch_execz .LBB85_69
; %bb.68:                               ;   in Loop: Header=BB85_5 Depth=1
	v_div_scale_f32 v15, s[30:31], v11, v11, v12
	v_div_scale_f32 v16, vcc, v12, v11, v12
	v_rcp_f32_e32 v26, v15
	v_fma_f32 v27, -v15, v26, 1.0
	v_fmac_f32_e32 v26, v27, v26
	v_mul_f32_e32 v27, v16, v26
	v_fma_f32 v28, -v15, v27, v16
	v_fmac_f32_e32 v27, v28, v26
	v_fma_f32 v15, -v15, v27, v16
	v_div_fmas_f32 v15, v15, v26, v27
	v_div_fixup_f32 v15, v15, v11, v12
	v_fma_f32 v16, v12, v15, v11
	v_div_scale_f32 v26, s[30:31], v16, v16, 1.0
	v_div_scale_f32 v27, vcc, 1.0, v16, 1.0
	v_rcp_f32_e32 v28, v26
	v_fma_f32 v29, -v26, v28, 1.0
	v_fmac_f32_e32 v28, v29, v28
	v_mul_f32_e32 v29, v27, v28
	v_fma_f32 v30, -v26, v29, v27
	v_fmac_f32_e32 v29, v30, v28
	v_fma_f32 v26, -v26, v29, v27
	v_div_fmas_f32 v26, v26, v28, v29
	v_mov_b32_e32 v27, s12
	v_mov_b32_e32 v28, s13
	v_fma_f32 v27, s13, v15, v27
	v_fma_f32 v28, -v15, s12, v28
	v_div_fixup_f32 v16, v26, v16, 1.0
	v_mul_f32_e32 v15, v27, v16
	v_mul_f32_e32 v16, v28, v16
.LBB85_69:                              ;   in Loop: Header=BB85_5 Depth=1
	s_andn2_saveexec_b64 s[0:1], s[0:1]
	s_cbranch_execz .LBB85_71
; %bb.70:                               ;   in Loop: Header=BB85_5 Depth=1
	v_div_scale_f32 v15, s[30:31], v9, v9, s12
	v_rcp_f32_e32 v16, v15
	v_fma_f32 v26, -v15, v16, 1.0
	v_fmac_f32_e32 v16, v26, v16
	v_div_scale_f32 v26, vcc, s12, v9, s12
	v_mul_f32_e32 v27, v26, v16
	v_fma_f32 v28, -v15, v27, v26
	v_fmac_f32_e32 v27, v28, v16
	v_fma_f32 v15, -v15, v27, v26
	v_div_fmas_f32 v15, v15, v16, v27
	v_div_scale_f32 v16, s[30:31], v10, v10, s13
	v_div_fixup_f32 v15, v15, v9, s12
	v_rcp_f32_e32 v26, v16
	v_fma_f32 v27, -v16, v26, 1.0
	v_fmac_f32_e32 v26, v27, v26
	v_div_scale_f32 v27, vcc, s13, v10, s13
	v_mul_f32_e32 v28, v27, v26
	v_fma_f32 v29, -v16, v28, v27
	v_fmac_f32_e32 v28, v29, v26
	v_fma_f32 v16, -v16, v28, v27
	v_div_fmas_f32 v16, v16, v26, v28
	v_div_fixup_f32 v16, v16, v10, s13
.LBB85_71:                              ;   in Loop: Header=BB85_5 Depth=1
	s_or_b64 exec, exec, s[0:1]
.LBB85_72:                              ;   in Loop: Header=BB85_5 Depth=1
	s_andn2_saveexec_b64 s[0:1], s[6:7]
	s_cbranch_execz .LBB85_74
; %bb.73:                               ;   in Loop: Header=BB85_5 Depth=1
	v_div_scale_f32 v15, s[6:7], v12, v12, v11
	v_div_scale_f32 v16, vcc, v11, v12, v11
	v_rcp_f32_e32 v26, v15
	v_fma_f32 v27, -v15, v26, 1.0
	v_fmac_f32_e32 v26, v27, v26
	v_mul_f32_e32 v27, v16, v26
	v_fma_f32 v28, -v15, v27, v16
	v_fmac_f32_e32 v27, v28, v26
	v_fma_f32 v15, -v15, v27, v16
	v_div_fmas_f32 v15, v15, v26, v27
	v_div_fixup_f32 v15, v15, v12, v11
	v_fma_f32 v16, v11, v15, v12
	v_div_scale_f32 v26, s[6:7], v16, v16, 1.0
	v_div_scale_f32 v27, vcc, 1.0, v16, 1.0
	v_rcp_f32_e32 v28, v26
	v_fma_f32 v29, -v26, v28, 1.0
	v_fmac_f32_e32 v28, v29, v28
	v_mul_f32_e32 v29, v27, v28
	v_fma_f32 v30, -v26, v29, v27
	v_fmac_f32_e32 v29, v30, v28
	v_fma_f32 v26, -v26, v29, v27
	v_div_fmas_f32 v26, v26, v28, v29
	v_mov_b32_e32 v27, s13
	v_mov_b32_e32 v28, s12
	v_fma_f32 v27, s12, v15, v27
	v_fma_f32 v28, v15, s13, -v28
	v_div_fixup_f32 v16, v26, v16, 1.0
	v_mul_f32_e32 v15, v27, v16
	v_mul_f32_e32 v16, v28, v16
.LBB85_74:                              ;   in Loop: Header=BB85_5 Depth=1
	s_or_b64 exec, exec, s[0:1]
	v_mul_f32_e32 v26, s9, v16
	v_mul_f32_e32 v16, s8, v16
	v_fma_f32 v26, v15, s8, -v26
	v_fmac_f32_e32 v16, s9, v15
	s_mov_b64 s[0:1], 0
.LBB85_75:                              ;   in Loop: Header=BB85_5 Depth=1
	s_and_b64 vcc, exec, s[0:1]
	s_cbranch_vccz .LBB85_4
; %bb.76:                               ;   in Loop: Header=BB85_5 Depth=1
                                        ; implicit-def: $vgpr16
                                        ; implicit-def: $vgpr26
	s_and_saveexec_b64 s[0:1], s[2:3]
	s_xor_b64 s[2:3], exec, s[0:1]
	s_cbranch_execz .LBB85_82
; %bb.77:                               ;   in Loop: Header=BB85_5 Depth=1
	v_cmp_neq_f32_e32 vcc, 0, v11
	v_cmp_neq_f32_e64 s[0:1], 0, v12
	s_or_b64 s[0:1], vcc, s[0:1]
                                        ; implicit-def: $vgpr16
                                        ; implicit-def: $vgpr26
	s_and_saveexec_b64 s[6:7], s[0:1]
	s_xor_b64 s[0:1], exec, s[6:7]
	s_cbranch_execz .LBB85_79
; %bb.78:                               ;   in Loop: Header=BB85_5 Depth=1
	v_div_scale_f32 v9, s[6:7], v11, v11, v12
	v_div_scale_f32 v10, vcc, v12, v11, v12
	v_rcp_f32_e32 v15, v9
	v_fma_f32 v16, -v9, v15, 1.0
	v_fmac_f32_e32 v15, v16, v15
	v_mul_f32_e32 v16, v10, v15
	v_fma_f32 v26, -v9, v16, v10
	v_fmac_f32_e32 v16, v26, v15
	v_fma_f32 v9, -v9, v16, v10
	v_div_fmas_f32 v9, v9, v15, v16
	v_div_fixup_f32 v9, v9, v11, v12
	v_fmac_f32_e32 v11, v12, v9
	v_div_scale_f32 v10, s[6:7], v11, v11, 1.0
	v_div_scale_f32 v12, vcc, 1.0, v11, 1.0
	v_rcp_f32_e32 v15, v10
	v_fma_f32 v16, -v10, v15, 1.0
	v_fmac_f32_e32 v15, v16, v15
	v_mul_f32_e32 v16, v12, v15
	v_fma_f32 v26, -v10, v16, v12
	v_fmac_f32_e32 v16, v26, v15
	v_fma_f32 v10, -v10, v16, v12
	v_div_fmas_f32 v10, v10, v15, v16
	v_mov_b32_e32 v12, s12
	v_mov_b32_e32 v15, s13
	v_fma_f32 v12, s13, v9, v12
	v_fma_f32 v9, -v9, s12, v15
	v_div_fixup_f32 v10, v10, v11, 1.0
	v_mul_f32_e32 v26, v12, v10
	v_mul_f32_e32 v16, v9, v10
                                        ; implicit-def: $vgpr9
                                        ; implicit-def: $vgpr10
.LBB85_79:                              ;   in Loop: Header=BB85_5 Depth=1
	s_andn2_saveexec_b64 s[6:7], s[0:1]
	s_cbranch_execz .LBB85_81
; %bb.80:                               ;   in Loop: Header=BB85_5 Depth=1
	v_div_scale_f32 v11, s[0:1], v9, v9, s12
	v_div_scale_f32 v12, s[0:1], v10, v10, s13
	v_div_scale_f32 v15, vcc, s12, v9, s12
	v_div_scale_f32 v16, s[0:1], s13, v10, s13
	v_rcp_f32_e32 v26, v11
	v_rcp_f32_e32 v27, v12
	v_fma_f32 v28, -v11, v26, 1.0
	v_fmac_f32_e32 v26, v28, v26
	v_fma_f32 v29, -v12, v27, 1.0
	v_fmac_f32_e32 v27, v29, v27
	v_mul_f32_e32 v28, v15, v26
	v_mul_f32_e32 v29, v16, v27
	v_fma_f32 v30, -v11, v28, v15
	v_fma_f32 v31, -v12, v29, v16
	v_fmac_f32_e32 v28, v30, v26
	v_fmac_f32_e32 v29, v31, v27
	v_fma_f32 v11, -v11, v28, v15
	v_fma_f32 v12, -v12, v29, v16
	v_div_fmas_f32 v11, v11, v26, v28
	s_mov_b64 vcc, s[0:1]
	v_div_fmas_f32 v12, v12, v27, v29
	v_div_fixup_f32 v26, v11, v9, s12
	v_div_fixup_f32 v16, v12, v10, s13
.LBB85_81:                              ;   in Loop: Header=BB85_5 Depth=1
	s_or_b64 exec, exec, s[6:7]
                                        ; implicit-def: $vgpr9_vgpr10_vgpr11_vgpr12
.LBB85_82:                              ;   in Loop: Header=BB85_5 Depth=1
	s_andn2_saveexec_b64 s[0:1], s[2:3]
	s_cbranch_execz .LBB85_3
; %bb.83:                               ;   in Loop: Header=BB85_5 Depth=1
	v_div_scale_f32 v9, s[2:3], v12, v12, v11
	v_div_scale_f32 v10, vcc, v11, v12, v11
	v_rcp_f32_e32 v15, v9
	v_fma_f32 v16, -v9, v15, 1.0
	v_fmac_f32_e32 v15, v16, v15
	v_mul_f32_e32 v16, v10, v15
	v_fma_f32 v26, -v9, v16, v10
	v_fmac_f32_e32 v16, v26, v15
	v_fma_f32 v9, -v9, v16, v10
	v_div_fmas_f32 v9, v9, v15, v16
	v_div_fixup_f32 v9, v9, v12, v11
	v_fmac_f32_e32 v12, v11, v9
	v_div_scale_f32 v10, s[2:3], v12, v12, 1.0
	v_div_scale_f32 v11, vcc, 1.0, v12, 1.0
	v_rcp_f32_e32 v15, v10
	v_fma_f32 v16, -v10, v15, 1.0
	v_fmac_f32_e32 v15, v16, v15
	v_mul_f32_e32 v16, v11, v15
	v_fma_f32 v26, -v10, v16, v11
	v_fmac_f32_e32 v16, v26, v15
	v_fma_f32 v10, -v10, v16, v11
	v_div_fmas_f32 v10, v10, v15, v16
	v_mov_b32_e32 v11, s13
	v_mov_b32_e32 v15, s12
	v_fma_f32 v11, s12, v9, v11
	v_fma_f32 v9, v9, s13, -v15
	v_div_fixup_f32 v10, v10, v12, 1.0
	v_mul_f32_e32 v26, v11, v10
	v_mul_f32_e32 v16, v9, v10
	s_branch .LBB85_3
.LBB85_84:
	s_or_b64 exec, exec, s[20:21]
	s_mov_b64 s[0:1], 0
.LBB85_85:
	s_andn2_b64 vcc, exec, s[0:1]
	s_cbranch_vccnz .LBB85_185
; %bb.86:
	v_cmp_lt_i64_e64 s[0:1], s[18:19], 1
	s_and_b64 vcc, exec, s[0:1]
	s_cbranch_vccnz .LBB85_185
; %bb.87:
	v_mov_b32_e32 v1, 0x10000
	s_load_dword s2, s[4:5], 0xc64
	v_mov_b32_e32 v2, 0
	v_cmp_lt_i64_e32 vcc, s[18:19], v[1:2]
	s_mov_b64 s[20:21], 0
	s_and_b64 s[0:1], vcc, exec
	s_cselect_b32 s7, s19, 0
	s_cselect_b32 s6, s18, 0x10000
	s_waitcnt lgkmcnt(0)
	s_and_b32 s24, s2, 0xffff
	s_and_b32 s2, s9, 0x7fffffff
	s_cmp_lg_u32 s2, 0
	v_cmp_neq_f32_e64 s[0:1], s8, 1.0
	s_cselect_b64 s[2:3], -1, 0
	v_cmp_lt_u64_e32 vcc, s[18:19], v[1:2]
	s_or_b64 s[16:17], s[0:1], s[2:3]
	s_and_b64 s[0:1], vcc, exec
	s_cselect_b32 s19, s19, 0
	s_cselect_b32 s18, s18, 0x10000
	s_lshl_b32 s25, s24, 1
	s_mul_i32 s26, s24, 3
	s_lshl_b32 s27, s24, 2
	s_branch .LBB85_89
.LBB85_88:                              ;   in Loop: Header=BB85_89 Depth=1
	s_or_b64 exec, exec, s[0:1]
	s_add_u32 s20, s20, s27
	v_mov_b32_e32 v1, s6
	s_addc_u32 s21, s21, 0
	v_mov_b32_e32 v2, s7
	v_cmp_ge_i64_e32 vcc, s[20:21], v[1:2]
	s_cbranch_vccnz .LBB85_185
.LBB85_89:                              ; =>This Inner Loop Header: Depth=1
	v_mov_b32_e32 v2, s21
	v_add_co_u32_e32 v1, vcc, s20, v0
	v_addc_co_u32_e32 v2, vcc, 0, v2, vcc
	v_cmp_gt_i64_e32 vcc, s[6:7], v[1:2]
	v_mov_b32_e32 v24, 0
	v_mov_b32_e32 v23, 0
	;; [unrolled: 1-line block ×4, first 2 shown]
	s_and_saveexec_b64 s[0:1], vcc
	s_cbranch_execz .LBB85_91
; %bb.90:                               ;   in Loop: Header=BB85_89 Depth=1
	v_lshlrev_b64 v[3:4], 3, v[1:2]
	v_mov_b32_e32 v6, s15
	v_add_co_u32_e32 v5, vcc, s14, v3
	v_addc_co_u32_e32 v6, vcc, v6, v4, vcc
	v_mov_b32_e32 v8, s11
	v_add_co_u32_e32 v7, vcc, s10, v3
	v_addc_co_u32_e32 v8, vcc, v8, v4, vcc
	global_load_dwordx2 v[3:4], v[7:8], off
	global_load_dwordx2 v[23:24], v[5:6], off
.LBB85_91:                              ;   in Loop: Header=BB85_89 Depth=1
	s_or_b64 exec, exec, s[0:1]
	v_add_co_u32_e32 v5, vcc, s24, v1
	v_addc_co_u32_e32 v6, vcc, 0, v2, vcc
	v_cmp_gt_i64_e32 vcc, s[6:7], v[5:6]
	v_mov_b32_e32 v20, 0
	v_mov_b32_e32 v22, 0
	;; [unrolled: 1-line block ×5, first 2 shown]
	s_and_saveexec_b64 s[0:1], vcc
	s_cbranch_execz .LBB85_93
; %bb.92:                               ;   in Loop: Header=BB85_89 Depth=1
	v_lshlrev_b64 v[7:8], 3, v[5:6]
	v_mov_b32_e32 v10, s15
	v_add_co_u32_e32 v9, vcc, s14, v7
	v_addc_co_u32_e32 v10, vcc, v10, v8, vcc
	v_mov_b32_e32 v12, s11
	v_add_co_u32_e32 v11, vcc, s10, v7
	v_addc_co_u32_e32 v12, vcc, v12, v8, vcc
	global_load_dwordx2 v[7:8], v[11:12], off
	global_load_dwordx2 v[21:22], v[9:10], off
.LBB85_93:                              ;   in Loop: Header=BB85_89 Depth=1
	s_or_b64 exec, exec, s[0:1]
	v_add_co_u32_e32 v9, vcc, s25, v1
	v_addc_co_u32_e32 v10, vcc, 0, v2, vcc
	v_cmp_gt_i64_e32 vcc, s[6:7], v[9:10]
	v_mov_b32_e32 v19, 0
	v_mov_b32_e32 v12, 0
	;; [unrolled: 1-line block ×3, first 2 shown]
	s_and_saveexec_b64 s[0:1], vcc
	s_cbranch_execz .LBB85_95
; %bb.94:                               ;   in Loop: Header=BB85_89 Depth=1
	v_lshlrev_b64 v[11:12], 3, v[9:10]
	v_mov_b32_e32 v14, s15
	v_add_co_u32_e32 v13, vcc, s14, v11
	v_addc_co_u32_e32 v14, vcc, v14, v12, vcc
	v_mov_b32_e32 v16, s11
	v_add_co_u32_e32 v15, vcc, s10, v11
	v_addc_co_u32_e32 v16, vcc, v16, v12, vcc
	global_load_dwordx2 v[11:12], v[15:16], off
	global_load_dwordx2 v[19:20], v[13:14], off
.LBB85_95:                              ;   in Loop: Header=BB85_89 Depth=1
	s_or_b64 exec, exec, s[0:1]
	v_add_co_u32_e32 v13, vcc, s26, v1
	v_addc_co_u32_e32 v14, vcc, 0, v2, vcc
	v_cmp_gt_i64_e32 vcc, s[6:7], v[13:14]
	v_mov_b32_e32 v18, 0
	v_mov_b32_e32 v17, 0
	;; [unrolled: 1-line block ×4, first 2 shown]
	s_and_saveexec_b64 s[0:1], vcc
	s_cbranch_execz .LBB85_97
; %bb.96:                               ;   in Loop: Header=BB85_89 Depth=1
	v_lshlrev_b64 v[15:16], 3, v[13:14]
	v_mov_b32_e32 v17, s15
	v_add_co_u32_e32 v25, vcc, s14, v15
	v_addc_co_u32_e32 v26, vcc, v17, v16, vcc
	v_mov_b32_e32 v17, s11
	v_add_co_u32_e32 v27, vcc, s10, v15
	v_addc_co_u32_e32 v28, vcc, v17, v16, vcc
	global_load_dwordx2 v[15:16], v[27:28], off
	global_load_dwordx2 v[17:18], v[25:26], off
.LBB85_97:                              ;   in Loop: Header=BB85_89 Depth=1
	s_or_b64 exec, exec, s[0:1]
	s_waitcnt vmcnt(0)
	v_cmp_gt_f32_e32 vcc, 0, v23
	v_cndmask_b32_e64 v28, v23, -v23, vcc
	v_cmp_gt_f32_e32 vcc, 0, v24
	v_cndmask_b32_e64 v27, v24, -v24, vcc
	v_cmp_ge_f32_e64 s[0:1], v28, v27
	s_mov_b64 s[2:3], -1
	s_and_b64 vcc, exec, s[16:17]
                                        ; implicit-def: $vgpr26
                                        ; implicit-def: $vgpr25
	s_cbranch_vccz .LBB85_107
; %bb.98:                               ;   in Loop: Header=BB85_89 Depth=1
                                        ; implicit-def: $vgpr26
                                        ; implicit-def: $vgpr29
	s_and_saveexec_b64 s[2:3], s[0:1]
	s_xor_b64 s[4:5], exec, s[2:3]
	s_cbranch_execz .LBB85_104
; %bb.99:                               ;   in Loop: Header=BB85_89 Depth=1
	v_cmp_neq_f32_e32 vcc, 0, v23
	v_cmp_neq_f32_e64 s[2:3], 0, v24
	s_or_b64 s[2:3], s[2:3], vcc
                                        ; implicit-def: $vgpr26
                                        ; implicit-def: $vgpr29
	s_and_saveexec_b64 s[22:23], s[2:3]
	s_xor_b64 s[2:3], exec, s[22:23]
	s_cbranch_execz .LBB85_101
; %bb.100:                              ;   in Loop: Header=BB85_89 Depth=1
	v_div_scale_f32 v25, s[22:23], v23, v23, v24
	v_div_scale_f32 v26, vcc, v24, v23, v24
	v_rcp_f32_e32 v29, v25
	v_fma_f32 v30, -v25, v29, 1.0
	v_fmac_f32_e32 v29, v30, v29
	v_mul_f32_e32 v30, v26, v29
	v_fma_f32 v31, -v25, v30, v26
	v_fmac_f32_e32 v30, v31, v29
	v_fma_f32 v25, -v25, v30, v26
	v_div_fmas_f32 v25, v25, v29, v30
	v_div_fixup_f32 v25, v25, v23, v24
	v_fma_f32 v26, v24, v25, v23
	v_div_scale_f32 v29, s[22:23], v26, v26, 1.0
	v_div_scale_f32 v30, vcc, 1.0, v26, 1.0
	v_rcp_f32_e32 v31, v29
	v_fma_f32 v32, -v29, v31, 1.0
	v_fmac_f32_e32 v31, v32, v31
	v_mul_f32_e32 v32, v30, v31
	v_fma_f32 v33, -v29, v32, v30
	v_fmac_f32_e32 v32, v33, v31
	v_fma_f32 v29, -v29, v32, v30
	v_div_fmas_f32 v29, v29, v31, v32
	v_mov_b32_e32 v30, s12
	v_mov_b32_e32 v31, s13
	v_fma_f32 v30, s13, v25, v30
	v_fma_f32 v25, -v25, s12, v31
	v_div_fixup_f32 v26, v29, v26, 1.0
	v_mul_f32_e32 v29, v30, v26
	v_mul_f32_e32 v26, v25, v26
.LBB85_101:                             ;   in Loop: Header=BB85_89 Depth=1
	s_andn2_saveexec_b64 s[2:3], s[2:3]
	s_cbranch_execz .LBB85_103
; %bb.102:                              ;   in Loop: Header=BB85_89 Depth=1
	v_div_scale_f32 v25, s[22:23], v28, v28, s12
	v_rcp_f32_e32 v26, v25
	v_fma_f32 v29, -v25, v26, 1.0
	v_fmac_f32_e32 v26, v29, v26
	v_div_scale_f32 v29, vcc, s12, v28, s12
	v_mul_f32_e32 v30, v29, v26
	v_fma_f32 v31, -v25, v30, v29
	v_fmac_f32_e32 v30, v31, v26
	v_fma_f32 v25, -v25, v30, v29
	v_div_fmas_f32 v25, v25, v26, v30
	v_div_fixup_f32 v29, v25, v28, s12
	v_div_scale_f32 v25, s[22:23], v27, v27, s13
	v_rcp_f32_e32 v26, v25
	v_fma_f32 v30, -v25, v26, 1.0
	v_fmac_f32_e32 v26, v30, v26
	v_div_scale_f32 v30, vcc, s13, v27, s13
	v_mul_f32_e32 v31, v30, v26
	v_fma_f32 v32, -v25, v31, v30
	v_fmac_f32_e32 v31, v32, v26
	v_fma_f32 v25, -v25, v31, v30
	v_div_fmas_f32 v25, v25, v26, v31
	v_div_fixup_f32 v26, v25, v27, s13
.LBB85_103:                             ;   in Loop: Header=BB85_89 Depth=1
	s_or_b64 exec, exec, s[2:3]
.LBB85_104:                             ;   in Loop: Header=BB85_89 Depth=1
	s_andn2_saveexec_b64 s[2:3], s[4:5]
	s_cbranch_execz .LBB85_106
; %bb.105:                              ;   in Loop: Header=BB85_89 Depth=1
	v_div_scale_f32 v25, s[4:5], v24, v24, v23
	v_div_scale_f32 v26, vcc, v23, v24, v23
	v_rcp_f32_e32 v29, v25
	v_fma_f32 v30, -v25, v29, 1.0
	v_fmac_f32_e32 v29, v30, v29
	v_mul_f32_e32 v30, v26, v29
	v_fma_f32 v31, -v25, v30, v26
	v_fmac_f32_e32 v30, v31, v29
	v_fma_f32 v25, -v25, v30, v26
	v_div_fmas_f32 v25, v25, v29, v30
	v_div_fixup_f32 v25, v25, v24, v23
	v_fma_f32 v26, v23, v25, v24
	v_div_scale_f32 v29, s[4:5], v26, v26, 1.0
	v_div_scale_f32 v30, vcc, 1.0, v26, 1.0
	v_rcp_f32_e32 v31, v29
	v_fma_f32 v32, -v29, v31, 1.0
	v_fmac_f32_e32 v31, v32, v31
	v_mul_f32_e32 v32, v30, v31
	v_fma_f32 v33, -v29, v32, v30
	v_fmac_f32_e32 v32, v33, v31
	v_fma_f32 v29, -v29, v32, v30
	v_div_fmas_f32 v29, v29, v31, v32
	v_mov_b32_e32 v30, s13
	v_mov_b32_e32 v31, s12
	v_fma_f32 v30, s12, v25, v30
	v_fma_f32 v25, v25, s13, -v31
	v_div_fixup_f32 v26, v29, v26, 1.0
	v_mul_f32_e32 v29, v30, v26
	v_mul_f32_e32 v26, v25, v26
.LBB85_106:                             ;   in Loop: Header=BB85_89 Depth=1
	s_or_b64 exec, exec, s[2:3]
	v_mul_f32_e32 v25, s9, v26
	v_mul_f32_e32 v26, s8, v26
	v_fma_f32 v25, v29, s8, -v25
	v_fmac_f32_e32 v26, s9, v29
	s_mov_b64 s[2:3], 0
.LBB85_107:                             ;   in Loop: Header=BB85_89 Depth=1
	s_and_b64 vcc, exec, s[2:3]
	s_cbranch_vccz .LBB85_117
; %bb.108:                              ;   in Loop: Header=BB85_89 Depth=1
                                        ; implicit-def: $vgpr26
                                        ; implicit-def: $vgpr25
	s_and_saveexec_b64 s[2:3], s[0:1]
	s_xor_b64 s[2:3], exec, s[2:3]
	s_cbranch_execz .LBB85_114
; %bb.109:                              ;   in Loop: Header=BB85_89 Depth=1
	v_cmp_neq_f32_e32 vcc, 0, v23
	v_cmp_neq_f32_e64 s[0:1], 0, v24
	s_or_b64 s[0:1], s[0:1], vcc
                                        ; implicit-def: $vgpr26
                                        ; implicit-def: $vgpr25
	s_and_saveexec_b64 s[4:5], s[0:1]
	s_xor_b64 s[0:1], exec, s[4:5]
	s_cbranch_execz .LBB85_111
; %bb.110:                              ;   in Loop: Header=BB85_89 Depth=1
	v_div_scale_f32 v25, s[4:5], v23, v23, v24
	v_div_scale_f32 v26, vcc, v24, v23, v24
	v_rcp_f32_e32 v27, v25
	v_fma_f32 v28, -v25, v27, 1.0
	v_fmac_f32_e32 v27, v28, v27
	v_mul_f32_e32 v28, v26, v27
	v_fma_f32 v29, -v25, v28, v26
	v_fmac_f32_e32 v28, v29, v27
	v_fma_f32 v25, -v25, v28, v26
	v_div_fmas_f32 v25, v25, v27, v28
	v_div_fixup_f32 v25, v25, v23, v24
	v_fmac_f32_e32 v23, v24, v25
	v_div_scale_f32 v24, s[4:5], v23, v23, 1.0
	v_div_scale_f32 v26, vcc, 1.0, v23, 1.0
	v_rcp_f32_e32 v27, v24
	v_fma_f32 v28, -v24, v27, 1.0
	v_fmac_f32_e32 v27, v28, v27
	v_mul_f32_e32 v28, v26, v27
	v_fma_f32 v29, -v24, v28, v26
	v_fmac_f32_e32 v28, v29, v27
	v_fma_f32 v24, -v24, v28, v26
	v_div_fmas_f32 v24, v24, v27, v28
	v_mov_b32_e32 v26, s12
	v_mov_b32_e32 v27, s13
	v_fma_f32 v26, s13, v25, v26
	v_fma_f32 v27, -v25, s12, v27
                                        ; implicit-def: $vgpr28
	v_div_fixup_f32 v23, v24, v23, 1.0
	v_mul_f32_e32 v25, v26, v23
	v_mul_f32_e32 v26, v27, v23
                                        ; implicit-def: $vgpr27
.LBB85_111:                             ;   in Loop: Header=BB85_89 Depth=1
	s_andn2_saveexec_b64 s[0:1], s[0:1]
	s_cbranch_execz .LBB85_113
; %bb.112:                              ;   in Loop: Header=BB85_89 Depth=1
	v_div_scale_f32 v23, s[4:5], v28, v28, s12
	v_rcp_f32_e32 v24, v23
	v_fma_f32 v25, -v23, v24, 1.0
	v_fmac_f32_e32 v24, v25, v24
	v_div_scale_f32 v25, vcc, s12, v28, s12
	v_mul_f32_e32 v26, v25, v24
	v_fma_f32 v29, -v23, v26, v25
	v_fmac_f32_e32 v26, v29, v24
	v_fma_f32 v23, -v23, v26, v25
	v_div_fmas_f32 v23, v23, v24, v26
	v_div_fixup_f32 v25, v23, v28, s12
	v_div_scale_f32 v23, s[4:5], v27, v27, s13
	v_rcp_f32_e32 v24, v23
	v_fma_f32 v26, -v23, v24, 1.0
	v_fmac_f32_e32 v24, v26, v24
	v_div_scale_f32 v26, vcc, s13, v27, s13
	v_mul_f32_e32 v28, v26, v24
	v_fma_f32 v29, -v23, v28, v26
	v_fmac_f32_e32 v28, v29, v24
	v_fma_f32 v23, -v23, v28, v26
	v_div_fmas_f32 v23, v23, v24, v28
	v_div_fixup_f32 v26, v23, v27, s13
.LBB85_113:                             ;   in Loop: Header=BB85_89 Depth=1
	s_or_b64 exec, exec, s[0:1]
                                        ; implicit-def: $vgpr24
.LBB85_114:                             ;   in Loop: Header=BB85_89 Depth=1
	s_andn2_saveexec_b64 s[0:1], s[2:3]
	s_cbranch_execz .LBB85_116
; %bb.115:                              ;   in Loop: Header=BB85_89 Depth=1
	v_div_scale_f32 v25, s[2:3], v24, v24, v23
	v_div_scale_f32 v26, vcc, v23, v24, v23
	v_rcp_f32_e32 v27, v25
	v_fma_f32 v28, -v25, v27, 1.0
	v_fmac_f32_e32 v27, v28, v27
	v_mul_f32_e32 v28, v26, v27
	v_fma_f32 v29, -v25, v28, v26
	v_fmac_f32_e32 v28, v29, v27
	v_fma_f32 v25, -v25, v28, v26
	v_div_fmas_f32 v25, v25, v27, v28
	v_div_fixup_f32 v25, v25, v24, v23
	v_fmac_f32_e32 v24, v23, v25
	v_div_scale_f32 v23, s[2:3], v24, v24, 1.0
	v_div_scale_f32 v26, vcc, 1.0, v24, 1.0
	v_rcp_f32_e32 v27, v23
	v_fma_f32 v28, -v23, v27, 1.0
	v_fmac_f32_e32 v27, v28, v27
	v_mul_f32_e32 v28, v26, v27
	v_fma_f32 v29, -v23, v28, v26
	v_fmac_f32_e32 v28, v29, v27
	v_fma_f32 v23, -v23, v28, v26
	v_div_fmas_f32 v23, v23, v27, v28
	v_mov_b32_e32 v26, s13
	v_mov_b32_e32 v27, s12
	v_fma_f32 v26, s12, v25, v26
	v_fma_f32 v27, v25, s13, -v27
	v_div_fixup_f32 v23, v23, v24, 1.0
	v_mul_f32_e32 v25, v26, v23
	v_mul_f32_e32 v26, v27, v23
.LBB85_116:                             ;   in Loop: Header=BB85_89 Depth=1
	s_or_b64 exec, exec, s[0:1]
.LBB85_117:                             ;   in Loop: Header=BB85_89 Depth=1
	v_cmp_gt_f32_e32 vcc, 0, v21
	v_cndmask_b32_e64 v27, v21, -v21, vcc
	v_cmp_gt_f32_e32 vcc, 0, v22
	v_cndmask_b32_e64 v28, v22, -v22, vcc
	v_cndmask_b32_e64 v23, 0, 1, s[16:17]
	v_cmp_ge_f32_e64 s[2:3], v27, v28
	v_cmp_ne_u32_e64 s[0:1], 1, v23
	s_andn2_b64 vcc, exec, s[16:17]
	s_mov_b64 s[4:5], -1
                                        ; implicit-def: $vgpr23
                                        ; implicit-def: $vgpr24
	s_cbranch_vccnz .LBB85_127
; %bb.118:                              ;   in Loop: Header=BB85_89 Depth=1
                                        ; implicit-def: $vgpr23
                                        ; implicit-def: $vgpr29
	s_and_saveexec_b64 s[4:5], s[2:3]
	s_xor_b64 s[22:23], exec, s[4:5]
	s_cbranch_execz .LBB85_124
; %bb.119:                              ;   in Loop: Header=BB85_89 Depth=1
	v_cmp_neq_f32_e32 vcc, 0, v21
	v_cmp_neq_f32_e64 s[4:5], 0, v22
	s_or_b64 s[4:5], s[4:5], vcc
                                        ; implicit-def: $vgpr23
                                        ; implicit-def: $vgpr29
	s_and_saveexec_b64 s[28:29], s[4:5]
	s_xor_b64 s[4:5], exec, s[28:29]
	s_cbranch_execz .LBB85_121
; %bb.120:                              ;   in Loop: Header=BB85_89 Depth=1
	v_div_scale_f32 v23, s[28:29], v21, v21, v22
	v_div_scale_f32 v24, vcc, v22, v21, v22
	v_rcp_f32_e32 v29, v23
	v_fma_f32 v30, -v23, v29, 1.0
	v_fmac_f32_e32 v29, v30, v29
	v_mul_f32_e32 v30, v24, v29
	v_fma_f32 v31, -v23, v30, v24
	v_fmac_f32_e32 v30, v31, v29
	v_fma_f32 v23, -v23, v30, v24
	v_div_fmas_f32 v23, v23, v29, v30
	v_div_fixup_f32 v23, v23, v21, v22
	v_fma_f32 v24, v22, v23, v21
	v_div_scale_f32 v29, s[28:29], v24, v24, 1.0
	v_div_scale_f32 v30, vcc, 1.0, v24, 1.0
	v_rcp_f32_e32 v31, v29
	v_fma_f32 v32, -v29, v31, 1.0
	v_fmac_f32_e32 v31, v32, v31
	v_mul_f32_e32 v32, v30, v31
	v_fma_f32 v33, -v29, v32, v30
	v_fmac_f32_e32 v32, v33, v31
	v_fma_f32 v29, -v29, v32, v30
	v_div_fmas_f32 v29, v29, v31, v32
	v_mov_b32_e32 v30, s12
	v_mov_b32_e32 v31, s13
	v_fma_f32 v30, s13, v23, v30
	v_fma_f32 v23, -v23, s12, v31
	v_div_fixup_f32 v24, v29, v24, 1.0
	v_mul_f32_e32 v29, v30, v24
	v_mul_f32_e32 v23, v23, v24
.LBB85_121:                             ;   in Loop: Header=BB85_89 Depth=1
	s_andn2_saveexec_b64 s[4:5], s[4:5]
	s_cbranch_execz .LBB85_123
; %bb.122:                              ;   in Loop: Header=BB85_89 Depth=1
	v_div_scale_f32 v23, s[28:29], v27, v27, s12
	v_rcp_f32_e32 v24, v23
	v_fma_f32 v29, -v23, v24, 1.0
	v_fmac_f32_e32 v24, v29, v24
	v_div_scale_f32 v29, vcc, s12, v27, s12
	v_mul_f32_e32 v30, v29, v24
	v_fma_f32 v31, -v23, v30, v29
	v_fmac_f32_e32 v30, v31, v24
	v_fma_f32 v23, -v23, v30, v29
	v_div_fmas_f32 v23, v23, v24, v30
	v_div_fixup_f32 v29, v23, v27, s12
	v_div_scale_f32 v23, s[28:29], v28, v28, s13
	v_rcp_f32_e32 v24, v23
	v_fma_f32 v30, -v23, v24, 1.0
	v_fmac_f32_e32 v24, v30, v24
	v_div_scale_f32 v30, vcc, s13, v28, s13
	v_mul_f32_e32 v31, v30, v24
	v_fma_f32 v32, -v23, v31, v30
	v_fmac_f32_e32 v31, v32, v24
	v_fma_f32 v23, -v23, v31, v30
	v_div_fmas_f32 v23, v23, v24, v31
	v_div_fixup_f32 v23, v23, v28, s13
.LBB85_123:                             ;   in Loop: Header=BB85_89 Depth=1
	s_or_b64 exec, exec, s[4:5]
.LBB85_124:                             ;   in Loop: Header=BB85_89 Depth=1
	s_andn2_saveexec_b64 s[4:5], s[22:23]
	s_cbranch_execz .LBB85_126
; %bb.125:                              ;   in Loop: Header=BB85_89 Depth=1
	v_div_scale_f32 v23, s[22:23], v22, v22, v21
	v_div_scale_f32 v24, vcc, v21, v22, v21
	v_rcp_f32_e32 v29, v23
	v_fma_f32 v30, -v23, v29, 1.0
	v_fmac_f32_e32 v29, v30, v29
	v_mul_f32_e32 v30, v24, v29
	v_fma_f32 v31, -v23, v30, v24
	v_fmac_f32_e32 v30, v31, v29
	v_fma_f32 v23, -v23, v30, v24
	v_div_fmas_f32 v23, v23, v29, v30
	v_div_fixup_f32 v23, v23, v22, v21
	v_fma_f32 v24, v21, v23, v22
	v_div_scale_f32 v29, s[22:23], v24, v24, 1.0
	v_div_scale_f32 v30, vcc, 1.0, v24, 1.0
	v_rcp_f32_e32 v31, v29
	v_fma_f32 v32, -v29, v31, 1.0
	v_fmac_f32_e32 v31, v32, v31
	v_mul_f32_e32 v32, v30, v31
	v_fma_f32 v33, -v29, v32, v30
	v_fmac_f32_e32 v32, v33, v31
	v_fma_f32 v29, -v29, v32, v30
	v_div_fmas_f32 v29, v29, v31, v32
	v_mov_b32_e32 v30, s13
	v_mov_b32_e32 v31, s12
	v_fma_f32 v30, s12, v23, v30
	v_fma_f32 v23, v23, s13, -v31
	v_div_fixup_f32 v24, v29, v24, 1.0
	v_mul_f32_e32 v29, v30, v24
	v_mul_f32_e32 v23, v23, v24
.LBB85_126:                             ;   in Loop: Header=BB85_89 Depth=1
	s_or_b64 exec, exec, s[4:5]
	v_mul_f32_e32 v24, s9, v23
	v_mul_f32_e32 v23, s8, v23
	v_fma_f32 v24, v29, s8, -v24
	v_fmac_f32_e32 v23, s9, v29
	s_mov_b64 s[4:5], 0
.LBB85_127:                             ;   in Loop: Header=BB85_89 Depth=1
	s_and_b64 vcc, exec, s[4:5]
	s_cbranch_vccz .LBB85_137
; %bb.128:                              ;   in Loop: Header=BB85_89 Depth=1
                                        ; implicit-def: $vgpr23
                                        ; implicit-def: $vgpr24
	s_and_saveexec_b64 s[4:5], s[2:3]
	s_xor_b64 s[4:5], exec, s[4:5]
	s_cbranch_execz .LBB85_134
; %bb.129:                              ;   in Loop: Header=BB85_89 Depth=1
	v_cmp_neq_f32_e32 vcc, 0, v21
	v_cmp_neq_f32_e64 s[2:3], 0, v22
	s_or_b64 s[2:3], s[2:3], vcc
                                        ; implicit-def: $vgpr23
                                        ; implicit-def: $vgpr24
	s_and_saveexec_b64 s[22:23], s[2:3]
	s_xor_b64 s[2:3], exec, s[22:23]
	s_cbranch_execz .LBB85_131
; %bb.130:                              ;   in Loop: Header=BB85_89 Depth=1
	v_div_scale_f32 v23, s[22:23], v21, v21, v22
	v_div_scale_f32 v24, vcc, v22, v21, v22
	v_rcp_f32_e32 v27, v23
	v_fma_f32 v28, -v23, v27, 1.0
	v_fmac_f32_e32 v27, v28, v27
	v_mul_f32_e32 v28, v24, v27
	v_fma_f32 v29, -v23, v28, v24
	v_fmac_f32_e32 v28, v29, v27
	v_fma_f32 v23, -v23, v28, v24
	v_div_fmas_f32 v23, v23, v27, v28
	v_div_fixup_f32 v23, v23, v21, v22
	v_fmac_f32_e32 v21, v22, v23
	v_div_scale_f32 v22, s[22:23], v21, v21, 1.0
	v_div_scale_f32 v24, vcc, 1.0, v21, 1.0
	v_rcp_f32_e32 v27, v22
	v_fma_f32 v28, -v22, v27, 1.0
	v_fmac_f32_e32 v27, v28, v27
	v_mul_f32_e32 v28, v24, v27
	v_fma_f32 v29, -v22, v28, v24
	v_fmac_f32_e32 v28, v29, v27
	v_fma_f32 v22, -v22, v28, v24
	v_div_fmas_f32 v22, v22, v27, v28
	v_mov_b32_e32 v24, s12
	v_mov_b32_e32 v27, s13
	v_fma_f32 v24, s13, v23, v24
	v_fma_f32 v23, -v23, s12, v27
                                        ; implicit-def: $vgpr27
                                        ; implicit-def: $vgpr28
	v_div_fixup_f32 v21, v22, v21, 1.0
	v_mul_f32_e32 v24, v24, v21
	v_mul_f32_e32 v23, v23, v21
.LBB85_131:                             ;   in Loop: Header=BB85_89 Depth=1
	s_andn2_saveexec_b64 s[22:23], s[2:3]
	s_cbranch_execz .LBB85_133
; %bb.132:                              ;   in Loop: Header=BB85_89 Depth=1
	v_div_scale_f32 v21, s[2:3], v27, v27, s12
	v_div_scale_f32 v22, s[2:3], v28, v28, s13
	v_div_scale_f32 v23, vcc, s12, v27, s12
	v_div_scale_f32 v24, s[2:3], s13, v28, s13
	v_rcp_f32_e32 v29, v21
	v_rcp_f32_e32 v30, v22
	v_fma_f32 v31, -v21, v29, 1.0
	v_fmac_f32_e32 v29, v31, v29
	v_fma_f32 v32, -v22, v30, 1.0
	v_fmac_f32_e32 v30, v32, v30
	v_mul_f32_e32 v31, v23, v29
	v_mul_f32_e32 v32, v24, v30
	v_fma_f32 v33, -v21, v31, v23
	v_fma_f32 v34, -v22, v32, v24
	v_fmac_f32_e32 v31, v33, v29
	v_fmac_f32_e32 v32, v34, v30
	v_fma_f32 v21, -v21, v31, v23
	v_fma_f32 v22, -v22, v32, v24
	v_div_fmas_f32 v21, v21, v29, v31
	s_mov_b64 vcc, s[2:3]
	v_div_fmas_f32 v22, v22, v30, v32
	v_div_fixup_f32 v24, v21, v27, s12
	v_div_fixup_f32 v23, v22, v28, s13
.LBB85_133:                             ;   in Loop: Header=BB85_89 Depth=1
	s_or_b64 exec, exec, s[22:23]
                                        ; implicit-def: $vgpr22
.LBB85_134:                             ;   in Loop: Header=BB85_89 Depth=1
	s_andn2_saveexec_b64 s[2:3], s[4:5]
	s_cbranch_execz .LBB85_136
; %bb.135:                              ;   in Loop: Header=BB85_89 Depth=1
	v_div_scale_f32 v23, s[4:5], v22, v22, v21
	v_div_scale_f32 v24, vcc, v21, v22, v21
	v_rcp_f32_e32 v27, v23
	v_fma_f32 v28, -v23, v27, 1.0
	v_fmac_f32_e32 v27, v28, v27
	v_mul_f32_e32 v28, v24, v27
	v_fma_f32 v29, -v23, v28, v24
	v_fmac_f32_e32 v28, v29, v27
	v_fma_f32 v23, -v23, v28, v24
	v_div_fmas_f32 v23, v23, v27, v28
	v_div_fixup_f32 v23, v23, v22, v21
	v_fmac_f32_e32 v22, v21, v23
	v_div_scale_f32 v21, s[4:5], v22, v22, 1.0
	v_div_scale_f32 v24, vcc, 1.0, v22, 1.0
	v_rcp_f32_e32 v27, v21
	v_fma_f32 v28, -v21, v27, 1.0
	v_fmac_f32_e32 v27, v28, v27
	v_mul_f32_e32 v28, v24, v27
	v_fma_f32 v29, -v21, v28, v24
	v_fmac_f32_e32 v28, v29, v27
	v_fma_f32 v21, -v21, v28, v24
	v_div_fmas_f32 v21, v21, v27, v28
	v_mov_b32_e32 v24, s13
	v_mov_b32_e32 v27, s12
	v_fma_f32 v24, s12, v23, v24
	v_fma_f32 v23, v23, s13, -v27
	v_div_fixup_f32 v21, v21, v22, 1.0
	v_mul_f32_e32 v24, v24, v21
	v_mul_f32_e32 v23, v23, v21
.LBB85_136:                             ;   in Loop: Header=BB85_89 Depth=1
	s_or_b64 exec, exec, s[2:3]
.LBB85_137:                             ;   in Loop: Header=BB85_89 Depth=1
	v_cmp_gt_f32_e32 vcc, 0, v19
	v_cndmask_b32_e64 v27, v19, -v19, vcc
	v_cmp_gt_f32_e32 vcc, 0, v20
	v_cndmask_b32_e64 v28, v20, -v20, vcc
	v_cmp_ge_f32_e64 s[2:3], v27, v28
	s_and_b64 vcc, exec, s[0:1]
	s_mov_b64 s[4:5], -1
                                        ; implicit-def: $vgpr21
                                        ; implicit-def: $vgpr22
	s_cbranch_vccnz .LBB85_147
; %bb.138:                              ;   in Loop: Header=BB85_89 Depth=1
                                        ; implicit-def: $vgpr21
                                        ; implicit-def: $vgpr29
	s_and_saveexec_b64 s[4:5], s[2:3]
	s_xor_b64 s[22:23], exec, s[4:5]
	s_cbranch_execz .LBB85_144
; %bb.139:                              ;   in Loop: Header=BB85_89 Depth=1
	v_cmp_neq_f32_e32 vcc, 0, v19
	v_cmp_neq_f32_e64 s[4:5], 0, v20
	s_or_b64 s[4:5], s[4:5], vcc
                                        ; implicit-def: $vgpr21
                                        ; implicit-def: $vgpr29
	s_and_saveexec_b64 s[28:29], s[4:5]
	s_xor_b64 s[4:5], exec, s[28:29]
	s_cbranch_execz .LBB85_141
; %bb.140:                              ;   in Loop: Header=BB85_89 Depth=1
	v_div_scale_f32 v21, s[28:29], v19, v19, v20
	v_div_scale_f32 v22, vcc, v20, v19, v20
	v_rcp_f32_e32 v29, v21
	v_fma_f32 v30, -v21, v29, 1.0
	v_fmac_f32_e32 v29, v30, v29
	v_mul_f32_e32 v30, v22, v29
	v_fma_f32 v31, -v21, v30, v22
	v_fmac_f32_e32 v30, v31, v29
	v_fma_f32 v21, -v21, v30, v22
	v_div_fmas_f32 v21, v21, v29, v30
	v_div_fixup_f32 v21, v21, v19, v20
	v_fma_f32 v22, v20, v21, v19
	v_div_scale_f32 v29, s[28:29], v22, v22, 1.0
	v_div_scale_f32 v30, vcc, 1.0, v22, 1.0
	v_rcp_f32_e32 v31, v29
	v_fma_f32 v32, -v29, v31, 1.0
	v_fmac_f32_e32 v31, v32, v31
	v_mul_f32_e32 v32, v30, v31
	v_fma_f32 v33, -v29, v32, v30
	v_fmac_f32_e32 v32, v33, v31
	v_fma_f32 v29, -v29, v32, v30
	v_div_fmas_f32 v29, v29, v31, v32
	v_mov_b32_e32 v30, s12
	v_mov_b32_e32 v31, s13
	v_fma_f32 v30, s13, v21, v30
	v_fma_f32 v21, -v21, s12, v31
	v_div_fixup_f32 v22, v29, v22, 1.0
	v_mul_f32_e32 v29, v30, v22
	v_mul_f32_e32 v21, v21, v22
.LBB85_141:                             ;   in Loop: Header=BB85_89 Depth=1
	s_andn2_saveexec_b64 s[4:5], s[4:5]
	s_cbranch_execz .LBB85_143
; %bb.142:                              ;   in Loop: Header=BB85_89 Depth=1
	v_div_scale_f32 v21, s[28:29], v27, v27, s12
	v_rcp_f32_e32 v22, v21
	v_fma_f32 v29, -v21, v22, 1.0
	v_fmac_f32_e32 v22, v29, v22
	v_div_scale_f32 v29, vcc, s12, v27, s12
	v_mul_f32_e32 v30, v29, v22
	v_fma_f32 v31, -v21, v30, v29
	v_fmac_f32_e32 v30, v31, v22
	v_fma_f32 v21, -v21, v30, v29
	v_div_fmas_f32 v21, v21, v22, v30
	v_div_fixup_f32 v29, v21, v27, s12
	v_div_scale_f32 v21, s[28:29], v28, v28, s13
	v_rcp_f32_e32 v22, v21
	v_fma_f32 v30, -v21, v22, 1.0
	v_fmac_f32_e32 v22, v30, v22
	v_div_scale_f32 v30, vcc, s13, v28, s13
	v_mul_f32_e32 v31, v30, v22
	v_fma_f32 v32, -v21, v31, v30
	v_fmac_f32_e32 v31, v32, v22
	v_fma_f32 v21, -v21, v31, v30
	v_div_fmas_f32 v21, v21, v22, v31
	v_div_fixup_f32 v21, v21, v28, s13
.LBB85_143:                             ;   in Loop: Header=BB85_89 Depth=1
	s_or_b64 exec, exec, s[4:5]
.LBB85_144:                             ;   in Loop: Header=BB85_89 Depth=1
	s_andn2_saveexec_b64 s[4:5], s[22:23]
	s_cbranch_execz .LBB85_146
; %bb.145:                              ;   in Loop: Header=BB85_89 Depth=1
	v_div_scale_f32 v21, s[22:23], v20, v20, v19
	v_div_scale_f32 v22, vcc, v19, v20, v19
	v_rcp_f32_e32 v29, v21
	v_fma_f32 v30, -v21, v29, 1.0
	v_fmac_f32_e32 v29, v30, v29
	v_mul_f32_e32 v30, v22, v29
	v_fma_f32 v31, -v21, v30, v22
	v_fmac_f32_e32 v30, v31, v29
	v_fma_f32 v21, -v21, v30, v22
	v_div_fmas_f32 v21, v21, v29, v30
	v_div_fixup_f32 v21, v21, v20, v19
	v_fma_f32 v22, v19, v21, v20
	v_div_scale_f32 v29, s[22:23], v22, v22, 1.0
	v_div_scale_f32 v30, vcc, 1.0, v22, 1.0
	v_rcp_f32_e32 v31, v29
	v_fma_f32 v32, -v29, v31, 1.0
	v_fmac_f32_e32 v31, v32, v31
	v_mul_f32_e32 v32, v30, v31
	v_fma_f32 v33, -v29, v32, v30
	v_fmac_f32_e32 v32, v33, v31
	v_fma_f32 v29, -v29, v32, v30
	v_div_fmas_f32 v29, v29, v31, v32
	v_mov_b32_e32 v30, s13
	v_mov_b32_e32 v31, s12
	v_fma_f32 v30, s12, v21, v30
	v_fma_f32 v21, v21, s13, -v31
	v_div_fixup_f32 v22, v29, v22, 1.0
	v_mul_f32_e32 v29, v30, v22
	v_mul_f32_e32 v21, v21, v22
.LBB85_146:                             ;   in Loop: Header=BB85_89 Depth=1
	s_or_b64 exec, exec, s[4:5]
	v_mul_f32_e32 v22, s9, v21
	v_mul_f32_e32 v21, s8, v21
	v_fma_f32 v22, v29, s8, -v22
	v_fmac_f32_e32 v21, s9, v29
	s_mov_b64 s[4:5], 0
.LBB85_147:                             ;   in Loop: Header=BB85_89 Depth=1
	s_and_b64 vcc, exec, s[4:5]
	s_cbranch_vccz .LBB85_157
; %bb.148:                              ;   in Loop: Header=BB85_89 Depth=1
                                        ; implicit-def: $vgpr21
                                        ; implicit-def: $vgpr22
	s_and_saveexec_b64 s[4:5], s[2:3]
	s_xor_b64 s[4:5], exec, s[4:5]
	s_cbranch_execz .LBB85_154
; %bb.149:                              ;   in Loop: Header=BB85_89 Depth=1
	v_cmp_neq_f32_e32 vcc, 0, v19
	v_cmp_neq_f32_e64 s[2:3], 0, v20
	s_or_b64 s[2:3], s[2:3], vcc
                                        ; implicit-def: $vgpr21
                                        ; implicit-def: $vgpr22
	s_and_saveexec_b64 s[22:23], s[2:3]
	s_xor_b64 s[2:3], exec, s[22:23]
	s_cbranch_execz .LBB85_151
; %bb.150:                              ;   in Loop: Header=BB85_89 Depth=1
	v_div_scale_f32 v21, s[22:23], v19, v19, v20
	v_div_scale_f32 v22, vcc, v20, v19, v20
	v_rcp_f32_e32 v27, v21
	v_fma_f32 v28, -v21, v27, 1.0
	v_fmac_f32_e32 v27, v28, v27
	v_mul_f32_e32 v28, v22, v27
	v_fma_f32 v29, -v21, v28, v22
	v_fmac_f32_e32 v28, v29, v27
	v_fma_f32 v21, -v21, v28, v22
	v_div_fmas_f32 v21, v21, v27, v28
	v_div_fixup_f32 v21, v21, v19, v20
	v_fmac_f32_e32 v19, v20, v21
	v_div_scale_f32 v20, s[22:23], v19, v19, 1.0
	v_div_scale_f32 v22, vcc, 1.0, v19, 1.0
	v_rcp_f32_e32 v27, v20
	v_fma_f32 v28, -v20, v27, 1.0
	v_fmac_f32_e32 v27, v28, v27
	v_mul_f32_e32 v28, v22, v27
	v_fma_f32 v29, -v20, v28, v22
	v_fmac_f32_e32 v28, v29, v27
	v_fma_f32 v20, -v20, v28, v22
	v_div_fmas_f32 v20, v20, v27, v28
	v_mov_b32_e32 v22, s12
	v_mov_b32_e32 v27, s13
	v_fma_f32 v22, s13, v21, v22
	v_fma_f32 v21, -v21, s12, v27
                                        ; implicit-def: $vgpr27
                                        ; implicit-def: $vgpr28
	v_div_fixup_f32 v19, v20, v19, 1.0
	v_mul_f32_e32 v22, v22, v19
	v_mul_f32_e32 v21, v21, v19
.LBB85_151:                             ;   in Loop: Header=BB85_89 Depth=1
	s_andn2_saveexec_b64 s[22:23], s[2:3]
	s_cbranch_execz .LBB85_153
; %bb.152:                              ;   in Loop: Header=BB85_89 Depth=1
	v_div_scale_f32 v19, s[2:3], v27, v27, s12
	v_div_scale_f32 v20, s[2:3], v28, v28, s13
	v_div_scale_f32 v21, vcc, s12, v27, s12
	v_div_scale_f32 v22, s[2:3], s13, v28, s13
	v_rcp_f32_e32 v29, v19
	v_rcp_f32_e32 v30, v20
	v_fma_f32 v31, -v19, v29, 1.0
	v_fmac_f32_e32 v29, v31, v29
	v_fma_f32 v32, -v20, v30, 1.0
	v_fmac_f32_e32 v30, v32, v30
	v_mul_f32_e32 v31, v21, v29
	v_mul_f32_e32 v32, v22, v30
	v_fma_f32 v33, -v19, v31, v21
	v_fma_f32 v34, -v20, v32, v22
	v_fmac_f32_e32 v31, v33, v29
	v_fmac_f32_e32 v32, v34, v30
	v_fma_f32 v19, -v19, v31, v21
	v_fma_f32 v20, -v20, v32, v22
	v_div_fmas_f32 v19, v19, v29, v31
	s_mov_b64 vcc, s[2:3]
	v_div_fmas_f32 v20, v20, v30, v32
	v_div_fixup_f32 v22, v19, v27, s12
	v_div_fixup_f32 v21, v20, v28, s13
.LBB85_153:                             ;   in Loop: Header=BB85_89 Depth=1
	s_or_b64 exec, exec, s[22:23]
                                        ; implicit-def: $vgpr20
.LBB85_154:                             ;   in Loop: Header=BB85_89 Depth=1
	s_andn2_saveexec_b64 s[2:3], s[4:5]
	s_cbranch_execz .LBB85_156
; %bb.155:                              ;   in Loop: Header=BB85_89 Depth=1
	v_div_scale_f32 v21, s[4:5], v20, v20, v19
	v_div_scale_f32 v22, vcc, v19, v20, v19
	v_rcp_f32_e32 v27, v21
	v_fma_f32 v28, -v21, v27, 1.0
	v_fmac_f32_e32 v27, v28, v27
	v_mul_f32_e32 v28, v22, v27
	v_fma_f32 v29, -v21, v28, v22
	v_fmac_f32_e32 v28, v29, v27
	v_fma_f32 v21, -v21, v28, v22
	v_div_fmas_f32 v21, v21, v27, v28
	v_div_fixup_f32 v21, v21, v20, v19
	v_fmac_f32_e32 v20, v19, v21
	v_div_scale_f32 v19, s[4:5], v20, v20, 1.0
	v_div_scale_f32 v22, vcc, 1.0, v20, 1.0
	v_rcp_f32_e32 v27, v19
	v_fma_f32 v28, -v19, v27, 1.0
	v_fmac_f32_e32 v27, v28, v27
	v_mul_f32_e32 v28, v22, v27
	v_fma_f32 v29, -v19, v28, v22
	v_fmac_f32_e32 v28, v29, v27
	v_fma_f32 v19, -v19, v28, v22
	v_div_fmas_f32 v19, v19, v27, v28
	v_mov_b32_e32 v22, s13
	v_mov_b32_e32 v27, s12
	v_fma_f32 v22, s12, v21, v22
	v_fma_f32 v21, v21, s13, -v27
	v_div_fixup_f32 v19, v19, v20, 1.0
	v_mul_f32_e32 v22, v22, v19
	v_mul_f32_e32 v21, v21, v19
.LBB85_156:                             ;   in Loop: Header=BB85_89 Depth=1
	s_or_b64 exec, exec, s[2:3]
.LBB85_157:                             ;   in Loop: Header=BB85_89 Depth=1
	v_cmp_gt_f32_e32 vcc, 0, v17
	v_cndmask_b32_e64 v19, v17, -v17, vcc
	v_cmp_gt_f32_e32 vcc, 0, v18
	v_cndmask_b32_e64 v20, v18, -v18, vcc
	v_cmp_ge_f32_e64 s[2:3], v19, v20
	s_and_b64 vcc, exec, s[0:1]
	s_mov_b64 s[0:1], -1
                                        ; implicit-def: $vgpr27
                                        ; implicit-def: $vgpr28
	s_cbranch_vccz .LBB85_163
; %bb.158:                              ;   in Loop: Header=BB85_89 Depth=1
	s_and_b64 vcc, exec, s[0:1]
	s_cbranch_vccnz .LBB85_172
.LBB85_159:                             ;   in Loop: Header=BB85_89 Depth=1
	v_cmp_gt_u64_e32 vcc, s[18:19], v[1:2]
	s_and_saveexec_b64 s[0:1], vcc
	s_xor_b64 s[0:1], exec, s[0:1]
	s_cbranch_execnz .LBB85_181
.LBB85_160:                             ;   in Loop: Header=BB85_89 Depth=1
	s_or_b64 exec, exec, s[0:1]
	v_cmp_gt_u64_e32 vcc, s[18:19], v[5:6]
	s_and_saveexec_b64 s[0:1], vcc
	s_cbranch_execnz .LBB85_182
.LBB85_161:                             ;   in Loop: Header=BB85_89 Depth=1
	s_or_b64 exec, exec, s[0:1]
	v_cmp_gt_u64_e32 vcc, s[18:19], v[9:10]
	s_and_saveexec_b64 s[0:1], vcc
	s_cbranch_execnz .LBB85_183
.LBB85_162:                             ;   in Loop: Header=BB85_89 Depth=1
	s_or_b64 exec, exec, s[0:1]
	v_cmp_gt_u64_e32 vcc, s[18:19], v[13:14]
	s_and_saveexec_b64 s[0:1], vcc
	s_cbranch_execz .LBB85_88
	s_branch .LBB85_184
.LBB85_163:                             ;   in Loop: Header=BB85_89 Depth=1
                                        ; implicit-def: $vgpr27
                                        ; implicit-def: $vgpr29
	s_and_saveexec_b64 s[0:1], s[2:3]
	s_xor_b64 s[4:5], exec, s[0:1]
	s_cbranch_execz .LBB85_169
; %bb.164:                              ;   in Loop: Header=BB85_89 Depth=1
	v_cmp_neq_f32_e32 vcc, 0, v17
	v_cmp_neq_f32_e64 s[0:1], 0, v18
	s_or_b64 s[0:1], s[0:1], vcc
                                        ; implicit-def: $vgpr27
                                        ; implicit-def: $vgpr29
	s_and_saveexec_b64 s[22:23], s[0:1]
	s_xor_b64 s[0:1], exec, s[22:23]
	s_cbranch_execz .LBB85_166
; %bb.165:                              ;   in Loop: Header=BB85_89 Depth=1
	v_div_scale_f32 v27, s[22:23], v17, v17, v18
	v_div_scale_f32 v28, vcc, v18, v17, v18
	v_rcp_f32_e32 v29, v27
	v_fma_f32 v30, -v27, v29, 1.0
	v_fmac_f32_e32 v29, v30, v29
	v_mul_f32_e32 v30, v28, v29
	v_fma_f32 v31, -v27, v30, v28
	v_fmac_f32_e32 v30, v31, v29
	v_fma_f32 v27, -v27, v30, v28
	v_div_fmas_f32 v27, v27, v29, v30
	v_div_fixup_f32 v27, v27, v17, v18
	v_fma_f32 v28, v18, v27, v17
	v_div_scale_f32 v29, s[22:23], v28, v28, 1.0
	v_div_scale_f32 v30, vcc, 1.0, v28, 1.0
	v_rcp_f32_e32 v31, v29
	v_fma_f32 v32, -v29, v31, 1.0
	v_fmac_f32_e32 v31, v32, v31
	v_mul_f32_e32 v32, v30, v31
	v_fma_f32 v33, -v29, v32, v30
	v_fmac_f32_e32 v32, v33, v31
	v_fma_f32 v29, -v29, v32, v30
	v_div_fmas_f32 v29, v29, v31, v32
	v_mov_b32_e32 v30, s12
	v_mov_b32_e32 v31, s13
	v_fma_f32 v30, s13, v27, v30
	v_fma_f32 v27, -v27, s12, v31
	v_div_fixup_f32 v28, v29, v28, 1.0
	v_mul_f32_e32 v29, v30, v28
	v_mul_f32_e32 v27, v27, v28
.LBB85_166:                             ;   in Loop: Header=BB85_89 Depth=1
	s_andn2_saveexec_b64 s[0:1], s[0:1]
	s_cbranch_execz .LBB85_168
; %bb.167:                              ;   in Loop: Header=BB85_89 Depth=1
	v_div_scale_f32 v27, s[22:23], v19, v19, s12
	v_rcp_f32_e32 v28, v27
	v_fma_f32 v29, -v27, v28, 1.0
	v_fmac_f32_e32 v28, v29, v28
	v_div_scale_f32 v29, vcc, s12, v19, s12
	v_mul_f32_e32 v30, v29, v28
	v_fma_f32 v31, -v27, v30, v29
	v_fmac_f32_e32 v30, v31, v28
	v_fma_f32 v27, -v27, v30, v29
	v_div_fmas_f32 v27, v27, v28, v30
	v_div_fixup_f32 v29, v27, v19, s12
	v_div_scale_f32 v27, s[22:23], v20, v20, s13
	v_rcp_f32_e32 v28, v27
	v_fma_f32 v30, -v27, v28, 1.0
	v_fmac_f32_e32 v28, v30, v28
	v_div_scale_f32 v30, vcc, s13, v20, s13
	v_mul_f32_e32 v31, v30, v28
	v_fma_f32 v32, -v27, v31, v30
	v_fmac_f32_e32 v31, v32, v28
	v_fma_f32 v27, -v27, v31, v30
	v_div_fmas_f32 v27, v27, v28, v31
	v_div_fixup_f32 v27, v27, v20, s13
.LBB85_168:                             ;   in Loop: Header=BB85_89 Depth=1
	s_or_b64 exec, exec, s[0:1]
.LBB85_169:                             ;   in Loop: Header=BB85_89 Depth=1
	s_andn2_saveexec_b64 s[0:1], s[4:5]
	s_cbranch_execz .LBB85_171
; %bb.170:                              ;   in Loop: Header=BB85_89 Depth=1
	v_div_scale_f32 v27, s[4:5], v18, v18, v17
	v_div_scale_f32 v28, vcc, v17, v18, v17
	v_rcp_f32_e32 v29, v27
	v_fma_f32 v30, -v27, v29, 1.0
	v_fmac_f32_e32 v29, v30, v29
	v_mul_f32_e32 v30, v28, v29
	v_fma_f32 v31, -v27, v30, v28
	v_fmac_f32_e32 v30, v31, v29
	v_fma_f32 v27, -v27, v30, v28
	v_div_fmas_f32 v27, v27, v29, v30
	v_div_fixup_f32 v27, v27, v18, v17
	v_fma_f32 v28, v17, v27, v18
	v_div_scale_f32 v29, s[4:5], v28, v28, 1.0
	v_div_scale_f32 v30, vcc, 1.0, v28, 1.0
	v_rcp_f32_e32 v31, v29
	v_fma_f32 v32, -v29, v31, 1.0
	v_fmac_f32_e32 v31, v32, v31
	v_mul_f32_e32 v32, v30, v31
	v_fma_f32 v33, -v29, v32, v30
	v_fmac_f32_e32 v32, v33, v31
	v_fma_f32 v29, -v29, v32, v30
	v_div_fmas_f32 v29, v29, v31, v32
	v_mov_b32_e32 v30, s13
	v_mov_b32_e32 v31, s12
	v_fma_f32 v30, s12, v27, v30
	v_fma_f32 v27, v27, s13, -v31
	v_div_fixup_f32 v28, v29, v28, 1.0
	v_mul_f32_e32 v29, v30, v28
	v_mul_f32_e32 v27, v27, v28
.LBB85_171:                             ;   in Loop: Header=BB85_89 Depth=1
	s_or_b64 exec, exec, s[0:1]
	v_mul_f32_e32 v28, s9, v27
	v_mul_f32_e32 v27, s8, v27
	v_fma_f32 v28, v29, s8, -v28
	v_fmac_f32_e32 v27, s9, v29
	s_branch .LBB85_159
.LBB85_172:                             ;   in Loop: Header=BB85_89 Depth=1
                                        ; implicit-def: $vgpr27
                                        ; implicit-def: $vgpr28
	s_and_saveexec_b64 s[0:1], s[2:3]
	s_xor_b64 s[2:3], exec, s[0:1]
	s_cbranch_execz .LBB85_178
; %bb.173:                              ;   in Loop: Header=BB85_89 Depth=1
	v_cmp_neq_f32_e32 vcc, 0, v17
	v_cmp_neq_f32_e64 s[0:1], 0, v18
	s_or_b64 s[0:1], s[0:1], vcc
                                        ; implicit-def: $vgpr27
                                        ; implicit-def: $vgpr28
	s_and_saveexec_b64 s[4:5], s[0:1]
	s_xor_b64 s[0:1], exec, s[4:5]
	s_cbranch_execz .LBB85_175
; %bb.174:                              ;   in Loop: Header=BB85_89 Depth=1
	v_div_scale_f32 v19, s[4:5], v17, v17, v18
	v_div_scale_f32 v20, vcc, v18, v17, v18
	v_rcp_f32_e32 v27, v19
	v_fma_f32 v28, -v19, v27, 1.0
	v_fmac_f32_e32 v27, v28, v27
	v_mul_f32_e32 v28, v20, v27
	v_fma_f32 v29, -v19, v28, v20
	v_fmac_f32_e32 v28, v29, v27
	v_fma_f32 v19, -v19, v28, v20
	v_div_fmas_f32 v19, v19, v27, v28
	v_div_fixup_f32 v19, v19, v17, v18
	v_fmac_f32_e32 v17, v18, v19
	v_div_scale_f32 v18, s[4:5], v17, v17, 1.0
	v_div_scale_f32 v20, vcc, 1.0, v17, 1.0
	v_rcp_f32_e32 v27, v18
	v_fma_f32 v28, -v18, v27, 1.0
	v_fmac_f32_e32 v27, v28, v27
	v_mul_f32_e32 v28, v20, v27
	v_fma_f32 v29, -v18, v28, v20
	v_fmac_f32_e32 v28, v29, v27
	v_fma_f32 v18, -v18, v28, v20
	v_div_fmas_f32 v18, v18, v27, v28
	v_mov_b32_e32 v20, s12
	v_mov_b32_e32 v27, s13
	v_fma_f32 v20, s13, v19, v20
	v_fma_f32 v19, -v19, s12, v27
	v_div_fixup_f32 v17, v18, v17, 1.0
	v_mul_f32_e32 v28, v20, v17
	v_mul_f32_e32 v27, v19, v17
                                        ; implicit-def: $vgpr19
                                        ; implicit-def: $vgpr20
.LBB85_175:                             ;   in Loop: Header=BB85_89 Depth=1
	s_andn2_saveexec_b64 s[4:5], s[0:1]
	s_cbranch_execz .LBB85_177
; %bb.176:                              ;   in Loop: Header=BB85_89 Depth=1
	v_div_scale_f32 v17, s[0:1], v19, v19, s12
	v_div_scale_f32 v18, s[0:1], v20, v20, s13
	v_div_scale_f32 v27, vcc, s12, v19, s12
	v_div_scale_f32 v28, s[0:1], s13, v20, s13
	v_rcp_f32_e32 v29, v17
	v_rcp_f32_e32 v30, v18
	v_fma_f32 v31, -v17, v29, 1.0
	v_fmac_f32_e32 v29, v31, v29
	v_fma_f32 v32, -v18, v30, 1.0
	v_fmac_f32_e32 v30, v32, v30
	v_mul_f32_e32 v31, v27, v29
	v_mul_f32_e32 v32, v28, v30
	v_fma_f32 v33, -v17, v31, v27
	v_fma_f32 v34, -v18, v32, v28
	v_fmac_f32_e32 v31, v33, v29
	v_fmac_f32_e32 v32, v34, v30
	v_fma_f32 v17, -v17, v31, v27
	v_fma_f32 v18, -v18, v32, v28
	v_div_fmas_f32 v17, v17, v29, v31
	s_mov_b64 vcc, s[0:1]
	v_div_fmas_f32 v18, v18, v30, v32
	v_div_fixup_f32 v28, v17, v19, s12
	v_div_fixup_f32 v27, v18, v20, s13
.LBB85_177:                             ;   in Loop: Header=BB85_89 Depth=1
	s_or_b64 exec, exec, s[4:5]
                                        ; implicit-def: $vgpr18
.LBB85_178:                             ;   in Loop: Header=BB85_89 Depth=1
	s_andn2_saveexec_b64 s[0:1], s[2:3]
	s_cbranch_execz .LBB85_180
; %bb.179:                              ;   in Loop: Header=BB85_89 Depth=1
	v_div_scale_f32 v19, s[2:3], v18, v18, v17
	v_div_scale_f32 v20, vcc, v17, v18, v17
	v_rcp_f32_e32 v27, v19
	v_fma_f32 v28, -v19, v27, 1.0
	v_fmac_f32_e32 v27, v28, v27
	v_mul_f32_e32 v28, v20, v27
	v_fma_f32 v29, -v19, v28, v20
	v_fmac_f32_e32 v28, v29, v27
	v_fma_f32 v19, -v19, v28, v20
	v_div_fmas_f32 v19, v19, v27, v28
	v_div_fixup_f32 v19, v19, v18, v17
	v_fmac_f32_e32 v18, v17, v19
	v_div_scale_f32 v17, s[2:3], v18, v18, 1.0
	v_div_scale_f32 v20, vcc, 1.0, v18, 1.0
	v_rcp_f32_e32 v27, v17
	v_fma_f32 v28, -v17, v27, 1.0
	v_fmac_f32_e32 v27, v28, v27
	v_mul_f32_e32 v28, v20, v27
	v_fma_f32 v29, -v17, v28, v20
	v_fmac_f32_e32 v28, v29, v27
	v_fma_f32 v17, -v17, v28, v20
	v_div_fmas_f32 v17, v17, v27, v28
	v_mov_b32_e32 v20, s13
	v_mov_b32_e32 v27, s12
	v_fma_f32 v20, s12, v19, v20
	v_fma_f32 v19, v19, s13, -v27
	v_div_fixup_f32 v17, v17, v18, 1.0
	v_mul_f32_e32 v28, v20, v17
	v_mul_f32_e32 v27, v19, v17
.LBB85_180:                             ;   in Loop: Header=BB85_89 Depth=1
	s_or_b64 exec, exec, s[0:1]
	v_cmp_gt_u64_e32 vcc, s[18:19], v[1:2]
	s_and_saveexec_b64 s[0:1], vcc
	s_xor_b64 s[0:1], exec, s[0:1]
	s_cbranch_execz .LBB85_160
.LBB85_181:                             ;   in Loop: Header=BB85_89 Depth=1
	v_lshlrev_b64 v[1:2], 3, v[1:2]
	v_mov_b32_e32 v17, s11
	v_add_co_u32_e32 v1, vcc, s10, v1
	v_add_f32_e32 v3, v3, v25
	v_add_f32_e32 v4, v4, v26
	v_addc_co_u32_e32 v2, vcc, v17, v2, vcc
	global_store_dwordx2 v[1:2], v[3:4], off
	s_or_b64 exec, exec, s[0:1]
	v_cmp_gt_u64_e32 vcc, s[18:19], v[5:6]
	s_and_saveexec_b64 s[0:1], vcc
	s_cbranch_execz .LBB85_161
.LBB85_182:                             ;   in Loop: Header=BB85_89 Depth=1
	v_lshlrev_b64 v[3:4], 3, v[5:6]
	v_mov_b32_e32 v5, s11
	v_add_co_u32_e32 v3, vcc, s10, v3
	v_add_f32_e32 v1, v7, v24
	v_add_f32_e32 v2, v8, v23
	v_addc_co_u32_e32 v4, vcc, v5, v4, vcc
	global_store_dwordx2 v[3:4], v[1:2], off
	s_or_b64 exec, exec, s[0:1]
	v_cmp_gt_u64_e32 vcc, s[18:19], v[9:10]
	s_and_saveexec_b64 s[0:1], vcc
	s_cbranch_execz .LBB85_162
.LBB85_183:                             ;   in Loop: Header=BB85_89 Depth=1
	v_lshlrev_b64 v[3:4], 3, v[9:10]
	v_mov_b32_e32 v5, s11
	v_add_co_u32_e32 v3, vcc, s10, v3
	v_add_f32_e32 v1, v11, v22
	v_add_f32_e32 v2, v12, v21
	v_addc_co_u32_e32 v4, vcc, v5, v4, vcc
	global_store_dwordx2 v[3:4], v[1:2], off
	s_or_b64 exec, exec, s[0:1]
	v_cmp_gt_u64_e32 vcc, s[18:19], v[13:14]
	s_and_saveexec_b64 s[0:1], vcc
	s_cbranch_execz .LBB85_88
.LBB85_184:                             ;   in Loop: Header=BB85_89 Depth=1
	v_lshlrev_b64 v[3:4], 3, v[13:14]
	v_mov_b32_e32 v5, s11
	v_add_co_u32_e32 v3, vcc, s10, v3
	v_add_f32_e32 v1, v15, v28
	v_add_f32_e32 v2, v16, v27
	v_addc_co_u32_e32 v4, vcc, v5, v4, vcc
	global_store_dwordx2 v[3:4], v[1:2], off
	s_branch .LBB85_88
.LBB85_185:
	s_endpgm
	.section	.rodata,"a",@progbits
	.p2align	6, 0x0
	.amdhsa_kernel _ZN2at6native12_GLOBAL__N_125multi_tensor_apply_kernelINS1_18TensorListMetadataILi3EEENS1_32PointwiseOpScalar0dTensorFunctorIN3c107complexIfEELi3ELi2ELi0EEEJSt7dividesIS8_ES8_EEEvT_T0_DpT1_
		.amdhsa_group_segment_fixed_size 0
		.amdhsa_private_segment_fixed_size 0
		.amdhsa_kernarg_size 3416
		.amdhsa_user_sgpr_count 6
		.amdhsa_user_sgpr_private_segment_buffer 1
		.amdhsa_user_sgpr_dispatch_ptr 0
		.amdhsa_user_sgpr_queue_ptr 0
		.amdhsa_user_sgpr_kernarg_segment_ptr 1
		.amdhsa_user_sgpr_dispatch_id 0
		.amdhsa_user_sgpr_flat_scratch_init 0
		.amdhsa_user_sgpr_private_segment_size 0
		.amdhsa_uses_dynamic_stack 0
		.amdhsa_system_sgpr_private_segment_wavefront_offset 0
		.amdhsa_system_sgpr_workgroup_id_x 1
		.amdhsa_system_sgpr_workgroup_id_y 0
		.amdhsa_system_sgpr_workgroup_id_z 0
		.amdhsa_system_sgpr_workgroup_info 0
		.amdhsa_system_vgpr_workitem_id 0
		.amdhsa_next_free_vgpr 35
		.amdhsa_next_free_sgpr 38
		.amdhsa_reserve_vcc 1
		.amdhsa_reserve_flat_scratch 0
		.amdhsa_float_round_mode_32 0
		.amdhsa_float_round_mode_16_64 0
		.amdhsa_float_denorm_mode_32 3
		.amdhsa_float_denorm_mode_16_64 3
		.amdhsa_dx10_clamp 1
		.amdhsa_ieee_mode 1
		.amdhsa_fp16_overflow 0
		.amdhsa_exception_fp_ieee_invalid_op 0
		.amdhsa_exception_fp_denorm_src 0
		.amdhsa_exception_fp_ieee_div_zero 0
		.amdhsa_exception_fp_ieee_overflow 0
		.amdhsa_exception_fp_ieee_underflow 0
		.amdhsa_exception_fp_ieee_inexact 0
		.amdhsa_exception_int_div_zero 0
	.end_amdhsa_kernel
	.section	.text._ZN2at6native12_GLOBAL__N_125multi_tensor_apply_kernelINS1_18TensorListMetadataILi3EEENS1_32PointwiseOpScalar0dTensorFunctorIN3c107complexIfEELi3ELi2ELi0EEEJSt7dividesIS8_ES8_EEEvT_T0_DpT1_,"axG",@progbits,_ZN2at6native12_GLOBAL__N_125multi_tensor_apply_kernelINS1_18TensorListMetadataILi3EEENS1_32PointwiseOpScalar0dTensorFunctorIN3c107complexIfEELi3ELi2ELi0EEEJSt7dividesIS8_ES8_EEEvT_T0_DpT1_,comdat
.Lfunc_end85:
	.size	_ZN2at6native12_GLOBAL__N_125multi_tensor_apply_kernelINS1_18TensorListMetadataILi3EEENS1_32PointwiseOpScalar0dTensorFunctorIN3c107complexIfEELi3ELi2ELi0EEEJSt7dividesIS8_ES8_EEEvT_T0_DpT1_, .Lfunc_end85-_ZN2at6native12_GLOBAL__N_125multi_tensor_apply_kernelINS1_18TensorListMetadataILi3EEENS1_32PointwiseOpScalar0dTensorFunctorIN3c107complexIfEELi3ELi2ELi0EEEJSt7dividesIS8_ES8_EEEvT_T0_DpT1_
                                        ; -- End function
	.set _ZN2at6native12_GLOBAL__N_125multi_tensor_apply_kernelINS1_18TensorListMetadataILi3EEENS1_32PointwiseOpScalar0dTensorFunctorIN3c107complexIfEELi3ELi2ELi0EEEJSt7dividesIS8_ES8_EEEvT_T0_DpT1_.num_vgpr, 35
	.set _ZN2at6native12_GLOBAL__N_125multi_tensor_apply_kernelINS1_18TensorListMetadataILi3EEENS1_32PointwiseOpScalar0dTensorFunctorIN3c107complexIfEELi3ELi2ELi0EEEJSt7dividesIS8_ES8_EEEvT_T0_DpT1_.num_agpr, 0
	.set _ZN2at6native12_GLOBAL__N_125multi_tensor_apply_kernelINS1_18TensorListMetadataILi3EEENS1_32PointwiseOpScalar0dTensorFunctorIN3c107complexIfEELi3ELi2ELi0EEEJSt7dividesIS8_ES8_EEEvT_T0_DpT1_.numbered_sgpr, 38
	.set _ZN2at6native12_GLOBAL__N_125multi_tensor_apply_kernelINS1_18TensorListMetadataILi3EEENS1_32PointwiseOpScalar0dTensorFunctorIN3c107complexIfEELi3ELi2ELi0EEEJSt7dividesIS8_ES8_EEEvT_T0_DpT1_.num_named_barrier, 0
	.set _ZN2at6native12_GLOBAL__N_125multi_tensor_apply_kernelINS1_18TensorListMetadataILi3EEENS1_32PointwiseOpScalar0dTensorFunctorIN3c107complexIfEELi3ELi2ELi0EEEJSt7dividesIS8_ES8_EEEvT_T0_DpT1_.private_seg_size, 0
	.set _ZN2at6native12_GLOBAL__N_125multi_tensor_apply_kernelINS1_18TensorListMetadataILi3EEENS1_32PointwiseOpScalar0dTensorFunctorIN3c107complexIfEELi3ELi2ELi0EEEJSt7dividesIS8_ES8_EEEvT_T0_DpT1_.uses_vcc, 1
	.set _ZN2at6native12_GLOBAL__N_125multi_tensor_apply_kernelINS1_18TensorListMetadataILi3EEENS1_32PointwiseOpScalar0dTensorFunctorIN3c107complexIfEELi3ELi2ELi0EEEJSt7dividesIS8_ES8_EEEvT_T0_DpT1_.uses_flat_scratch, 0
	.set _ZN2at6native12_GLOBAL__N_125multi_tensor_apply_kernelINS1_18TensorListMetadataILi3EEENS1_32PointwiseOpScalar0dTensorFunctorIN3c107complexIfEELi3ELi2ELi0EEEJSt7dividesIS8_ES8_EEEvT_T0_DpT1_.has_dyn_sized_stack, 0
	.set _ZN2at6native12_GLOBAL__N_125multi_tensor_apply_kernelINS1_18TensorListMetadataILi3EEENS1_32PointwiseOpScalar0dTensorFunctorIN3c107complexIfEELi3ELi2ELi0EEEJSt7dividesIS8_ES8_EEEvT_T0_DpT1_.has_recursion, 0
	.set _ZN2at6native12_GLOBAL__N_125multi_tensor_apply_kernelINS1_18TensorListMetadataILi3EEENS1_32PointwiseOpScalar0dTensorFunctorIN3c107complexIfEELi3ELi2ELi0EEEJSt7dividesIS8_ES8_EEEvT_T0_DpT1_.has_indirect_call, 0
	.section	.AMDGPU.csdata,"",@progbits
; Kernel info:
; codeLenInByte = 11176
; TotalNumSgprs: 42
; NumVgprs: 35
; ScratchSize: 0
; MemoryBound: 0
; FloatMode: 240
; IeeeMode: 1
; LDSByteSize: 0 bytes/workgroup (compile time only)
; SGPRBlocks: 5
; VGPRBlocks: 8
; NumSGPRsForWavesPerEU: 42
; NumVGPRsForWavesPerEU: 35
; Occupancy: 7
; WaveLimiterHint : 0
; COMPUTE_PGM_RSRC2:SCRATCH_EN: 0
; COMPUTE_PGM_RSRC2:USER_SGPR: 6
; COMPUTE_PGM_RSRC2:TRAP_HANDLER: 0
; COMPUTE_PGM_RSRC2:TGID_X_EN: 1
; COMPUTE_PGM_RSRC2:TGID_Y_EN: 0
; COMPUTE_PGM_RSRC2:TGID_Z_EN: 0
; COMPUTE_PGM_RSRC2:TIDIG_COMP_CNT: 0
	.section	.text._ZN2at6native12_GLOBAL__N_125multi_tensor_apply_kernelINS1_18TensorListMetadataILi3EEENS1_32PointwiseOpScalar0dTensorFunctorIN3c104HalfELi3ELi2ELi0EEEJSt7dividesIfEfEEEvT_T0_DpT1_,"axG",@progbits,_ZN2at6native12_GLOBAL__N_125multi_tensor_apply_kernelINS1_18TensorListMetadataILi3EEENS1_32PointwiseOpScalar0dTensorFunctorIN3c104HalfELi3ELi2ELi0EEEJSt7dividesIfEfEEEvT_T0_DpT1_,comdat
	.globl	_ZN2at6native12_GLOBAL__N_125multi_tensor_apply_kernelINS1_18TensorListMetadataILi3EEENS1_32PointwiseOpScalar0dTensorFunctorIN3c104HalfELi3ELi2ELi0EEEJSt7dividesIfEfEEEvT_T0_DpT1_ ; -- Begin function _ZN2at6native12_GLOBAL__N_125multi_tensor_apply_kernelINS1_18TensorListMetadataILi3EEENS1_32PointwiseOpScalar0dTensorFunctorIN3c104HalfELi3ELi2ELi0EEEJSt7dividesIfEfEEEvT_T0_DpT1_
	.p2align	8
	.type	_ZN2at6native12_GLOBAL__N_125multi_tensor_apply_kernelINS1_18TensorListMetadataILi3EEENS1_32PointwiseOpScalar0dTensorFunctorIN3c104HalfELi3ELi2ELi0EEEJSt7dividesIfEfEEEvT_T0_DpT1_,@function
_ZN2at6native12_GLOBAL__N_125multi_tensor_apply_kernelINS1_18TensorListMetadataILi3EEENS1_32PointwiseOpScalar0dTensorFunctorIN3c104HalfELi3ELi2ELi0EEEJSt7dividesIfEfEEEvT_T0_DpT1_: ; @_ZN2at6native12_GLOBAL__N_125multi_tensor_apply_kernelINS1_18TensorListMetadataILi3EEENS1_32PointwiseOpScalar0dTensorFunctorIN3c104HalfELi3ELi2ELi0EEEJSt7dividesIfEfEEEvT_T0_DpT1_
; %bb.0:
	v_mov_b32_e32 v1, s6
	global_load_ubyte v1, v1, s[4:5] offset:1536
	s_add_u32 s0, s4, s6
	s_mul_hi_u32 s1, s6, 3
	s_mul_i32 s6, s6, 3
	s_addc_u32 s2, s5, 0
	s_add_u32 s0, s0, s6
	s_addc_u32 s1, s2, s1
	s_load_dword s0, s[0:1], 0x740
	v_mov_b32_e32 v2, 0
	s_mov_b32 s17, 0
	s_waitcnt vmcnt(0)
	v_readfirstlane_b32 s1, v1
	s_lshl_b32 s1, s1, 3
	s_load_dwordx2 s[6:7], s[4:5], s1 offset:0x180
	s_load_dwordx2 s[10:11], s[4:5], s1 offset:0x300
	s_waitcnt lgkmcnt(0)
	global_load_ushort v1, v2, s[6:7]
	s_load_dword s20, s[4:5], 0xc4c
	s_load_dwordx2 s[12:13], s[4:5], s1 offset:0x0
	s_load_dwordx2 s[14:15], s[4:5], s1 offset:0x480
	s_ashr_i32 s1, s0, 31
	s_lshl_b64 s[2:3], s[0:1], 17
	s_mov_b32 s7, s17
	s_waitcnt lgkmcnt(0)
	s_add_u32 s21, s12, s2
	s_addc_u32 s22, s13, s3
	s_and_b32 s16, s21, 7
	s_add_u32 s6, s6, s2
	s_add_u32 s23, s10, s2
	s_addc_u32 s24, s11, s3
	s_or_b32 s6, s23, s6
	s_and_b32 s6, s6, 7
	s_cmp_lg_u32 s6, 0
	s_cselect_b64 s[18:19], -1, 0
	s_lshl_b64 s[0:1], s[0:1], 16
	s_sub_u32 s8, s14, s0
	s_subb_u32 s9, s15, s1
	s_and_b32 s6, s14, 3
	s_or_b64 s[0:1], s[16:17], s[6:7]
	s_cmp_lg_u64 s[0:1], 0
	s_cselect_b64 s[0:1], -1, 0
	s_or_b64 s[0:1], s[18:19], s[0:1]
	s_andn2_b64 vcc, exec, s[0:1]
	s_mov_b64 s[0:1], -1
	s_waitcnt vmcnt(0)
	v_cvt_f32_f16_e32 v9, v1
	s_cbranch_vccz .LBB86_5
; %bb.1:
	v_mov_b32_e32 v3, 0x10000
	v_mov_b32_e32 v4, 0
	v_cmp_lt_i64_e32 vcc, s[8:9], v[3:4]
	v_lshlrev_b32_e32 v1, 2, v0
	s_and_b64 s[0:1], vcc, exec
	s_cselect_b32 s15, s9, 0
	s_cselect_b32 s14, s8, 0x10000
	v_cmp_gt_i64_e32 vcc, s[14:15], v[1:2]
	s_and_saveexec_b64 s[16:17], vcc
	s_cbranch_execz .LBB86_4
; %bb.2:
	s_load_dword s6, s[4:5], 0xc5c
	v_mov_b32_e32 v1, v2
	v_lshlrev_b32_e32 v2, 3, v0
	v_mov_b32_e32 v4, s3
	v_add_co_u32_e32 v3, vcc, s2, v2
	s_waitcnt lgkmcnt(0)
	s_and_b32 s25, s6, 0xffff
	v_mov_b32_e32 v2, v1
	v_cmp_eq_f32_e64 s[0:1], s20, 1.0
	v_addc_co_u32_e32 v4, vcc, 0, v4, vcc
	s_lshl_b32 s26, s25, 3
	s_mov_b64 s[18:19], 0
	v_mov_b32_e32 v5, s13
	v_mov_b32_e32 v6, s11
	;; [unrolled: 1-line block ×3, first 2 shown]
.LBB86_3:                               ; =>This Inner Loop Header: Depth=1
	v_add_co_u32_e32 v7, vcc, s10, v3
	v_addc_co_u32_e32 v8, vcc, v6, v4, vcc
	global_load_dwordx2 v[7:8], v[7:8], off
	s_waitcnt vmcnt(0)
	v_cvt_f32_f16_e32 v12, v7
	v_cvt_f32_f16_sdwa v14, v7 dst_sel:DWORD dst_unused:UNUSED_PAD src0_sel:WORD_1
	v_cvt_f32_f16_e32 v15, v8
	v_cvt_f32_f16_sdwa v16, v8 dst_sel:DWORD dst_unused:UNUSED_PAD src0_sel:WORD_1
	v_div_scale_f32 v7, s[2:3], v12, v12, v9
	v_div_scale_f32 v8, vcc, v9, v12, v9
	v_div_scale_f32 v10, s[2:3], v14, v14, v9
	v_div_scale_f32 v11, s[2:3], v15, v15, v9
	;; [unrolled: 1-line block ×4, first 2 shown]
	v_rcp_f32_e32 v18, v7
	v_fma_f32 v19, -v7, v18, 1.0
	v_fmac_f32_e32 v18, v19, v18
	v_mul_f32_e32 v19, v8, v18
	v_fma_f32 v20, -v7, v19, v8
	v_fmac_f32_e32 v19, v20, v18
	v_rcp_f32_e32 v20, v10
	v_fma_f32 v7, -v7, v19, v8
	v_rcp_f32_e32 v8, v11
	v_div_fmas_f32 v18, v7, v18, v19
	v_rcp_f32_e32 v19, v13
	v_fma_f32 v7, -v10, v20, 1.0
	v_fmac_f32_e32 v20, v7, v20
	v_fma_f32 v7, -v11, v8, 1.0
	v_fmac_f32_e32 v8, v7, v8
	;; [unrolled: 2-line block ×3, first 2 shown]
	v_mul_f32_e32 v7, v17, v20
	v_fma_f32 v21, -v10, v7, v17
	v_fmac_f32_e32 v7, v21, v20
	v_fma_f32 v10, -v10, v7, v17
	v_div_scale_f32 v17, s[6:7], v9, v15, v9
	s_mov_b64 vcc, s[2:3]
	v_div_fmas_f32 v20, v10, v20, v7
	s_mov_b64 vcc, s[6:7]
	v_div_fixup_f32 v18, v18, v12, v9
	v_mul_f32_e32 v7, v17, v8
	v_fma_f32 v10, -v11, v7, v17
	v_fmac_f32_e32 v7, v10, v8
	v_div_scale_f32 v10, s[2:3], v9, v16, v9
	v_fma_f32 v11, -v11, v7, v17
	v_div_fmas_f32 v17, v11, v8, v7
	v_add_co_u32_e32 v7, vcc, s12, v3
	v_addc_co_u32_e32 v8, vcc, v5, v4, vcc
	s_mov_b64 vcc, s[2:3]
	v_div_fixup_f32 v14, v20, v14, v9
	v_mul_f32_e32 v21, v10, v19
	v_fma_f32 v22, -v13, v21, v10
	v_fmac_f32_e32 v21, v22, v19
	v_fma_f32 v10, -v13, v21, v10
	v_div_fmas_f32 v19, v10, v19, v21
	global_load_dwordx2 v[10:11], v[7:8], off
	v_div_fixup_f32 v15, v17, v15, v9
	v_add_co_u32_e32 v1, vcc, s25, v1
	v_addc_co_u32_e32 v2, vcc, 0, v2, vcc
	v_add_co_u32_e32 v3, vcc, s26, v3
	v_lshlrev_b64 v[12:13], 2, v[1:2]
	v_addc_co_u32_e32 v4, vcc, 0, v4, vcc
	v_cmp_le_i64_e32 vcc, s[14:15], v[12:13]
	s_or_b64 s[18:19], vcc, s[18:19]
	v_div_fixup_f32 v16, v19, v16, v9
	s_waitcnt vmcnt(0)
	v_cvt_f32_f16_e32 v20, v10
	v_cvt_f32_f16_e32 v17, v11
	v_add_f32_e32 v20, v18, v20
	v_fma_mix_f32 v18, s20, v18, v10 op_sel_hi:[0,0,1]
	v_cndmask_b32_e64 v18, v18, v20, s[0:1]
	v_cvt_f32_f16_sdwa v20, v10 dst_sel:DWORD dst_unused:UNUSED_PAD src0_sel:WORD_1
	v_fma_mix_f32 v10, s20, v14, v10 op_sel:[0,0,1] op_sel_hi:[0,0,1]
	v_add_f32_e32 v17, v15, v17
	v_fma_mix_f32 v15, s20, v15, v11 op_sel_hi:[0,0,1]
	v_add_f32_e32 v20, v14, v20
	v_cvt_f32_f16_sdwa v14, v11 dst_sel:DWORD dst_unused:UNUSED_PAD src0_sel:WORD_1
	v_fma_mix_f32 v11, s20, v16, v11 op_sel:[0,0,1] op_sel_hi:[0,0,1]
	v_cndmask_b32_e64 v10, v10, v20, s[0:1]
	v_cndmask_b32_e64 v15, v15, v17, s[0:1]
	v_add_f32_e32 v14, v16, v14
	v_cndmask_b32_e64 v11, v11, v14, s[0:1]
	v_cvt_f16_f32_e32 v18, v18
	v_cvt_f16_f32_e32 v10, v10
	;; [unrolled: 1-line block ×4, first 2 shown]
	v_pack_b32_f16 v10, v18, v10
	v_pack_b32_f16 v11, v15, v11
	global_store_dwordx2 v[7:8], v[10:11], off
	s_andn2_b64 exec, exec, s[18:19]
	s_cbranch_execnz .LBB86_3
.LBB86_4:
	s_or_b64 exec, exec, s[16:17]
	s_mov_b64 s[0:1], 0
.LBB86_5:
	s_andn2_b64 vcc, exec, s[0:1]
	s_cbranch_vccnz .LBB86_25
; %bb.6:
	v_cmp_lt_i64_e64 s[0:1], s[8:9], 1
	s_and_b64 vcc, exec, s[0:1]
	s_cbranch_vccnz .LBB86_25
; %bb.7:
	v_mov_b32_e32 v1, 0x10000
	s_load_dword s4, s[4:5], 0xc5c
	v_mov_b32_e32 v2, 0
	v_cmp_lt_i64_e32 vcc, s[8:9], v[1:2]
	s_mov_b64 s[6:7], 0
	s_and_b64 s[0:1], vcc, exec
	v_cmp_lt_u64_e32 vcc, s[8:9], v[1:2]
	s_cselect_b32 s3, s9, 0
	s_cselect_b32 s2, s8, 0x10000
	s_waitcnt lgkmcnt(0)
	s_and_b32 s10, s4, 0xffff
	s_and_b64 s[4:5], vcc, exec
	v_cmp_eq_f32_e64 s[0:1], s20, 1.0
	s_cselect_b32 s5, s9, 0
	s_cselect_b32 s4, s8, 0x10000
	s_lshl_b32 s11, s10, 1
	s_mul_i32 s12, s10, 3
	s_lshl_b32 s13, s10, 2
	s_branch .LBB86_9
.LBB86_8:                               ;   in Loop: Header=BB86_9 Depth=1
	s_or_b64 exec, exec, s[8:9]
	s_add_u32 s6, s6, s13
	v_mov_b32_e32 v1, s2
	s_addc_u32 s7, s7, 0
	v_mov_b32_e32 v2, s3
	v_cmp_ge_i64_e32 vcc, s[6:7], v[1:2]
	s_cbranch_vccnz .LBB86_25
.LBB86_9:                               ; =>This Inner Loop Header: Depth=1
	v_mov_b32_e32 v1, s7
	v_add_co_u32_e32 v7, vcc, s6, v0
	v_addc_co_u32_e32 v8, vcc, 0, v1, vcc
	v_cmp_gt_i64_e32 vcc, s[2:3], v[7:8]
	v_mov_b32_e32 v17, 0
	v_mov_b32_e32 v16, 0
	s_and_saveexec_b64 s[8:9], vcc
	s_cbranch_execz .LBB86_11
; %bb.10:                               ;   in Loop: Header=BB86_9 Depth=1
	v_lshlrev_b64 v[1:2], 1, v[7:8]
	v_mov_b32_e32 v4, s22
	v_add_co_u32_e32 v3, vcc, s21, v1
	v_addc_co_u32_e32 v4, vcc, v4, v2, vcc
	v_mov_b32_e32 v5, s24
	v_add_co_u32_e32 v1, vcc, s23, v1
	v_addc_co_u32_e32 v2, vcc, v5, v2, vcc
	global_load_ushort v5, v[3:4], off
	global_load_ushort v6, v[1:2], off
	s_waitcnt vmcnt(1)
	v_cvt_f32_f16_e32 v16, v5
	s_waitcnt vmcnt(0)
	v_cvt_f32_f16_e32 v17, v6
.LBB86_11:                              ;   in Loop: Header=BB86_9 Depth=1
	s_or_b64 exec, exec, s[8:9]
	v_add_co_u32_e32 v5, vcc, s10, v7
	v_addc_co_u32_e32 v6, vcc, 0, v8, vcc
	v_cmp_gt_i64_e32 vcc, s[2:3], v[5:6]
	v_mov_b32_e32 v10, 0
	v_mov_b32_e32 v15, 0
	v_mov_b32_e32 v14, 0
	s_and_saveexec_b64 s[8:9], vcc
	s_cbranch_execz .LBB86_13
; %bb.12:                               ;   in Loop: Header=BB86_9 Depth=1
	v_lshlrev_b64 v[1:2], 1, v[5:6]
	v_mov_b32_e32 v4, s22
	v_add_co_u32_e32 v3, vcc, s21, v1
	v_addc_co_u32_e32 v4, vcc, v4, v2, vcc
	v_mov_b32_e32 v11, s24
	v_add_co_u32_e32 v1, vcc, s23, v1
	v_addc_co_u32_e32 v2, vcc, v11, v2, vcc
	global_load_ushort v11, v[3:4], off
	global_load_ushort v12, v[1:2], off
	s_waitcnt vmcnt(1)
	v_cvt_f32_f16_e32 v14, v11
	s_waitcnt vmcnt(0)
	v_cvt_f32_f16_e32 v15, v12
.LBB86_13:                              ;   in Loop: Header=BB86_9 Depth=1
	s_or_b64 exec, exec, s[8:9]
	v_add_co_u32_e32 v3, vcc, s11, v7
	v_addc_co_u32_e32 v4, vcc, 0, v8, vcc
	v_cmp_gt_i64_e32 vcc, s[2:3], v[3:4]
	v_mov_b32_e32 v13, 0
	s_and_saveexec_b64 s[8:9], vcc
	s_cbranch_execz .LBB86_15
; %bb.14:                               ;   in Loop: Header=BB86_9 Depth=1
	v_lshlrev_b64 v[1:2], 1, v[3:4]
	v_mov_b32_e32 v11, s22
	v_add_co_u32_e32 v10, vcc, s21, v1
	v_addc_co_u32_e32 v11, vcc, v11, v2, vcc
	v_mov_b32_e32 v12, s24
	v_add_co_u32_e32 v1, vcc, s23, v1
	v_addc_co_u32_e32 v2, vcc, v12, v2, vcc
	global_load_ushort v12, v[10:11], off
	global_load_ushort v18, v[1:2], off
	s_waitcnt vmcnt(1)
	v_cvt_f32_f16_e32 v13, v12
	s_waitcnt vmcnt(0)
	v_cvt_f32_f16_e32 v10, v18
.LBB86_15:                              ;   in Loop: Header=BB86_9 Depth=1
	s_or_b64 exec, exec, s[8:9]
	v_add_co_u32_e32 v1, vcc, s12, v7
	v_addc_co_u32_e32 v2, vcc, 0, v8, vcc
	v_cmp_gt_i64_e32 vcc, s[2:3], v[1:2]
	v_mov_b32_e32 v12, 0
	v_mov_b32_e32 v11, 0
	s_and_saveexec_b64 s[8:9], vcc
	s_cbranch_execnz .LBB86_20
; %bb.16:                               ;   in Loop: Header=BB86_9 Depth=1
	s_or_b64 exec, exec, s[8:9]
	v_cmp_gt_u64_e32 vcc, s[4:5], v[7:8]
	s_and_saveexec_b64 s[8:9], vcc
	s_cbranch_execnz .LBB86_21
.LBB86_17:                              ;   in Loop: Header=BB86_9 Depth=1
	s_or_b64 exec, exec, s[8:9]
	v_cmp_gt_u64_e32 vcc, s[4:5], v[5:6]
	s_and_saveexec_b64 s[8:9], vcc
	s_cbranch_execnz .LBB86_22
.LBB86_18:                              ;   in Loop: Header=BB86_9 Depth=1
	s_or_b64 exec, exec, s[8:9]
	v_cmp_gt_u64_e32 vcc, s[4:5], v[3:4]
	s_and_saveexec_b64 s[8:9], vcc
	s_cbranch_execnz .LBB86_23
.LBB86_19:                              ;   in Loop: Header=BB86_9 Depth=1
	s_or_b64 exec, exec, s[8:9]
	v_cmp_gt_u64_e32 vcc, s[4:5], v[1:2]
	s_and_saveexec_b64 s[8:9], vcc
	s_cbranch_execz .LBB86_8
	s_branch .LBB86_24
.LBB86_20:                              ;   in Loop: Header=BB86_9 Depth=1
	v_lshlrev_b64 v[11:12], 1, v[1:2]
	v_mov_b32_e32 v19, s22
	v_add_co_u32_e32 v18, vcc, s21, v11
	v_addc_co_u32_e32 v19, vcc, v19, v12, vcc
	v_mov_b32_e32 v20, s24
	v_add_co_u32_e32 v11, vcc, s23, v11
	v_addc_co_u32_e32 v12, vcc, v20, v12, vcc
	global_load_ushort v20, v[18:19], off
	global_load_ushort v21, v[11:12], off
	s_waitcnt vmcnt(1)
	v_cvt_f32_f16_e32 v11, v20
	s_waitcnt vmcnt(0)
	v_cvt_f32_f16_e32 v12, v21
	s_or_b64 exec, exec, s[8:9]
	v_cmp_gt_u64_e32 vcc, s[4:5], v[7:8]
	s_and_saveexec_b64 s[8:9], vcc
	s_cbranch_execz .LBB86_17
.LBB86_21:                              ;   in Loop: Header=BB86_9 Depth=1
	v_div_scale_f32 v18, s[14:15], v17, v17, v9
	v_div_scale_f32 v19, vcc, v9, v17, v9
	v_lshlrev_b64 v[7:8], 1, v[7:8]
	v_rcp_f32_e32 v20, v18
	v_fma_f32 v21, -v18, v20, 1.0
	v_fmac_f32_e32 v20, v21, v20
	v_mul_f32_e32 v21, v19, v20
	v_fma_f32 v22, -v18, v21, v19
	v_fmac_f32_e32 v21, v22, v20
	v_fma_f32 v18, -v18, v21, v19
	v_div_fmas_f32 v18, v18, v20, v21
	v_mov_b32_e32 v19, s22
	v_add_co_u32_e32 v7, vcc, s21, v7
	v_addc_co_u32_e32 v8, vcc, v19, v8, vcc
	v_div_fixup_f32 v17, v18, v17, v9
	v_add_f32_e32 v18, v17, v16
	v_fmac_f32_e32 v16, s20, v17
	v_cndmask_b32_e64 v16, v16, v18, s[0:1]
	v_cvt_f16_f32_e32 v16, v16
	global_store_short v[7:8], v16, off
	s_or_b64 exec, exec, s[8:9]
	v_cmp_gt_u64_e32 vcc, s[4:5], v[5:6]
	s_and_saveexec_b64 s[8:9], vcc
	s_cbranch_execz .LBB86_18
.LBB86_22:                              ;   in Loop: Header=BB86_9 Depth=1
	v_div_scale_f32 v7, s[14:15], v15, v15, v9
	v_div_scale_f32 v8, vcc, v9, v15, v9
	v_lshlrev_b64 v[5:6], 1, v[5:6]
	v_rcp_f32_e32 v16, v7
	v_fma_f32 v17, -v7, v16, 1.0
	v_fmac_f32_e32 v16, v17, v16
	v_mul_f32_e32 v17, v8, v16
	v_fma_f32 v18, -v7, v17, v8
	v_fmac_f32_e32 v17, v18, v16
	v_fma_f32 v7, -v7, v17, v8
	v_div_fmas_f32 v7, v7, v16, v17
	v_mov_b32_e32 v8, s22
	v_add_co_u32_e32 v5, vcc, s21, v5
	v_addc_co_u32_e32 v6, vcc, v8, v6, vcc
	v_div_fixup_f32 v7, v7, v15, v9
	v_add_f32_e32 v15, v7, v14
	v_fmac_f32_e32 v14, s20, v7
	v_cndmask_b32_e64 v7, v14, v15, s[0:1]
	v_cvt_f16_f32_e32 v7, v7
	global_store_short v[5:6], v7, off
	s_or_b64 exec, exec, s[8:9]
	v_cmp_gt_u64_e32 vcc, s[4:5], v[3:4]
	s_and_saveexec_b64 s[8:9], vcc
	s_cbranch_execz .LBB86_19
.LBB86_23:                              ;   in Loop: Header=BB86_9 Depth=1
	v_div_scale_f32 v5, s[14:15], v10, v10, v9
	v_div_scale_f32 v6, vcc, v9, v10, v9
	v_lshlrev_b64 v[3:4], 1, v[3:4]
	v_rcp_f32_e32 v7, v5
	v_fma_f32 v8, -v5, v7, 1.0
	v_fmac_f32_e32 v7, v8, v7
	v_mul_f32_e32 v8, v6, v7
	v_fma_f32 v14, -v5, v8, v6
	v_fmac_f32_e32 v8, v14, v7
	v_fma_f32 v5, -v5, v8, v6
	v_div_fmas_f32 v5, v5, v7, v8
	v_mov_b32_e32 v6, s22
	v_add_co_u32_e32 v3, vcc, s21, v3
	v_addc_co_u32_e32 v4, vcc, v6, v4, vcc
	v_div_fixup_f32 v5, v5, v10, v9
	v_add_f32_e32 v7, v5, v13
	v_fmac_f32_e32 v13, s20, v5
	v_cndmask_b32_e64 v5, v13, v7, s[0:1]
	v_cvt_f16_f32_e32 v5, v5
	global_store_short v[3:4], v5, off
	s_or_b64 exec, exec, s[8:9]
	v_cmp_gt_u64_e32 vcc, s[4:5], v[1:2]
	s_and_saveexec_b64 s[8:9], vcc
	s_cbranch_execz .LBB86_8
.LBB86_24:                              ;   in Loop: Header=BB86_9 Depth=1
	v_div_scale_f32 v3, s[14:15], v12, v12, v9
	v_div_scale_f32 v4, vcc, v9, v12, v9
	v_lshlrev_b64 v[1:2], 1, v[1:2]
	v_rcp_f32_e32 v5, v3
	v_fma_f32 v6, -v3, v5, 1.0
	v_fmac_f32_e32 v5, v6, v5
	v_mul_f32_e32 v6, v4, v5
	v_fma_f32 v7, -v3, v6, v4
	v_fmac_f32_e32 v6, v7, v5
	v_fma_f32 v3, -v3, v6, v4
	v_div_fmas_f32 v3, v3, v5, v6
	v_mov_b32_e32 v4, s22
	v_add_co_u32_e32 v1, vcc, s21, v1
	v_addc_co_u32_e32 v2, vcc, v4, v2, vcc
	v_div_fixup_f32 v3, v3, v12, v9
	v_add_f32_e32 v5, v3, v11
	v_fmac_f32_e32 v11, s20, v3
	v_cndmask_b32_e64 v3, v11, v5, s[0:1]
	v_cvt_f16_f32_e32 v3, v3
	global_store_short v[1:2], v3, off
	s_branch .LBB86_8
.LBB86_25:
	s_endpgm
	.section	.rodata,"a",@progbits
	.p2align	6, 0x0
	.amdhsa_kernel _ZN2at6native12_GLOBAL__N_125multi_tensor_apply_kernelINS1_18TensorListMetadataILi3EEENS1_32PointwiseOpScalar0dTensorFunctorIN3c104HalfELi3ELi2ELi0EEEJSt7dividesIfEfEEEvT_T0_DpT1_
		.amdhsa_group_segment_fixed_size 0
		.amdhsa_private_segment_fixed_size 0
		.amdhsa_kernarg_size 3408
		.amdhsa_user_sgpr_count 6
		.amdhsa_user_sgpr_private_segment_buffer 1
		.amdhsa_user_sgpr_dispatch_ptr 0
		.amdhsa_user_sgpr_queue_ptr 0
		.amdhsa_user_sgpr_kernarg_segment_ptr 1
		.amdhsa_user_sgpr_dispatch_id 0
		.amdhsa_user_sgpr_flat_scratch_init 0
		.amdhsa_user_sgpr_private_segment_size 0
		.amdhsa_uses_dynamic_stack 0
		.amdhsa_system_sgpr_private_segment_wavefront_offset 0
		.amdhsa_system_sgpr_workgroup_id_x 1
		.amdhsa_system_sgpr_workgroup_id_y 0
		.amdhsa_system_sgpr_workgroup_id_z 0
		.amdhsa_system_sgpr_workgroup_info 0
		.amdhsa_system_vgpr_workitem_id 0
		.amdhsa_next_free_vgpr 23
		.amdhsa_next_free_sgpr 27
		.amdhsa_reserve_vcc 1
		.amdhsa_reserve_flat_scratch 0
		.amdhsa_float_round_mode_32 0
		.amdhsa_float_round_mode_16_64 0
		.amdhsa_float_denorm_mode_32 3
		.amdhsa_float_denorm_mode_16_64 3
		.amdhsa_dx10_clamp 1
		.amdhsa_ieee_mode 1
		.amdhsa_fp16_overflow 0
		.amdhsa_exception_fp_ieee_invalid_op 0
		.amdhsa_exception_fp_denorm_src 0
		.amdhsa_exception_fp_ieee_div_zero 0
		.amdhsa_exception_fp_ieee_overflow 0
		.amdhsa_exception_fp_ieee_underflow 0
		.amdhsa_exception_fp_ieee_inexact 0
		.amdhsa_exception_int_div_zero 0
	.end_amdhsa_kernel
	.section	.text._ZN2at6native12_GLOBAL__N_125multi_tensor_apply_kernelINS1_18TensorListMetadataILi3EEENS1_32PointwiseOpScalar0dTensorFunctorIN3c104HalfELi3ELi2ELi0EEEJSt7dividesIfEfEEEvT_T0_DpT1_,"axG",@progbits,_ZN2at6native12_GLOBAL__N_125multi_tensor_apply_kernelINS1_18TensorListMetadataILi3EEENS1_32PointwiseOpScalar0dTensorFunctorIN3c104HalfELi3ELi2ELi0EEEJSt7dividesIfEfEEEvT_T0_DpT1_,comdat
.Lfunc_end86:
	.size	_ZN2at6native12_GLOBAL__N_125multi_tensor_apply_kernelINS1_18TensorListMetadataILi3EEENS1_32PointwiseOpScalar0dTensorFunctorIN3c104HalfELi3ELi2ELi0EEEJSt7dividesIfEfEEEvT_T0_DpT1_, .Lfunc_end86-_ZN2at6native12_GLOBAL__N_125multi_tensor_apply_kernelINS1_18TensorListMetadataILi3EEENS1_32PointwiseOpScalar0dTensorFunctorIN3c104HalfELi3ELi2ELi0EEEJSt7dividesIfEfEEEvT_T0_DpT1_
                                        ; -- End function
	.set _ZN2at6native12_GLOBAL__N_125multi_tensor_apply_kernelINS1_18TensorListMetadataILi3EEENS1_32PointwiseOpScalar0dTensorFunctorIN3c104HalfELi3ELi2ELi0EEEJSt7dividesIfEfEEEvT_T0_DpT1_.num_vgpr, 23
	.set _ZN2at6native12_GLOBAL__N_125multi_tensor_apply_kernelINS1_18TensorListMetadataILi3EEENS1_32PointwiseOpScalar0dTensorFunctorIN3c104HalfELi3ELi2ELi0EEEJSt7dividesIfEfEEEvT_T0_DpT1_.num_agpr, 0
	.set _ZN2at6native12_GLOBAL__N_125multi_tensor_apply_kernelINS1_18TensorListMetadataILi3EEENS1_32PointwiseOpScalar0dTensorFunctorIN3c104HalfELi3ELi2ELi0EEEJSt7dividesIfEfEEEvT_T0_DpT1_.numbered_sgpr, 27
	.set _ZN2at6native12_GLOBAL__N_125multi_tensor_apply_kernelINS1_18TensorListMetadataILi3EEENS1_32PointwiseOpScalar0dTensorFunctorIN3c104HalfELi3ELi2ELi0EEEJSt7dividesIfEfEEEvT_T0_DpT1_.num_named_barrier, 0
	.set _ZN2at6native12_GLOBAL__N_125multi_tensor_apply_kernelINS1_18TensorListMetadataILi3EEENS1_32PointwiseOpScalar0dTensorFunctorIN3c104HalfELi3ELi2ELi0EEEJSt7dividesIfEfEEEvT_T0_DpT1_.private_seg_size, 0
	.set _ZN2at6native12_GLOBAL__N_125multi_tensor_apply_kernelINS1_18TensorListMetadataILi3EEENS1_32PointwiseOpScalar0dTensorFunctorIN3c104HalfELi3ELi2ELi0EEEJSt7dividesIfEfEEEvT_T0_DpT1_.uses_vcc, 1
	.set _ZN2at6native12_GLOBAL__N_125multi_tensor_apply_kernelINS1_18TensorListMetadataILi3EEENS1_32PointwiseOpScalar0dTensorFunctorIN3c104HalfELi3ELi2ELi0EEEJSt7dividesIfEfEEEvT_T0_DpT1_.uses_flat_scratch, 0
	.set _ZN2at6native12_GLOBAL__N_125multi_tensor_apply_kernelINS1_18TensorListMetadataILi3EEENS1_32PointwiseOpScalar0dTensorFunctorIN3c104HalfELi3ELi2ELi0EEEJSt7dividesIfEfEEEvT_T0_DpT1_.has_dyn_sized_stack, 0
	.set _ZN2at6native12_GLOBAL__N_125multi_tensor_apply_kernelINS1_18TensorListMetadataILi3EEENS1_32PointwiseOpScalar0dTensorFunctorIN3c104HalfELi3ELi2ELi0EEEJSt7dividesIfEfEEEvT_T0_DpT1_.has_recursion, 0
	.set _ZN2at6native12_GLOBAL__N_125multi_tensor_apply_kernelINS1_18TensorListMetadataILi3EEENS1_32PointwiseOpScalar0dTensorFunctorIN3c104HalfELi3ELi2ELi0EEEJSt7dividesIfEfEEEvT_T0_DpT1_.has_indirect_call, 0
	.section	.AMDGPU.csdata,"",@progbits
; Kernel info:
; codeLenInByte = 2056
; TotalNumSgprs: 31
; NumVgprs: 23
; ScratchSize: 0
; MemoryBound: 0
; FloatMode: 240
; IeeeMode: 1
; LDSByteSize: 0 bytes/workgroup (compile time only)
; SGPRBlocks: 3
; VGPRBlocks: 5
; NumSGPRsForWavesPerEU: 31
; NumVGPRsForWavesPerEU: 23
; Occupancy: 10
; WaveLimiterHint : 0
; COMPUTE_PGM_RSRC2:SCRATCH_EN: 0
; COMPUTE_PGM_RSRC2:USER_SGPR: 6
; COMPUTE_PGM_RSRC2:TRAP_HANDLER: 0
; COMPUTE_PGM_RSRC2:TGID_X_EN: 1
; COMPUTE_PGM_RSRC2:TGID_Y_EN: 0
; COMPUTE_PGM_RSRC2:TGID_Z_EN: 0
; COMPUTE_PGM_RSRC2:TIDIG_COMP_CNT: 0
	.section	.text._ZN2at6native12_GLOBAL__N_125multi_tensor_apply_kernelINS1_18TensorListMetadataILi3EEENS1_32PointwiseOpScalar0dTensorFunctorIN3c108BFloat16ELi3ELi2ELi0EEEJSt7dividesIfEfEEEvT_T0_DpT1_,"axG",@progbits,_ZN2at6native12_GLOBAL__N_125multi_tensor_apply_kernelINS1_18TensorListMetadataILi3EEENS1_32PointwiseOpScalar0dTensorFunctorIN3c108BFloat16ELi3ELi2ELi0EEEJSt7dividesIfEfEEEvT_T0_DpT1_,comdat
	.globl	_ZN2at6native12_GLOBAL__N_125multi_tensor_apply_kernelINS1_18TensorListMetadataILi3EEENS1_32PointwiseOpScalar0dTensorFunctorIN3c108BFloat16ELi3ELi2ELi0EEEJSt7dividesIfEfEEEvT_T0_DpT1_ ; -- Begin function _ZN2at6native12_GLOBAL__N_125multi_tensor_apply_kernelINS1_18TensorListMetadataILi3EEENS1_32PointwiseOpScalar0dTensorFunctorIN3c108BFloat16ELi3ELi2ELi0EEEJSt7dividesIfEfEEEvT_T0_DpT1_
	.p2align	8
	.type	_ZN2at6native12_GLOBAL__N_125multi_tensor_apply_kernelINS1_18TensorListMetadataILi3EEENS1_32PointwiseOpScalar0dTensorFunctorIN3c108BFloat16ELi3ELi2ELi0EEEJSt7dividesIfEfEEEvT_T0_DpT1_,@function
_ZN2at6native12_GLOBAL__N_125multi_tensor_apply_kernelINS1_18TensorListMetadataILi3EEENS1_32PointwiseOpScalar0dTensorFunctorIN3c108BFloat16ELi3ELi2ELi0EEEJSt7dividesIfEfEEEvT_T0_DpT1_: ; @_ZN2at6native12_GLOBAL__N_125multi_tensor_apply_kernelINS1_18TensorListMetadataILi3EEENS1_32PointwiseOpScalar0dTensorFunctorIN3c108BFloat16ELi3ELi2ELi0EEEJSt7dividesIfEfEEEvT_T0_DpT1_
; %bb.0:
	v_mov_b32_e32 v1, s6
	global_load_ubyte v1, v1, s[4:5] offset:1536
	s_add_u32 s0, s4, s6
	s_mul_hi_u32 s1, s6, 3
	s_mul_i32 s6, s6, 3
	s_addc_u32 s2, s5, 0
	s_add_u32 s0, s0, s6
	s_addc_u32 s1, s2, s1
	s_load_dword s0, s[0:1], 0x740
	v_mov_b32_e32 v2, 0
	s_mov_b32 s13, 0
	s_mov_b32 s23, s13
	s_waitcnt vmcnt(0)
	v_readfirstlane_b32 s1, v1
	s_lshl_b32 s1, s1, 3
	s_load_dwordx2 s[6:7], s[4:5], s1 offset:0x180
	s_load_dwordx2 s[2:3], s[4:5], s1 offset:0x300
	s_waitcnt lgkmcnt(0)
	global_load_ushort v1, v2, s[6:7]
	s_load_dword s16, s[4:5], 0xc4c
	s_load_dwordx2 s[8:9], s[4:5], s1 offset:0x0
	s_load_dwordx2 s[10:11], s[4:5], s1 offset:0x480
	s_ashr_i32 s1, s0, 31
	s_lshl_b64 s[14:15], s[0:1], 17
	s_waitcnt lgkmcnt(0)
	s_add_u32 s17, s8, s14
	s_addc_u32 s18, s9, s15
	s_and_b32 s12, s17, 7
	s_add_u32 s6, s6, s14
	s_add_u32 s19, s2, s14
	s_addc_u32 s20, s3, s15
	s_or_b32 s6, s19, s6
	s_and_b32 s6, s6, 7
	s_cmp_lg_u32 s6, 0
	s_cselect_b64 s[24:25], -1, 0
	s_lshl_b64 s[0:1], s[0:1], 16
	s_sub_u32 s6, s10, s0
	s_subb_u32 s7, s11, s1
	s_and_b32 s22, s10, 3
	s_or_b64 s[0:1], s[12:13], s[22:23]
	s_cmp_lg_u64 s[0:1], 0
	s_cselect_b64 s[0:1], -1, 0
	s_or_b64 s[0:1], s[24:25], s[0:1]
	s_andn2_b64 vcc, exec, s[0:1]
	s_mov_b64 s[0:1], -1
	s_waitcnt vmcnt(0)
	v_lshlrev_b32_e32 v13, 16, v1
	s_cbranch_vccz .LBB87_5
; %bb.1:
	v_mov_b32_e32 v3, 0x10000
	v_mov_b32_e32 v4, 0
	v_cmp_lt_i64_e32 vcc, s[6:7], v[3:4]
	v_lshlrev_b32_e32 v1, 2, v0
	s_and_b64 s[0:1], vcc, exec
	s_cselect_b32 s11, s7, 0
	s_cselect_b32 s10, s6, 0x10000
	v_cmp_gt_i64_e32 vcc, s[10:11], v[1:2]
	s_and_saveexec_b64 s[12:13], vcc
	s_cbranch_execz .LBB87_4
; %bb.2:
	s_load_dword s21, s[4:5], 0xc5c
	v_mov_b32_e32 v1, v2
	v_lshlrev_b32_e32 v2, 3, v0
	v_mov_b32_e32 v4, s15
	v_add_co_u32_e32 v3, vcc, s14, v2
	s_waitcnt lgkmcnt(0)
	s_and_b32 s21, s21, 0xffff
	v_mov_b32_e32 v2, v1
	v_cmp_eq_f32_e64 s[0:1], s16, 1.0
	v_addc_co_u32_e32 v4, vcc, 0, v4, vcc
	s_lshl_b32 s22, s21, 3
	s_mov_b64 s[14:15], 0
	v_mov_b32_e32 v5, s9
	v_mov_b32_e32 v6, s3
	s_movk_i32 s3, 0x7fff
	v_mov_b32_e32 v7, 0x7fc0
	v_mov_b32_e32 v8, 0x7fc00000
	;; [unrolled: 1-line block ×3, first 2 shown]
.LBB87_3:                               ; =>This Inner Loop Header: Depth=1
	v_add_co_u32_e32 v9, vcc, s8, v3
	v_addc_co_u32_e32 v10, vcc, v5, v4, vcc
	v_add_co_u32_e32 v14, vcc, s2, v3
	v_addc_co_u32_e32 v15, vcc, v6, v4, vcc
	global_load_dwordx2 v[14:15], v[14:15], off
	s_waitcnt vmcnt(0)
	v_lshlrev_b32_e32 v17, 16, v14
	global_load_dwordx2 v[11:12], v[9:10], off
	v_div_scale_f32 v18, s[24:25], v17, v17, v13
	v_rcp_f32_e32 v19, v18
	v_fma_f32 v20, -v18, v19, 1.0
	v_fmac_f32_e32 v19, v20, v19
	v_div_scale_f32 v20, vcc, v13, v17, v13
	v_mul_f32_e32 v21, v20, v19
	v_fma_f32 v22, -v18, v21, v20
	v_fmac_f32_e32 v21, v22, v19
	v_fma_f32 v18, -v18, v21, v20
	v_div_fmas_f32 v18, v18, v19, v21
	v_div_fixup_f32 v17, v18, v17, v13
	s_waitcnt vmcnt(0)
	v_lshlrev_b32_e32 v16, 16, v11
	v_add_f32_e32 v18, v17, v16
	v_fmac_f32_e32 v16, s16, v17
	v_cndmask_b32_e64 v16, v16, v18, s[0:1]
	v_and_b32_e32 v18, 0xffff0000, v14
	v_div_scale_f32 v19, s[24:25], v18, v18, v13
	v_bfe_u32 v17, v16, 16, 1
	v_add3_u32 v17, v16, v17, s3
	v_lshrrev_b32_e32 v17, 16, v17
	v_cmp_o_f32_e32 vcc, v16, v16
	v_cndmask_b32_e32 v16, v7, v17, vcc
	v_and_b32_e32 v17, 0xffff0000, v11
	v_alignbit_b32 v14, v15, v14, 16
	v_and_b32_e32 v14, 0xffff0000, v14
	v_alignbit_b32 v11, v12, v11, 16
	v_and_b32_e32 v11, 0xffff0000, v11
	v_and_b32_e32 v12, 0xffff0000, v12
	v_rcp_f32_e32 v20, v19
	v_fma_f32 v21, -v19, v20, 1.0
	v_fmac_f32_e32 v20, v21, v20
	v_div_scale_f32 v21, vcc, v13, v18, v13
	v_mul_f32_e32 v22, v21, v20
	v_fma_f32 v23, -v19, v22, v21
	v_fmac_f32_e32 v22, v23, v20
	v_fma_f32 v19, -v19, v22, v21
	v_div_fmas_f32 v19, v19, v20, v22
	v_div_fixup_f32 v18, v19, v18, v13
	v_add_f32_e32 v19, v18, v17
	v_fmac_f32_e32 v17, s16, v18
	v_cndmask_b32_e64 v17, v17, v19, s[0:1]
	v_bfe_u32 v18, v17, 16, 1
	v_add3_u32 v18, v17, v18, s3
	v_and_b32_e32 v18, 0xffff0000, v18
	v_cmp_o_f32_e32 vcc, v17, v17
	v_cndmask_b32_e32 v17, v8, v18, vcc
	v_or_b32_e32 v16, v16, v17
	v_div_scale_f32 v17, s[24:25], v14, v14, v13
	v_rcp_f32_e32 v18, v17
	v_fma_f32 v19, -v17, v18, 1.0
	v_fmac_f32_e32 v18, v19, v18
	v_div_scale_f32 v19, vcc, v13, v14, v13
	v_mul_f32_e32 v20, v19, v18
	v_fma_f32 v21, -v17, v20, v19
	v_fmac_f32_e32 v20, v21, v18
	v_fma_f32 v17, -v17, v20, v19
	v_div_fmas_f32 v17, v17, v18, v20
	v_div_fixup_f32 v14, v17, v14, v13
	v_add_f32_e32 v17, v14, v11
	v_fmac_f32_e32 v11, s16, v14
	v_cndmask_b32_e64 v11, v11, v17, s[0:1]
	v_bfe_u32 v14, v11, 16, 1
	v_add3_u32 v14, v11, v14, s3
	v_lshrrev_b32_e32 v14, 16, v14
	v_cmp_o_f32_e32 vcc, v11, v11
	v_cndmask_b32_e32 v11, v7, v14, vcc
	v_and_b32_e32 v14, 0xffff0000, v15
	v_div_scale_f32 v15, s[24:25], v14, v14, v13
	v_rcp_f32_e32 v17, v15
	v_fma_f32 v18, -v15, v17, 1.0
	v_fmac_f32_e32 v17, v18, v17
	v_div_scale_f32 v18, vcc, v13, v14, v13
	v_mul_f32_e32 v19, v18, v17
	v_fma_f32 v20, -v15, v19, v18
	v_fmac_f32_e32 v19, v20, v17
	v_fma_f32 v15, -v15, v19, v18
	v_div_fmas_f32 v15, v15, v17, v19
	v_div_fixup_f32 v14, v15, v14, v13
	v_add_f32_e32 v15, v14, v12
	v_fmac_f32_e32 v12, s16, v14
	v_cndmask_b32_e64 v12, v12, v15, s[0:1]
	v_bfe_u32 v14, v12, 16, 1
	v_add3_u32 v14, v12, v14, s3
	v_and_b32_e32 v14, 0xffff0000, v14
	v_cmp_o_f32_e32 vcc, v12, v12
	v_cndmask_b32_e32 v12, v8, v14, vcc
	v_add_co_u32_e32 v1, vcc, s21, v1
	v_or3_b32 v12, 0, v11, v12
	v_or3_b32 v11, v16, 0, 0
	v_addc_co_u32_e32 v2, vcc, 0, v2, vcc
	global_store_dwordx2 v[9:10], v[11:12], off
	v_lshlrev_b64 v[9:10], 2, v[1:2]
	v_add_co_u32_e32 v3, vcc, s22, v3
	v_addc_co_u32_e32 v4, vcc, 0, v4, vcc
	v_cmp_le_i64_e32 vcc, s[10:11], v[9:10]
	s_or_b64 s[14:15], vcc, s[14:15]
	s_andn2_b64 exec, exec, s[14:15]
	s_cbranch_execnz .LBB87_3
.LBB87_4:
	s_or_b64 exec, exec, s[12:13]
	s_mov_b64 s[0:1], 0
.LBB87_5:
	s_andn2_b64 vcc, exec, s[0:1]
	s_cbranch_vccnz .LBB87_25
; %bb.6:
	v_cmp_lt_i64_e64 s[0:1], s[6:7], 1
	s_and_b64 vcc, exec, s[0:1]
	s_cbranch_vccnz .LBB87_25
; %bb.7:
	v_mov_b32_e32 v1, 0x10000
	s_load_dword s4, s[4:5], 0xc5c
	v_mov_b32_e32 v2, 0
	v_cmp_lt_i64_e32 vcc, s[6:7], v[1:2]
	s_mov_b32 s10, 0
	s_and_b64 s[0:1], vcc, exec
	v_cmp_lt_u64_e32 vcc, s[6:7], v[1:2]
	s_cselect_b32 s3, s7, 0
	s_cselect_b32 s2, s6, 0x10000
	s_waitcnt lgkmcnt(0)
	s_and_b32 s11, s4, 0xffff
	s_and_b64 s[4:5], vcc, exec
	v_cmp_eq_f32_e64 s[0:1], s16, 1.0
	s_cselect_b32 s5, s7, 0
	s_cselect_b32 s4, s6, 0x10000
	s_lshl_b32 s12, s11, 1
	s_mul_i32 s13, s11, 3
	s_lshl_b32 s14, s11, 2
	s_mov_b64 s[6:7], 0
	s_movk_i32 s15, 0x7fff
	v_mov_b32_e32 v14, 0x7fc0
	s_branch .LBB87_9
.LBB87_8:                               ;   in Loop: Header=BB87_9 Depth=1
	s_or_b64 exec, exec, s[8:9]
	s_add_u32 s6, s6, s14
	v_mov_b32_e32 v1, s2
	s_addc_u32 s7, s7, 0
	v_mov_b32_e32 v2, s3
	v_cmp_ge_i64_e32 vcc, s[6:7], v[1:2]
	s_cbranch_vccnz .LBB87_25
.LBB87_9:                               ; =>This Inner Loop Header: Depth=1
	v_mov_b32_e32 v1, s7
	v_add_co_u32_e32 v11, vcc, s6, v0
	v_addc_co_u32_e32 v12, vcc, 0, v1, vcc
	v_cmp_gt_i64_e32 vcc, s[2:3], v[11:12]
	v_mov_b32_e32 v3, 0
	v_mov_b32_e32 v1, 0
	;; [unrolled: 1-line block ×4, first 2 shown]
	s_and_saveexec_b64 s[8:9], vcc
	s_cbranch_execz .LBB87_11
; %bb.10:                               ;   in Loop: Header=BB87_9 Depth=1
	v_lshlrev_b64 v[1:2], 1, v[11:12]
	v_mov_b32_e32 v4, s18
	v_add_co_u32_e32 v3, vcc, s17, v1
	v_addc_co_u32_e32 v4, vcc, v4, v2, vcc
	v_mov_b32_e32 v5, s20
	v_add_co_u32_e32 v1, vcc, s19, v1
	v_addc_co_u32_e32 v2, vcc, v5, v2, vcc
	global_load_ushort v5, v[3:4], off
	global_load_ushort v6, v[1:2], off
	v_mov_b32_e32 v2, s10
	v_mov_b32_e32 v4, s10
	s_waitcnt vmcnt(1)
	v_and_b32_e32 v1, 0xffff, v5
	s_waitcnt vmcnt(0)
	v_and_b32_e32 v3, 0xffff, v6
.LBB87_11:                              ;   in Loop: Header=BB87_9 Depth=1
	s_or_b64 exec, exec, s[8:9]
	v_add_co_u32_e32 v9, vcc, s11, v11
	v_addc_co_u32_e32 v10, vcc, 0, v12, vcc
	v_cmp_gt_i64_e32 vcc, s[2:3], v[9:10]
	s_and_saveexec_b64 s[8:9], vcc
	s_cbranch_execz .LBB87_13
; %bb.12:                               ;   in Loop: Header=BB87_9 Depth=1
	v_lshlrev_b64 v[5:6], 1, v[9:10]
	v_mov_b32_e32 v8, s20
	v_add_co_u32_e32 v7, vcc, s19, v5
	v_addc_co_u32_e32 v8, vcc, v8, v6, vcc
	v_mov_b32_e32 v15, s18
	v_add_co_u32_e32 v5, vcc, s17, v5
	v_addc_co_u32_e32 v6, vcc, v15, v6, vcc
	global_load_ushort v15, v[5:6], off
	global_load_ushort v16, v[7:8], off
	s_waitcnt vmcnt(1)
	v_lshl_or_b32 v1, v15, 16, v1
	s_waitcnt vmcnt(0)
	v_lshl_or_b32 v3, v16, 16, v3
.LBB87_13:                              ;   in Loop: Header=BB87_9 Depth=1
	s_or_b64 exec, exec, s[8:9]
	v_add_co_u32_e32 v7, vcc, s12, v11
	v_addc_co_u32_e32 v8, vcc, 0, v12, vcc
	v_cmp_gt_i64_e32 vcc, s[2:3], v[7:8]
	s_and_saveexec_b64 s[8:9], vcc
	s_cbranch_execz .LBB87_15
; %bb.14:                               ;   in Loop: Header=BB87_9 Depth=1
	v_lshlrev_b64 v[5:6], 1, v[7:8]
	v_mov_b32_e32 v16, s20
	v_add_co_u32_e32 v15, vcc, s19, v5
	v_addc_co_u32_e32 v16, vcc, v16, v6, vcc
	v_mov_b32_e32 v17, s18
	v_add_co_u32_e32 v5, vcc, s17, v5
	v_addc_co_u32_e32 v6, vcc, v17, v6, vcc
	global_load_ushort v17, v[5:6], off
	global_load_ushort v18, v[15:16], off
	s_waitcnt vmcnt(1)
	v_or_b32_e32 v2, v17, v2
	s_waitcnt vmcnt(0)
	v_or_b32_e32 v4, v18, v4
.LBB87_15:                              ;   in Loop: Header=BB87_9 Depth=1
	s_or_b64 exec, exec, s[8:9]
	v_add_co_u32_e32 v5, vcc, s13, v11
	v_addc_co_u32_e32 v6, vcc, 0, v12, vcc
	v_cmp_gt_i64_e32 vcc, s[2:3], v[5:6]
	s_and_saveexec_b64 s[8:9], vcc
	s_cbranch_execnz .LBB87_20
; %bb.16:                               ;   in Loop: Header=BB87_9 Depth=1
	s_or_b64 exec, exec, s[8:9]
	v_cmp_gt_u64_e32 vcc, s[4:5], v[11:12]
	s_and_saveexec_b64 s[8:9], vcc
	s_cbranch_execnz .LBB87_21
.LBB87_17:                              ;   in Loop: Header=BB87_9 Depth=1
	s_or_b64 exec, exec, s[8:9]
	v_cmp_gt_u64_e32 vcc, s[4:5], v[9:10]
	s_and_saveexec_b64 s[8:9], vcc
	s_cbranch_execnz .LBB87_22
.LBB87_18:                              ;   in Loop: Header=BB87_9 Depth=1
	s_or_b64 exec, exec, s[8:9]
	v_cmp_gt_u64_e32 vcc, s[4:5], v[7:8]
	s_and_saveexec_b64 s[8:9], vcc
	s_cbranch_execnz .LBB87_23
.LBB87_19:                              ;   in Loop: Header=BB87_9 Depth=1
	s_or_b64 exec, exec, s[8:9]
	v_cmp_gt_u64_e32 vcc, s[4:5], v[5:6]
	s_and_saveexec_b64 s[8:9], vcc
	s_cbranch_execz .LBB87_8
	s_branch .LBB87_24
.LBB87_20:                              ;   in Loop: Header=BB87_9 Depth=1
	v_lshlrev_b64 v[15:16], 1, v[5:6]
	v_mov_b32_e32 v18, s20
	v_add_co_u32_e32 v17, vcc, s19, v15
	v_addc_co_u32_e32 v18, vcc, v18, v16, vcc
	v_mov_b32_e32 v19, s18
	v_add_co_u32_e32 v15, vcc, s17, v15
	v_addc_co_u32_e32 v16, vcc, v19, v16, vcc
	global_load_ushort v19, v[15:16], off
	global_load_ushort v20, v[17:18], off
	s_waitcnt vmcnt(1)
	v_lshlrev_b32_e32 v15, 16, v19
	s_waitcnt vmcnt(0)
	v_lshlrev_b32_e32 v16, 16, v20
	v_or_b32_e32 v2, v15, v2
	v_or_b32_e32 v4, v16, v4
	s_or_b64 exec, exec, s[8:9]
	v_cmp_gt_u64_e32 vcc, s[4:5], v[11:12]
	s_and_saveexec_b64 s[8:9], vcc
	s_cbranch_execz .LBB87_17
.LBB87_21:                              ;   in Loop: Header=BB87_9 Depth=1
	v_lshlrev_b32_e32 v15, 16, v3
	v_div_scale_f32 v16, s[22:23], v15, v15, v13
	v_div_scale_f32 v17, vcc, v13, v15, v13
	v_lshlrev_b64 v[11:12], 1, v[11:12]
	v_rcp_f32_e32 v18, v16
	v_fma_f32 v19, -v16, v18, 1.0
	v_fmac_f32_e32 v18, v19, v18
	v_mul_f32_e32 v19, v17, v18
	v_fma_f32 v20, -v16, v19, v17
	v_fmac_f32_e32 v19, v20, v18
	v_fma_f32 v16, -v16, v19, v17
	v_div_fmas_f32 v16, v16, v18, v19
	v_lshlrev_b32_e32 v17, 16, v1
	v_mov_b32_e32 v18, s18
	v_add_co_u32_e32 v11, vcc, s17, v11
	v_addc_co_u32_e32 v12, vcc, v18, v12, vcc
	v_div_fixup_f32 v15, v16, v15, v13
	v_add_f32_e32 v16, v15, v17
	v_fmac_f32_e32 v17, s16, v15
	v_cndmask_b32_e64 v15, v17, v16, s[0:1]
	v_bfe_u32 v16, v15, 16, 1
	v_cmp_o_f32_e32 vcc, v15, v15
	v_add3_u32 v15, v15, v16, s15
	v_cndmask_b32_sdwa v15, v14, v15, vcc dst_sel:DWORD dst_unused:UNUSED_PAD src0_sel:DWORD src1_sel:WORD_1
	global_store_short v[11:12], v15, off
	s_or_b64 exec, exec, s[8:9]
	v_cmp_gt_u64_e32 vcc, s[4:5], v[9:10]
	s_and_saveexec_b64 s[8:9], vcc
	s_cbranch_execz .LBB87_18
.LBB87_22:                              ;   in Loop: Header=BB87_9 Depth=1
	v_and_b32_e32 v11, 0xffff0000, v3
	v_div_scale_f32 v12, s[22:23], v11, v11, v13
	v_div_scale_f32 v15, vcc, v13, v11, v13
	v_lshlrev_b64 v[9:10], 1, v[9:10]
	v_rcp_f32_e32 v16, v12
	v_fma_f32 v17, -v12, v16, 1.0
	v_fmac_f32_e32 v16, v17, v16
	v_mul_f32_e32 v17, v15, v16
	v_fma_f32 v18, -v12, v17, v15
	v_fmac_f32_e32 v17, v18, v16
	v_fma_f32 v12, -v12, v17, v15
	v_div_fmas_f32 v12, v12, v16, v17
	v_and_b32_e32 v15, 0xffff0000, v1
	v_mov_b32_e32 v16, s18
	v_div_fixup_f32 v11, v12, v11, v13
	v_add_f32_e32 v12, v11, v15
	v_fmac_f32_e32 v15, s16, v11
	v_cndmask_b32_e64 v11, v15, v12, s[0:1]
	v_bfe_u32 v12, v11, 16, 1
	v_cmp_o_f32_e32 vcc, v11, v11
	v_add3_u32 v11, v11, v12, s15
	v_cndmask_b32_sdwa v11, v14, v11, vcc dst_sel:DWORD dst_unused:UNUSED_PAD src0_sel:DWORD src1_sel:WORD_1
	v_add_co_u32_e32 v9, vcc, s17, v9
	v_addc_co_u32_e32 v10, vcc, v16, v10, vcc
	global_store_short v[9:10], v11, off
	s_or_b64 exec, exec, s[8:9]
	v_cmp_gt_u64_e32 vcc, s[4:5], v[7:8]
	s_and_saveexec_b64 s[8:9], vcc
	s_cbranch_execz .LBB87_19
.LBB87_23:                              ;   in Loop: Header=BB87_9 Depth=1
	v_alignbit_b32 v3, v4, v3, 16
	v_and_b32_e32 v3, 0xffff0000, v3
	v_div_scale_f32 v9, s[22:23], v3, v3, v13
	v_div_scale_f32 v10, vcc, v13, v3, v13
	v_alignbit_b32 v1, v2, v1, 16
	v_and_b32_e32 v1, 0xffff0000, v1
	v_lshlrev_b64 v[7:8], 1, v[7:8]
	v_rcp_f32_e32 v11, v9
	v_fma_f32 v12, -v9, v11, 1.0
	v_fmac_f32_e32 v11, v12, v11
	v_mul_f32_e32 v12, v10, v11
	v_fma_f32 v15, -v9, v12, v10
	v_fmac_f32_e32 v12, v15, v11
	v_fma_f32 v9, -v9, v12, v10
	v_div_fmas_f32 v9, v9, v11, v12
	v_mov_b32_e32 v10, s18
	v_div_fixup_f32 v3, v9, v3, v13
	v_add_f32_e32 v9, v3, v1
	v_fmac_f32_e32 v1, s16, v3
	v_cndmask_b32_e64 v1, v1, v9, s[0:1]
	v_bfe_u32 v3, v1, 16, 1
	v_cmp_o_f32_e32 vcc, v1, v1
	v_add3_u32 v1, v1, v3, s15
	v_cndmask_b32_sdwa v1, v14, v1, vcc dst_sel:DWORD dst_unused:UNUSED_PAD src0_sel:DWORD src1_sel:WORD_1
	v_add_co_u32_e32 v7, vcc, s17, v7
	v_addc_co_u32_e32 v8, vcc, v10, v8, vcc
	global_store_short v[7:8], v1, off
	s_or_b64 exec, exec, s[8:9]
	v_cmp_gt_u64_e32 vcc, s[4:5], v[5:6]
	s_and_saveexec_b64 s[8:9], vcc
	s_cbranch_execz .LBB87_8
.LBB87_24:                              ;   in Loop: Header=BB87_9 Depth=1
	v_and_b32_e32 v3, 0xffff0000, v4
	v_div_scale_f32 v1, s[22:23], v3, v3, v13
	v_div_scale_f32 v4, vcc, v13, v3, v13
	v_rcp_f32_e32 v7, v1
	v_fma_f32 v8, -v1, v7, 1.0
	v_fmac_f32_e32 v7, v8, v7
	v_mul_f32_e32 v8, v4, v7
	v_fma_f32 v9, -v1, v8, v4
	v_fmac_f32_e32 v8, v9, v7
	v_fma_f32 v1, -v1, v8, v4
	v_div_fmas_f32 v4, v1, v7, v8
	v_and_b32_e32 v7, 0xffff0000, v2
	v_lshlrev_b64 v[1:2], 1, v[5:6]
	v_mov_b32_e32 v5, s18
	v_div_fixup_f32 v3, v4, v3, v13
	v_add_f32_e32 v4, v3, v7
	v_fmac_f32_e32 v7, s16, v3
	v_cndmask_b32_e64 v3, v7, v4, s[0:1]
	v_bfe_u32 v4, v3, 16, 1
	v_cmp_o_f32_e32 vcc, v3, v3
	v_add3_u32 v3, v3, v4, s15
	v_cndmask_b32_sdwa v3, v14, v3, vcc dst_sel:DWORD dst_unused:UNUSED_PAD src0_sel:DWORD src1_sel:WORD_1
	v_add_co_u32_e32 v1, vcc, s17, v1
	v_addc_co_u32_e32 v2, vcc, v5, v2, vcc
	global_store_short v[1:2], v3, off
	s_branch .LBB87_8
.LBB87_25:
	s_endpgm
	.section	.rodata,"a",@progbits
	.p2align	6, 0x0
	.amdhsa_kernel _ZN2at6native12_GLOBAL__N_125multi_tensor_apply_kernelINS1_18TensorListMetadataILi3EEENS1_32PointwiseOpScalar0dTensorFunctorIN3c108BFloat16ELi3ELi2ELi0EEEJSt7dividesIfEfEEEvT_T0_DpT1_
		.amdhsa_group_segment_fixed_size 0
		.amdhsa_private_segment_fixed_size 0
		.amdhsa_kernarg_size 3408
		.amdhsa_user_sgpr_count 6
		.amdhsa_user_sgpr_private_segment_buffer 1
		.amdhsa_user_sgpr_dispatch_ptr 0
		.amdhsa_user_sgpr_queue_ptr 0
		.amdhsa_user_sgpr_kernarg_segment_ptr 1
		.amdhsa_user_sgpr_dispatch_id 0
		.amdhsa_user_sgpr_flat_scratch_init 0
		.amdhsa_user_sgpr_private_segment_size 0
		.amdhsa_uses_dynamic_stack 0
		.amdhsa_system_sgpr_private_segment_wavefront_offset 0
		.amdhsa_system_sgpr_workgroup_id_x 1
		.amdhsa_system_sgpr_workgroup_id_y 0
		.amdhsa_system_sgpr_workgroup_id_z 0
		.amdhsa_system_sgpr_workgroup_info 0
		.amdhsa_system_vgpr_workitem_id 0
		.amdhsa_next_free_vgpr 24
		.amdhsa_next_free_sgpr 26
		.amdhsa_reserve_vcc 1
		.amdhsa_reserve_flat_scratch 0
		.amdhsa_float_round_mode_32 0
		.amdhsa_float_round_mode_16_64 0
		.amdhsa_float_denorm_mode_32 3
		.amdhsa_float_denorm_mode_16_64 3
		.amdhsa_dx10_clamp 1
		.amdhsa_ieee_mode 1
		.amdhsa_fp16_overflow 0
		.amdhsa_exception_fp_ieee_invalid_op 0
		.amdhsa_exception_fp_denorm_src 0
		.amdhsa_exception_fp_ieee_div_zero 0
		.amdhsa_exception_fp_ieee_overflow 0
		.amdhsa_exception_fp_ieee_underflow 0
		.amdhsa_exception_fp_ieee_inexact 0
		.amdhsa_exception_int_div_zero 0
	.end_amdhsa_kernel
	.section	.text._ZN2at6native12_GLOBAL__N_125multi_tensor_apply_kernelINS1_18TensorListMetadataILi3EEENS1_32PointwiseOpScalar0dTensorFunctorIN3c108BFloat16ELi3ELi2ELi0EEEJSt7dividesIfEfEEEvT_T0_DpT1_,"axG",@progbits,_ZN2at6native12_GLOBAL__N_125multi_tensor_apply_kernelINS1_18TensorListMetadataILi3EEENS1_32PointwiseOpScalar0dTensorFunctorIN3c108BFloat16ELi3ELi2ELi0EEEJSt7dividesIfEfEEEvT_T0_DpT1_,comdat
.Lfunc_end87:
	.size	_ZN2at6native12_GLOBAL__N_125multi_tensor_apply_kernelINS1_18TensorListMetadataILi3EEENS1_32PointwiseOpScalar0dTensorFunctorIN3c108BFloat16ELi3ELi2ELi0EEEJSt7dividesIfEfEEEvT_T0_DpT1_, .Lfunc_end87-_ZN2at6native12_GLOBAL__N_125multi_tensor_apply_kernelINS1_18TensorListMetadataILi3EEENS1_32PointwiseOpScalar0dTensorFunctorIN3c108BFloat16ELi3ELi2ELi0EEEJSt7dividesIfEfEEEvT_T0_DpT1_
                                        ; -- End function
	.set _ZN2at6native12_GLOBAL__N_125multi_tensor_apply_kernelINS1_18TensorListMetadataILi3EEENS1_32PointwiseOpScalar0dTensorFunctorIN3c108BFloat16ELi3ELi2ELi0EEEJSt7dividesIfEfEEEvT_T0_DpT1_.num_vgpr, 24
	.set _ZN2at6native12_GLOBAL__N_125multi_tensor_apply_kernelINS1_18TensorListMetadataILi3EEENS1_32PointwiseOpScalar0dTensorFunctorIN3c108BFloat16ELi3ELi2ELi0EEEJSt7dividesIfEfEEEvT_T0_DpT1_.num_agpr, 0
	.set _ZN2at6native12_GLOBAL__N_125multi_tensor_apply_kernelINS1_18TensorListMetadataILi3EEENS1_32PointwiseOpScalar0dTensorFunctorIN3c108BFloat16ELi3ELi2ELi0EEEJSt7dividesIfEfEEEvT_T0_DpT1_.numbered_sgpr, 26
	.set _ZN2at6native12_GLOBAL__N_125multi_tensor_apply_kernelINS1_18TensorListMetadataILi3EEENS1_32PointwiseOpScalar0dTensorFunctorIN3c108BFloat16ELi3ELi2ELi0EEEJSt7dividesIfEfEEEvT_T0_DpT1_.num_named_barrier, 0
	.set _ZN2at6native12_GLOBAL__N_125multi_tensor_apply_kernelINS1_18TensorListMetadataILi3EEENS1_32PointwiseOpScalar0dTensorFunctorIN3c108BFloat16ELi3ELi2ELi0EEEJSt7dividesIfEfEEEvT_T0_DpT1_.private_seg_size, 0
	.set _ZN2at6native12_GLOBAL__N_125multi_tensor_apply_kernelINS1_18TensorListMetadataILi3EEENS1_32PointwiseOpScalar0dTensorFunctorIN3c108BFloat16ELi3ELi2ELi0EEEJSt7dividesIfEfEEEvT_T0_DpT1_.uses_vcc, 1
	.set _ZN2at6native12_GLOBAL__N_125multi_tensor_apply_kernelINS1_18TensorListMetadataILi3EEENS1_32PointwiseOpScalar0dTensorFunctorIN3c108BFloat16ELi3ELi2ELi0EEEJSt7dividesIfEfEEEvT_T0_DpT1_.uses_flat_scratch, 0
	.set _ZN2at6native12_GLOBAL__N_125multi_tensor_apply_kernelINS1_18TensorListMetadataILi3EEENS1_32PointwiseOpScalar0dTensorFunctorIN3c108BFloat16ELi3ELi2ELi0EEEJSt7dividesIfEfEEEvT_T0_DpT1_.has_dyn_sized_stack, 0
	.set _ZN2at6native12_GLOBAL__N_125multi_tensor_apply_kernelINS1_18TensorListMetadataILi3EEENS1_32PointwiseOpScalar0dTensorFunctorIN3c108BFloat16ELi3ELi2ELi0EEEJSt7dividesIfEfEEEvT_T0_DpT1_.has_recursion, 0
	.set _ZN2at6native12_GLOBAL__N_125multi_tensor_apply_kernelINS1_18TensorListMetadataILi3EEENS1_32PointwiseOpScalar0dTensorFunctorIN3c108BFloat16ELi3ELi2ELi0EEEJSt7dividesIfEfEEEvT_T0_DpT1_.has_indirect_call, 0
	.section	.AMDGPU.csdata,"",@progbits
; Kernel info:
; codeLenInByte = 2380
; TotalNumSgprs: 30
; NumVgprs: 24
; ScratchSize: 0
; MemoryBound: 0
; FloatMode: 240
; IeeeMode: 1
; LDSByteSize: 0 bytes/workgroup (compile time only)
; SGPRBlocks: 3
; VGPRBlocks: 5
; NumSGPRsForWavesPerEU: 30
; NumVGPRsForWavesPerEU: 24
; Occupancy: 10
; WaveLimiterHint : 0
; COMPUTE_PGM_RSRC2:SCRATCH_EN: 0
; COMPUTE_PGM_RSRC2:USER_SGPR: 6
; COMPUTE_PGM_RSRC2:TRAP_HANDLER: 0
; COMPUTE_PGM_RSRC2:TGID_X_EN: 1
; COMPUTE_PGM_RSRC2:TGID_Y_EN: 0
; COMPUTE_PGM_RSRC2:TGID_Z_EN: 0
; COMPUTE_PGM_RSRC2:TIDIG_COMP_CNT: 0
	.section	.text._ZN2at6native12_GLOBAL__N_125multi_tensor_apply_kernelINS1_28TensorListScalarListMetadataIhLi4EEENS1_28PointwiseOpScalarListFunctorIhLi4ELi3ELi3EEEJSt10multipliesIhEEEEvT_T0_DpT1_,"axG",@progbits,_ZN2at6native12_GLOBAL__N_125multi_tensor_apply_kernelINS1_28TensorListScalarListMetadataIhLi4EEENS1_28PointwiseOpScalarListFunctorIhLi4ELi3ELi3EEEJSt10multipliesIhEEEEvT_T0_DpT1_,comdat
	.globl	_ZN2at6native12_GLOBAL__N_125multi_tensor_apply_kernelINS1_28TensorListScalarListMetadataIhLi4EEENS1_28PointwiseOpScalarListFunctorIhLi4ELi3ELi3EEEJSt10multipliesIhEEEEvT_T0_DpT1_ ; -- Begin function _ZN2at6native12_GLOBAL__N_125multi_tensor_apply_kernelINS1_28TensorListScalarListMetadataIhLi4EEENS1_28PointwiseOpScalarListFunctorIhLi4ELi3ELi3EEEJSt10multipliesIhEEEEvT_T0_DpT1_
	.p2align	8
	.type	_ZN2at6native12_GLOBAL__N_125multi_tensor_apply_kernelINS1_28TensorListScalarListMetadataIhLi4EEENS1_28PointwiseOpScalarListFunctorIhLi4ELi3ELi3EEEJSt10multipliesIhEEEEvT_T0_DpT1_,@function
_ZN2at6native12_GLOBAL__N_125multi_tensor_apply_kernelINS1_28TensorListScalarListMetadataIhLi4EEENS1_28PointwiseOpScalarListFunctorIhLi4ELi3ELi3EEEJSt10multipliesIhEEEEvT_T0_DpT1_: ; @_ZN2at6native12_GLOBAL__N_125multi_tensor_apply_kernelINS1_28TensorListScalarListMetadataIhLi4EEENS1_28PointwiseOpScalarListFunctorIhLi4ELi3ELi3EEEJSt10multipliesIhEEEEvT_T0_DpT1_
; %bb.0:
	v_mov_b32_e32 v1, s6
	global_load_ubyte v3, v1, s[4:5] offset:1476
	s_add_u32 s0, s4, s6
	s_addc_u32 s1, s5, 0
	s_mul_hi_u32 s2, s6, 3
	s_mul_i32 s6, s6, 3
	s_add_u32 s0, s0, s6
	s_addc_u32 s1, s1, s2
	v_mov_b32_e32 v2, s5
	s_load_dword s0, s[0:1], 0x704
	s_mov_b32 s3, 0
	s_waitcnt vmcnt(0)
	v_add_co_u32_e32 v1, vcc, s4, v3
	v_addc_co_u32_e32 v2, vcc, 0, v2, vcc
	global_load_ubyte v4, v[1:2], off offset:1440
	v_readfirstlane_b32 s1, v3
	s_lshl_b32 s2, s1, 3
	s_load_dwordx2 s[6:7], s[4:5], s2 offset:0x480
	s_load_dwordx2 s[10:11], s[4:5], s2 offset:0x0
	s_waitcnt lgkmcnt(0)
	s_ashr_i32 s1, s0, 31
	s_load_dwordx2 s[12:13], s[4:5], s2 offset:0x120
	s_load_dwordx2 s[14:15], s[4:5], s2 offset:0x240
	;; [unrolled: 1-line block ×3, first 2 shown]
	s_lshl_b64 s[18:19], s[0:1], 16
	s_add_u32 s0, s10, s18
	s_addc_u32 s1, s11, s19
	s_waitcnt lgkmcnt(0)
	s_add_u32 s2, s12, s18
	s_and_b32 s2, s2, 3
	s_cmp_eq_u64 s[2:3], 0
	s_cselect_b64 s[8:9], -1, 0
	s_add_u32 s2, s14, s18
	s_or_b32 s2, s16, s2
	s_and_b32 s2, s2, 3
	s_cmp_eq_u32 s2, 0
	s_cselect_b64 s[20:21], -1, 0
	s_and_b64 s[8:9], s[20:21], s[8:9]
	s_sub_u32 s20, s6, s18
	s_subb_u32 s21, s7, s19
	s_or_b64 s[0:1], s[6:7], s[0:1]
	s_and_b32 s2, s0, 3
	s_cmp_eq_u64 s[2:3], 0
	s_cselect_b64 s[0:1], -1, 0
	s_and_b64 s[2:3], s[8:9], s[0:1]
	s_mov_b64 s[0:1], -1
	s_and_b64 vcc, exec, s[2:3]
	s_cbranch_vccnz .LBB88_29
; %bb.1:
	v_cmp_lt_i64_e64 s[0:1], s[20:21], 1
	s_and_b64 vcc, exec, s[0:1]
	s_cbranch_vccnz .LBB88_28
; %bb.2:
	v_mov_b32_e32 v1, 0x10000
	s_load_dword s2, s[4:5], 0xc1c
	v_mov_b32_e32 v2, 0
	v_cmp_lt_i64_e32 vcc, s[20:21], v[1:2]
	v_mov_b32_e32 v5, s13
	s_and_b64 s[0:1], vcc, exec
	v_cmp_lt_u64_e32 vcc, s[20:21], v[1:2]
	s_cselect_b32 s23, s21, 0
	s_cselect_b32 s22, s20, 0x10000
	s_waitcnt lgkmcnt(0)
	s_and_b32 s2, s2, 0xffff
	s_and_b64 s[0:1], vcc, exec
	s_cselect_b32 s25, s21, 0
	s_cselect_b32 s24, s20, 0x10000
	s_lshl_b32 s3, s2, 1
	s_mul_i32 s0, s2, 3
	s_lshl_b32 s30, s2, 2
	s_add_u32 s1, s18, s0
	s_addc_u32 s6, s19, 0
	v_mov_b32_e32 v1, s6
	v_add_co_u32_e32 v8, vcc, s1, v0
	v_addc_co_u32_e32 v9, vcc, 0, v1, vcc
	v_mov_b32_e32 v2, s11
	v_add_co_u32_e32 v1, vcc, s10, v8
	v_addc_co_u32_e32 v2, vcc, v2, v9, vcc
	v_add_co_u32_e32 v3, vcc, s12, v8
	v_addc_co_u32_e32 v5, vcc, v5, v9, vcc
	v_mov_b32_e32 v7, s15
	v_add_co_u32_e32 v6, vcc, s14, v8
	v_addc_co_u32_e32 v7, vcc, v7, v9, vcc
	v_mov_b32_e32 v10, s17
	v_add_co_u32_e32 v8, vcc, s16, v8
	s_add_u32 s1, s18, s3
	v_addc_co_u32_e32 v9, vcc, v10, v9, vcc
	s_addc_u32 s6, s19, 0
	v_mov_b32_e32 v10, s6
	v_add_co_u32_e32 v16, vcc, s1, v0
	v_addc_co_u32_e32 v17, vcc, 0, v10, vcc
	v_mov_b32_e32 v11, s11
	v_add_co_u32_e32 v10, vcc, s10, v16
	v_addc_co_u32_e32 v11, vcc, v11, v17, vcc
	;; [unrolled: 3-line block ×10, first 2 shown]
	v_add_co_u32_e32 v32, vcc, s2, v26
	v_addc_co_u32_e32 v33, vcc, 0, v27, vcc
	v_mov_b32_e32 v27, s11
	v_add_co_u32_e32 v26, vcc, s10, v32
	v_addc_co_u32_e32 v27, vcc, v27, v33, vcc
	v_mov_b32_e32 v29, s13
	;; [unrolled: 3-line block ×4, first 2 shown]
	v_add_co_u32_e32 v32, vcc, s16, v32
	v_addc_co_u32_e32 v33, vcc, v34, v33, vcc
	v_add_co_u32_e32 v34, vcc, s0, v0
	v_addc_co_u32_e64 v35, s[0:1], 0, 0, vcc
	v_add_co_u32_e32 v36, vcc, s3, v0
	v_addc_co_u32_e64 v37, s[0:1], 0, 0, vcc
	v_add_co_u32_e32 v38, vcc, s2, v0
	s_mov_b64 s[26:27], 0
	v_addc_co_u32_e64 v39, s[0:1], 0, 0, vcc
	s_branch .LBB88_4
.LBB88_3:                               ;   in Loop: Header=BB88_4 Depth=1
	s_or_b64 exec, exec, s[0:1]
	s_add_u32 s26, s26, s30
	s_waitcnt vmcnt(0)
	v_mov_b32_e32 v41, s23
	s_addc_u32 s27, s27, 0
	v_mov_b32_e32 v40, s22
	v_cmp_lt_i64_e32 vcc, s[26:27], v[40:41]
	s_cbranch_vccz .LBB88_28
.LBB88_4:                               ; =>This Inner Loop Header: Depth=1
	v_mov_b32_e32 v41, s27
	v_add_co_u32_e32 v40, vcc, s26, v0
	v_addc_co_u32_e32 v41, vcc, 0, v41, vcc
	v_cmp_gt_u64_e32 vcc, s[24:25], v[40:41]
	v_mov_b32_e32 v41, 0
	v_mov_b32_e32 v40, 0
	s_and_saveexec_b64 s[2:3], vcc
	s_cbranch_execz .LBB88_6
; %bb.5:                                ;   in Loop: Header=BB88_4 Depth=1
	v_mov_b32_e32 v40, s27
	v_add_co_u32_e64 v42, s[0:1], s26, v18
	v_addc_co_u32_e64 v43, s[0:1], v19, v40, s[0:1]
	v_add_co_u32_e64 v44, s[0:1], s26, v20
	v_addc_co_u32_e64 v45, s[0:1], v21, v40, s[0:1]
	global_load_ubyte v40, v[42:43], off
	global_load_ubyte v41, v[44:45], off
.LBB88_6:                               ;   in Loop: Header=BB88_4 Depth=1
	s_or_b64 exec, exec, s[2:3]
	v_mov_b32_e32 v42, 0
	v_mov_b32_e32 v43, 0
	s_and_saveexec_b64 s[2:3], vcc
	s_cbranch_execz .LBB88_8
; %bb.7:                                ;   in Loop: Header=BB88_4 Depth=1
	v_mov_b32_e32 v44, s27
	v_add_co_u32_e64 v43, s[0:1], s26, v22
	v_addc_co_u32_e64 v44, s[0:1], v23, v44, s[0:1]
	global_load_ubyte v43, v[43:44], off
.LBB88_8:                               ;   in Loop: Header=BB88_4 Depth=1
	s_or_b64 exec, exec, s[2:3]
	v_mov_b32_e32 v45, s27
	v_add_co_u32_e64 v44, s[0:1], s26, v38
	v_addc_co_u32_e64 v45, s[0:1], v39, v45, s[0:1]
	v_cmp_gt_u64_e64 s[0:1], s[24:25], v[44:45]
	v_mov_b32_e32 v44, 0
	s_and_saveexec_b64 s[6:7], s[0:1]
	s_cbranch_execz .LBB88_10
; %bb.9:                                ;   in Loop: Header=BB88_4 Depth=1
	v_mov_b32_e32 v42, s27
	v_add_co_u32_e64 v45, s[2:3], s26, v28
	v_addc_co_u32_e64 v46, s[2:3], v29, v42, s[2:3]
	v_add_co_u32_e64 v47, s[2:3], s26, v26
	v_addc_co_u32_e64 v48, s[2:3], v27, v42, s[2:3]
	global_load_ubyte v44, v[47:48], off
	global_load_ubyte v42, v[45:46], off
.LBB88_10:                              ;   in Loop: Header=BB88_4 Depth=1
	s_or_b64 exec, exec, s[6:7]
	v_mov_b32_e32 v45, 0
	v_mov_b32_e32 v46, 0
	s_and_saveexec_b64 s[6:7], s[0:1]
	s_cbranch_execz .LBB88_12
; %bb.11:                               ;   in Loop: Header=BB88_4 Depth=1
	v_mov_b32_e32 v47, s27
	v_add_co_u32_e64 v46, s[2:3], s26, v30
	v_addc_co_u32_e64 v47, s[2:3], v31, v47, s[2:3]
	global_load_ubyte v46, v[46:47], off
.LBB88_12:                              ;   in Loop: Header=BB88_4 Depth=1
	s_or_b64 exec, exec, s[6:7]
	v_mov_b32_e32 v48, s27
	v_add_co_u32_e64 v47, s[2:3], s26, v36
	v_addc_co_u32_e64 v48, s[2:3], v37, v48, s[2:3]
	v_cmp_gt_u64_e64 s[2:3], s[24:25], v[47:48]
	v_mov_b32_e32 v47, 0
	s_and_saveexec_b64 s[8:9], s[2:3]
	s_cbranch_execz .LBB88_14
; %bb.13:                               ;   in Loop: Header=BB88_4 Depth=1
	v_mov_b32_e32 v45, s27
	v_add_co_u32_e64 v48, s[6:7], s26, v12
	v_addc_co_u32_e64 v49, s[6:7], v13, v45, s[6:7]
	v_add_co_u32_e64 v50, s[6:7], s26, v10
	v_addc_co_u32_e64 v51, s[6:7], v11, v45, s[6:7]
	global_load_ubyte v47, v[50:51], off
	global_load_ubyte v45, v[48:49], off
.LBB88_14:                              ;   in Loop: Header=BB88_4 Depth=1
	s_or_b64 exec, exec, s[8:9]
	v_mov_b32_e32 v48, 0
	v_mov_b32_e32 v49, 0
	s_and_saveexec_b64 s[8:9], s[2:3]
	s_cbranch_execz .LBB88_16
; %bb.15:                               ;   in Loop: Header=BB88_4 Depth=1
	v_mov_b32_e32 v50, s27
	v_add_co_u32_e64 v49, s[6:7], s26, v14
	v_addc_co_u32_e64 v50, s[6:7], v15, v50, s[6:7]
	global_load_ubyte v49, v[49:50], off
.LBB88_16:                              ;   in Loop: Header=BB88_4 Depth=1
	s_or_b64 exec, exec, s[8:9]
	v_mov_b32_e32 v51, s27
	v_add_co_u32_e64 v50, s[6:7], s26, v34
	v_addc_co_u32_e64 v51, s[6:7], v35, v51, s[6:7]
	v_cmp_gt_u64_e64 s[6:7], s[24:25], v[50:51]
	v_mov_b32_e32 v50, 0
	s_and_saveexec_b64 s[28:29], s[6:7]
	s_cbranch_execnz .LBB88_22
; %bb.17:                               ;   in Loop: Header=BB88_4 Depth=1
	s_or_b64 exec, exec, s[28:29]
	v_mov_b32_e32 v51, 0
	s_and_saveexec_b64 s[28:29], s[6:7]
	s_cbranch_execnz .LBB88_23
.LBB88_18:                              ;   in Loop: Header=BB88_4 Depth=1
	s_or_b64 exec, exec, s[28:29]
	s_and_saveexec_b64 s[8:9], vcc
	s_cbranch_execnz .LBB88_24
.LBB88_19:                              ;   in Loop: Header=BB88_4 Depth=1
	s_or_b64 exec, exec, s[8:9]
	s_and_saveexec_b64 s[8:9], s[0:1]
	s_cbranch_execnz .LBB88_25
.LBB88_20:                              ;   in Loop: Header=BB88_4 Depth=1
	s_or_b64 exec, exec, s[8:9]
	s_and_saveexec_b64 s[0:1], s[2:3]
	s_cbranch_execnz .LBB88_26
.LBB88_21:                              ;   in Loop: Header=BB88_4 Depth=1
	s_or_b64 exec, exec, s[0:1]
	s_and_saveexec_b64 s[0:1], s[6:7]
	s_cbranch_execz .LBB88_3
	s_branch .LBB88_27
.LBB88_22:                              ;   in Loop: Header=BB88_4 Depth=1
	v_mov_b32_e32 v48, s27
	v_add_co_u32_e64 v51, s[8:9], s26, v3
	v_addc_co_u32_e64 v52, s[8:9], v5, v48, s[8:9]
	v_add_co_u32_e64 v53, s[8:9], s26, v1
	v_addc_co_u32_e64 v54, s[8:9], v2, v48, s[8:9]
	global_load_ubyte v50, v[53:54], off
	global_load_ubyte v48, v[51:52], off
	s_or_b64 exec, exec, s[28:29]
	v_mov_b32_e32 v51, 0
	s_and_saveexec_b64 s[28:29], s[6:7]
	s_cbranch_execz .LBB88_18
.LBB88_23:                              ;   in Loop: Header=BB88_4 Depth=1
	v_mov_b32_e32 v52, s27
	v_add_co_u32_e64 v51, s[8:9], s26, v6
	v_addc_co_u32_e64 v52, s[8:9], v7, v52, s[8:9]
	global_load_ubyte v51, v[51:52], off
	s_or_b64 exec, exec, s[28:29]
	s_and_saveexec_b64 s[8:9], vcc
	s_cbranch_execz .LBB88_19
.LBB88_24:                              ;   in Loop: Header=BB88_4 Depth=1
	s_waitcnt vmcnt(0)
	v_mul_lo_u16_e32 v41, v41, v4
	v_mad_legacy_u16 v43, v41, v43, v40
	v_mov_b32_e32 v41, s27
	v_add_co_u32_e32 v40, vcc, s26, v24
	v_addc_co_u32_e32 v41, vcc, v25, v41, vcc
	global_store_byte v[40:41], v43, off
	s_or_b64 exec, exec, s[8:9]
	s_and_saveexec_b64 s[8:9], s[0:1]
	s_cbranch_execz .LBB88_20
.LBB88_25:                              ;   in Loop: Header=BB88_4 Depth=1
	s_waitcnt vmcnt(0)
	v_mul_lo_u16_e32 v40, v42, v4
	v_mad_legacy_u16 v42, v40, v46, v44
	v_mov_b32_e32 v41, s27
	v_add_co_u32_e32 v40, vcc, s26, v32
	v_addc_co_u32_e32 v41, vcc, v33, v41, vcc
	global_store_byte v[40:41], v42, off
	s_or_b64 exec, exec, s[8:9]
	s_and_saveexec_b64 s[0:1], s[2:3]
	s_cbranch_execz .LBB88_21
.LBB88_26:                              ;   in Loop: Header=BB88_4 Depth=1
	s_waitcnt vmcnt(0)
	v_mul_lo_u16_e32 v40, v45, v4
	v_mad_legacy_u16 v42, v40, v49, v47
	v_mov_b32_e32 v41, s27
	v_add_co_u32_e32 v40, vcc, s26, v16
	v_addc_co_u32_e32 v41, vcc, v17, v41, vcc
	global_store_byte v[40:41], v42, off
	s_or_b64 exec, exec, s[0:1]
	s_and_saveexec_b64 s[0:1], s[6:7]
	s_cbranch_execz .LBB88_3
.LBB88_27:                              ;   in Loop: Header=BB88_4 Depth=1
	s_waitcnt vmcnt(0)
	v_mul_lo_u16_e32 v40, v48, v4
	v_mad_legacy_u16 v42, v40, v51, v50
	v_mov_b32_e32 v41, s27
	v_add_co_u32_e32 v40, vcc, s26, v8
	v_addc_co_u32_e32 v41, vcc, v9, v41, vcc
	global_store_byte v[40:41], v42, off
	s_branch .LBB88_3
.LBB88_28:
	s_mov_b64 s[0:1], 0
.LBB88_29:
	s_andn2_b64 vcc, exec, s[0:1]
	s_cbranch_vccnz .LBB88_33
; %bb.30:
	v_mov_b32_e32 v1, 0x10000
	v_mov_b32_e32 v2, 0
	v_cmp_lt_i64_e32 vcc, s[20:21], v[1:2]
	v_mov_b32_e32 v3, 0
	s_and_b64 s[0:1], vcc, exec
	s_cselect_b32 s1, s21, 0
	s_cselect_b32 s0, s20, 0x10000
	v_lshlrev_b32_e32 v2, 2, v0
	v_cmp_gt_i64_e32 vcc, s[0:1], v[2:3]
	s_and_saveexec_b64 s[2:3], vcc
	s_cbranch_execz .LBB88_33
; %bb.31:
	s_load_dword s2, s[4:5], 0xc1c
	v_mov_b32_e32 v1, v3
	v_mov_b32_e32 v3, s19
	v_add_co_u32_e32 v2, vcc, s18, v2
	s_waitcnt lgkmcnt(0)
	s_and_b32 s4, s2, 0xffff
	v_addc_co_u32_e32 v3, vcc, 0, v3, vcc
	s_lshl_b32 s5, s4, 2
	s_mov_b64 s[2:3], 0
	v_mov_b32_e32 v5, s11
	v_mov_b32_e32 v6, s13
	;; [unrolled: 1-line block ×3, first 2 shown]
	s_mov_b32 s6, 0x6050400
	v_mov_b32_e32 v8, s17
.LBB88_32:                              ; =>This Inner Loop Header: Depth=1
	v_add_co_u32_e32 v9, vcc, s10, v2
	v_addc_co_u32_e32 v10, vcc, v5, v3, vcc
	v_add_co_u32_e32 v11, vcc, s12, v2
	v_addc_co_u32_e32 v12, vcc, v6, v3, vcc
	;; [unrolled: 2-line block ×3, first 2 shown]
	global_load_dword v15, v[11:12], off
	global_load_dword v16, v[9:10], off
	;; [unrolled: 1-line block ×3, first 2 shown]
	v_add_co_u32_e32 v9, vcc, s16, v2
	v_addc_co_u32_e32 v10, vcc, v8, v3, vcc
	v_add_co_u32_e32 v0, vcc, s4, v0
	v_addc_co_u32_e32 v1, vcc, 0, v1, vcc
	v_add_co_u32_e32 v2, vcc, s5, v2
	v_lshlrev_b64 v[11:12], 2, v[0:1]
	v_addc_co_u32_e32 v3, vcc, 0, v3, vcc
	v_cmp_le_i64_e32 vcc, s[0:1], v[11:12]
	s_or_b64 s[2:3], vcc, s[2:3]
	s_waitcnt vmcnt(2)
	v_lshrrev_b32_e32 v13, 8, v15
	v_mul_lo_u16_e32 v11, v4, v15
	s_waitcnt vmcnt(1)
	v_lshrrev_b32_e32 v12, 8, v16
	s_waitcnt vmcnt(0)
	v_lshrrev_b32_e32 v14, 8, v17
	v_lshrrev_b32_e32 v18, 16, v16
	;; [unrolled: 1-line block ×3, first 2 shown]
	v_mul_lo_u16_sdwa v20, v4, v15 dst_sel:DWORD dst_unused:UNUSED_PAD src0_sel:DWORD src1_sel:WORD_1
	v_mul_lo_u16_e32 v13, v4, v13
	v_lshrrev_b32_e32 v21, 24, v16
	v_lshrrev_b32_e32 v22, 24, v17
	v_mul_lo_u16_sdwa v15, v4, v15 dst_sel:DWORD dst_unused:UNUSED_PAD src0_sel:DWORD src1_sel:BYTE_3
	v_mad_legacy_u16 v11, v11, v17, v16
	v_mad_legacy_u16 v16, v20, v19, v18
	;; [unrolled: 1-line block ×4, first 2 shown]
	v_and_b32_e32 v13, 0xff, v16
	v_and_b32_e32 v12, 0xff, v12
	v_lshlrev_b32_e32 v14, 24, v15
	v_lshlrev_b32_e32 v13, 16, v13
	v_perm_b32 v11, v12, v11, s6
	v_or3_b32 v11, v11, v13, v14
	global_store_dword v[9:10], v11, off
	s_andn2_b64 exec, exec, s[2:3]
	s_cbranch_execnz .LBB88_32
.LBB88_33:
	s_endpgm
	.section	.rodata,"a",@progbits
	.p2align	6, 0x0
	.amdhsa_kernel _ZN2at6native12_GLOBAL__N_125multi_tensor_apply_kernelINS1_28TensorListScalarListMetadataIhLi4EEENS1_28PointwiseOpScalarListFunctorIhLi4ELi3ELi3EEEJSt10multipliesIhEEEEvT_T0_DpT1_
		.amdhsa_group_segment_fixed_size 0
		.amdhsa_private_segment_fixed_size 0
		.amdhsa_kernarg_size 3344
		.amdhsa_user_sgpr_count 6
		.amdhsa_user_sgpr_private_segment_buffer 1
		.amdhsa_user_sgpr_dispatch_ptr 0
		.amdhsa_user_sgpr_queue_ptr 0
		.amdhsa_user_sgpr_kernarg_segment_ptr 1
		.amdhsa_user_sgpr_dispatch_id 0
		.amdhsa_user_sgpr_flat_scratch_init 0
		.amdhsa_user_sgpr_private_segment_size 0
		.amdhsa_uses_dynamic_stack 0
		.amdhsa_system_sgpr_private_segment_wavefront_offset 0
		.amdhsa_system_sgpr_workgroup_id_x 1
		.amdhsa_system_sgpr_workgroup_id_y 0
		.amdhsa_system_sgpr_workgroup_id_z 0
		.amdhsa_system_sgpr_workgroup_info 0
		.amdhsa_system_vgpr_workitem_id 0
		.amdhsa_next_free_vgpr 55
		.amdhsa_next_free_sgpr 31
		.amdhsa_reserve_vcc 1
		.amdhsa_reserve_flat_scratch 0
		.amdhsa_float_round_mode_32 0
		.amdhsa_float_round_mode_16_64 0
		.amdhsa_float_denorm_mode_32 3
		.amdhsa_float_denorm_mode_16_64 3
		.amdhsa_dx10_clamp 1
		.amdhsa_ieee_mode 1
		.amdhsa_fp16_overflow 0
		.amdhsa_exception_fp_ieee_invalid_op 0
		.amdhsa_exception_fp_denorm_src 0
		.amdhsa_exception_fp_ieee_div_zero 0
		.amdhsa_exception_fp_ieee_overflow 0
		.amdhsa_exception_fp_ieee_underflow 0
		.amdhsa_exception_fp_ieee_inexact 0
		.amdhsa_exception_int_div_zero 0
	.end_amdhsa_kernel
	.section	.text._ZN2at6native12_GLOBAL__N_125multi_tensor_apply_kernelINS1_28TensorListScalarListMetadataIhLi4EEENS1_28PointwiseOpScalarListFunctorIhLi4ELi3ELi3EEEJSt10multipliesIhEEEEvT_T0_DpT1_,"axG",@progbits,_ZN2at6native12_GLOBAL__N_125multi_tensor_apply_kernelINS1_28TensorListScalarListMetadataIhLi4EEENS1_28PointwiseOpScalarListFunctorIhLi4ELi3ELi3EEEJSt10multipliesIhEEEEvT_T0_DpT1_,comdat
.Lfunc_end88:
	.size	_ZN2at6native12_GLOBAL__N_125multi_tensor_apply_kernelINS1_28TensorListScalarListMetadataIhLi4EEENS1_28PointwiseOpScalarListFunctorIhLi4ELi3ELi3EEEJSt10multipliesIhEEEEvT_T0_DpT1_, .Lfunc_end88-_ZN2at6native12_GLOBAL__N_125multi_tensor_apply_kernelINS1_28TensorListScalarListMetadataIhLi4EEENS1_28PointwiseOpScalarListFunctorIhLi4ELi3ELi3EEEJSt10multipliesIhEEEEvT_T0_DpT1_
                                        ; -- End function
	.set _ZN2at6native12_GLOBAL__N_125multi_tensor_apply_kernelINS1_28TensorListScalarListMetadataIhLi4EEENS1_28PointwiseOpScalarListFunctorIhLi4ELi3ELi3EEEJSt10multipliesIhEEEEvT_T0_DpT1_.num_vgpr, 55
	.set _ZN2at6native12_GLOBAL__N_125multi_tensor_apply_kernelINS1_28TensorListScalarListMetadataIhLi4EEENS1_28PointwiseOpScalarListFunctorIhLi4ELi3ELi3EEEJSt10multipliesIhEEEEvT_T0_DpT1_.num_agpr, 0
	.set _ZN2at6native12_GLOBAL__N_125multi_tensor_apply_kernelINS1_28TensorListScalarListMetadataIhLi4EEENS1_28PointwiseOpScalarListFunctorIhLi4ELi3ELi3EEEJSt10multipliesIhEEEEvT_T0_DpT1_.numbered_sgpr, 31
	.set _ZN2at6native12_GLOBAL__N_125multi_tensor_apply_kernelINS1_28TensorListScalarListMetadataIhLi4EEENS1_28PointwiseOpScalarListFunctorIhLi4ELi3ELi3EEEJSt10multipliesIhEEEEvT_T0_DpT1_.num_named_barrier, 0
	.set _ZN2at6native12_GLOBAL__N_125multi_tensor_apply_kernelINS1_28TensorListScalarListMetadataIhLi4EEENS1_28PointwiseOpScalarListFunctorIhLi4ELi3ELi3EEEJSt10multipliesIhEEEEvT_T0_DpT1_.private_seg_size, 0
	.set _ZN2at6native12_GLOBAL__N_125multi_tensor_apply_kernelINS1_28TensorListScalarListMetadataIhLi4EEENS1_28PointwiseOpScalarListFunctorIhLi4ELi3ELi3EEEJSt10multipliesIhEEEEvT_T0_DpT1_.uses_vcc, 1
	.set _ZN2at6native12_GLOBAL__N_125multi_tensor_apply_kernelINS1_28TensorListScalarListMetadataIhLi4EEENS1_28PointwiseOpScalarListFunctorIhLi4ELi3ELi3EEEJSt10multipliesIhEEEEvT_T0_DpT1_.uses_flat_scratch, 0
	.set _ZN2at6native12_GLOBAL__N_125multi_tensor_apply_kernelINS1_28TensorListScalarListMetadataIhLi4EEENS1_28PointwiseOpScalarListFunctorIhLi4ELi3ELi3EEEJSt10multipliesIhEEEEvT_T0_DpT1_.has_dyn_sized_stack, 0
	.set _ZN2at6native12_GLOBAL__N_125multi_tensor_apply_kernelINS1_28TensorListScalarListMetadataIhLi4EEENS1_28PointwiseOpScalarListFunctorIhLi4ELi3ELi3EEEJSt10multipliesIhEEEEvT_T0_DpT1_.has_recursion, 0
	.set _ZN2at6native12_GLOBAL__N_125multi_tensor_apply_kernelINS1_28TensorListScalarListMetadataIhLi4EEENS1_28PointwiseOpScalarListFunctorIhLi4ELi3ELi3EEEJSt10multipliesIhEEEEvT_T0_DpT1_.has_indirect_call, 0
	.section	.AMDGPU.csdata,"",@progbits
; Kernel info:
; codeLenInByte = 1852
; TotalNumSgprs: 35
; NumVgprs: 55
; ScratchSize: 0
; MemoryBound: 0
; FloatMode: 240
; IeeeMode: 1
; LDSByteSize: 0 bytes/workgroup (compile time only)
; SGPRBlocks: 4
; VGPRBlocks: 13
; NumSGPRsForWavesPerEU: 35
; NumVGPRsForWavesPerEU: 55
; Occupancy: 4
; WaveLimiterHint : 0
; COMPUTE_PGM_RSRC2:SCRATCH_EN: 0
; COMPUTE_PGM_RSRC2:USER_SGPR: 6
; COMPUTE_PGM_RSRC2:TRAP_HANDLER: 0
; COMPUTE_PGM_RSRC2:TGID_X_EN: 1
; COMPUTE_PGM_RSRC2:TGID_Y_EN: 0
; COMPUTE_PGM_RSRC2:TGID_Z_EN: 0
; COMPUTE_PGM_RSRC2:TIDIG_COMP_CNT: 0
	.section	.text._ZN2at6native12_GLOBAL__N_125multi_tensor_apply_kernelINS1_28TensorListScalarListMetadataIaLi4EEENS1_28PointwiseOpScalarListFunctorIaLi4ELi3ELi3EEEJSt10multipliesIaEEEEvT_T0_DpT1_,"axG",@progbits,_ZN2at6native12_GLOBAL__N_125multi_tensor_apply_kernelINS1_28TensorListScalarListMetadataIaLi4EEENS1_28PointwiseOpScalarListFunctorIaLi4ELi3ELi3EEEJSt10multipliesIaEEEEvT_T0_DpT1_,comdat
	.globl	_ZN2at6native12_GLOBAL__N_125multi_tensor_apply_kernelINS1_28TensorListScalarListMetadataIaLi4EEENS1_28PointwiseOpScalarListFunctorIaLi4ELi3ELi3EEEJSt10multipliesIaEEEEvT_T0_DpT1_ ; -- Begin function _ZN2at6native12_GLOBAL__N_125multi_tensor_apply_kernelINS1_28TensorListScalarListMetadataIaLi4EEENS1_28PointwiseOpScalarListFunctorIaLi4ELi3ELi3EEEJSt10multipliesIaEEEEvT_T0_DpT1_
	.p2align	8
	.type	_ZN2at6native12_GLOBAL__N_125multi_tensor_apply_kernelINS1_28TensorListScalarListMetadataIaLi4EEENS1_28PointwiseOpScalarListFunctorIaLi4ELi3ELi3EEEJSt10multipliesIaEEEEvT_T0_DpT1_,@function
_ZN2at6native12_GLOBAL__N_125multi_tensor_apply_kernelINS1_28TensorListScalarListMetadataIaLi4EEENS1_28PointwiseOpScalarListFunctorIaLi4ELi3ELi3EEEJSt10multipliesIaEEEEvT_T0_DpT1_: ; @_ZN2at6native12_GLOBAL__N_125multi_tensor_apply_kernelINS1_28TensorListScalarListMetadataIaLi4EEENS1_28PointwiseOpScalarListFunctorIaLi4ELi3ELi3EEEJSt10multipliesIaEEEEvT_T0_DpT1_
; %bb.0:
	v_mov_b32_e32 v1, s6
	global_load_ubyte v3, v1, s[4:5] offset:1476
	s_add_u32 s0, s4, s6
	s_addc_u32 s1, s5, 0
	s_mul_hi_u32 s2, s6, 3
	s_mul_i32 s6, s6, 3
	s_add_u32 s0, s0, s6
	s_addc_u32 s1, s1, s2
	v_mov_b32_e32 v2, s5
	s_load_dword s0, s[0:1], 0x704
	s_mov_b32 s3, 0
	s_waitcnt vmcnt(0)
	v_add_co_u32_e32 v1, vcc, s4, v3
	v_addc_co_u32_e32 v2, vcc, 0, v2, vcc
	global_load_ubyte v4, v[1:2], off offset:1440
	v_readfirstlane_b32 s1, v3
	s_lshl_b32 s2, s1, 3
	s_load_dwordx2 s[6:7], s[4:5], s2 offset:0x480
	s_load_dwordx2 s[10:11], s[4:5], s2 offset:0x0
	s_waitcnt lgkmcnt(0)
	s_ashr_i32 s1, s0, 31
	s_load_dwordx2 s[12:13], s[4:5], s2 offset:0x120
	s_load_dwordx2 s[14:15], s[4:5], s2 offset:0x240
	;; [unrolled: 1-line block ×3, first 2 shown]
	s_lshl_b64 s[18:19], s[0:1], 16
	s_add_u32 s0, s10, s18
	s_addc_u32 s1, s11, s19
	s_waitcnt lgkmcnt(0)
	s_add_u32 s2, s12, s18
	s_and_b32 s2, s2, 3
	s_cmp_eq_u64 s[2:3], 0
	s_cselect_b64 s[8:9], -1, 0
	s_add_u32 s2, s14, s18
	s_or_b32 s2, s16, s2
	s_and_b32 s2, s2, 3
	s_cmp_eq_u32 s2, 0
	s_cselect_b64 s[20:21], -1, 0
	s_and_b64 s[8:9], s[20:21], s[8:9]
	s_sub_u32 s20, s6, s18
	s_subb_u32 s21, s7, s19
	s_or_b64 s[0:1], s[6:7], s[0:1]
	s_and_b32 s2, s0, 3
	s_cmp_eq_u64 s[2:3], 0
	s_cselect_b64 s[0:1], -1, 0
	s_and_b64 s[2:3], s[8:9], s[0:1]
	s_mov_b64 s[0:1], -1
	s_and_b64 vcc, exec, s[2:3]
	s_cbranch_vccnz .LBB89_29
; %bb.1:
	v_cmp_lt_i64_e64 s[0:1], s[20:21], 1
	s_and_b64 vcc, exec, s[0:1]
	s_cbranch_vccnz .LBB89_28
; %bb.2:
	v_mov_b32_e32 v1, 0x10000
	s_load_dword s2, s[4:5], 0xc1c
	v_mov_b32_e32 v2, 0
	v_cmp_lt_i64_e32 vcc, s[20:21], v[1:2]
	v_mov_b32_e32 v5, s13
	s_and_b64 s[0:1], vcc, exec
	v_cmp_lt_u64_e32 vcc, s[20:21], v[1:2]
	s_cselect_b32 s23, s21, 0
	s_cselect_b32 s22, s20, 0x10000
	s_waitcnt lgkmcnt(0)
	s_and_b32 s2, s2, 0xffff
	s_and_b64 s[0:1], vcc, exec
	s_cselect_b32 s25, s21, 0
	s_cselect_b32 s24, s20, 0x10000
	s_lshl_b32 s3, s2, 1
	s_mul_i32 s0, s2, 3
	s_lshl_b32 s30, s2, 2
	s_add_u32 s1, s18, s0
	s_addc_u32 s6, s19, 0
	v_mov_b32_e32 v1, s6
	v_add_co_u32_e32 v8, vcc, s1, v0
	v_addc_co_u32_e32 v9, vcc, 0, v1, vcc
	v_mov_b32_e32 v2, s11
	v_add_co_u32_e32 v1, vcc, s10, v8
	v_addc_co_u32_e32 v2, vcc, v2, v9, vcc
	v_add_co_u32_e32 v3, vcc, s12, v8
	v_addc_co_u32_e32 v5, vcc, v5, v9, vcc
	v_mov_b32_e32 v7, s15
	v_add_co_u32_e32 v6, vcc, s14, v8
	v_addc_co_u32_e32 v7, vcc, v7, v9, vcc
	v_mov_b32_e32 v10, s17
	v_add_co_u32_e32 v8, vcc, s16, v8
	s_add_u32 s1, s18, s3
	v_addc_co_u32_e32 v9, vcc, v10, v9, vcc
	s_addc_u32 s6, s19, 0
	v_mov_b32_e32 v10, s6
	v_add_co_u32_e32 v16, vcc, s1, v0
	v_addc_co_u32_e32 v17, vcc, 0, v10, vcc
	v_mov_b32_e32 v11, s11
	v_add_co_u32_e32 v10, vcc, s10, v16
	v_addc_co_u32_e32 v11, vcc, v11, v17, vcc
	;; [unrolled: 3-line block ×10, first 2 shown]
	v_add_co_u32_e32 v32, vcc, s2, v26
	v_addc_co_u32_e32 v33, vcc, 0, v27, vcc
	v_mov_b32_e32 v27, s11
	v_add_co_u32_e32 v26, vcc, s10, v32
	v_addc_co_u32_e32 v27, vcc, v27, v33, vcc
	v_mov_b32_e32 v29, s13
	;; [unrolled: 3-line block ×4, first 2 shown]
	v_add_co_u32_e32 v32, vcc, s16, v32
	v_addc_co_u32_e32 v33, vcc, v34, v33, vcc
	v_add_co_u32_e32 v34, vcc, s0, v0
	v_addc_co_u32_e64 v35, s[0:1], 0, 0, vcc
	v_add_co_u32_e32 v36, vcc, s3, v0
	v_addc_co_u32_e64 v37, s[0:1], 0, 0, vcc
	v_add_co_u32_e32 v38, vcc, s2, v0
	s_mov_b64 s[26:27], 0
	v_addc_co_u32_e64 v39, s[0:1], 0, 0, vcc
	s_branch .LBB89_4
.LBB89_3:                               ;   in Loop: Header=BB89_4 Depth=1
	s_or_b64 exec, exec, s[0:1]
	s_add_u32 s26, s26, s30
	s_waitcnt vmcnt(0)
	v_mov_b32_e32 v41, s23
	s_addc_u32 s27, s27, 0
	v_mov_b32_e32 v40, s22
	v_cmp_lt_i64_e32 vcc, s[26:27], v[40:41]
	s_cbranch_vccz .LBB89_28
.LBB89_4:                               ; =>This Inner Loop Header: Depth=1
	v_mov_b32_e32 v41, s27
	v_add_co_u32_e32 v40, vcc, s26, v0
	v_addc_co_u32_e32 v41, vcc, 0, v41, vcc
	v_cmp_gt_u64_e32 vcc, s[24:25], v[40:41]
	v_mov_b32_e32 v41, 0
	v_mov_b32_e32 v40, 0
	s_and_saveexec_b64 s[2:3], vcc
	s_cbranch_execz .LBB89_6
; %bb.5:                                ;   in Loop: Header=BB89_4 Depth=1
	v_mov_b32_e32 v40, s27
	v_add_co_u32_e64 v42, s[0:1], s26, v18
	v_addc_co_u32_e64 v43, s[0:1], v19, v40, s[0:1]
	v_add_co_u32_e64 v44, s[0:1], s26, v20
	v_addc_co_u32_e64 v45, s[0:1], v21, v40, s[0:1]
	global_load_ubyte v40, v[42:43], off
	global_load_ubyte v41, v[44:45], off
.LBB89_6:                               ;   in Loop: Header=BB89_4 Depth=1
	s_or_b64 exec, exec, s[2:3]
	v_mov_b32_e32 v42, 0
	v_mov_b32_e32 v43, 0
	s_and_saveexec_b64 s[2:3], vcc
	s_cbranch_execz .LBB89_8
; %bb.7:                                ;   in Loop: Header=BB89_4 Depth=1
	v_mov_b32_e32 v44, s27
	v_add_co_u32_e64 v43, s[0:1], s26, v22
	v_addc_co_u32_e64 v44, s[0:1], v23, v44, s[0:1]
	global_load_ubyte v43, v[43:44], off
.LBB89_8:                               ;   in Loop: Header=BB89_4 Depth=1
	s_or_b64 exec, exec, s[2:3]
	v_mov_b32_e32 v45, s27
	v_add_co_u32_e64 v44, s[0:1], s26, v38
	v_addc_co_u32_e64 v45, s[0:1], v39, v45, s[0:1]
	v_cmp_gt_u64_e64 s[0:1], s[24:25], v[44:45]
	v_mov_b32_e32 v44, 0
	s_and_saveexec_b64 s[6:7], s[0:1]
	s_cbranch_execz .LBB89_10
; %bb.9:                                ;   in Loop: Header=BB89_4 Depth=1
	v_mov_b32_e32 v42, s27
	v_add_co_u32_e64 v45, s[2:3], s26, v28
	v_addc_co_u32_e64 v46, s[2:3], v29, v42, s[2:3]
	v_add_co_u32_e64 v47, s[2:3], s26, v26
	v_addc_co_u32_e64 v48, s[2:3], v27, v42, s[2:3]
	global_load_ubyte v44, v[47:48], off
	global_load_ubyte v42, v[45:46], off
.LBB89_10:                              ;   in Loop: Header=BB89_4 Depth=1
	s_or_b64 exec, exec, s[6:7]
	v_mov_b32_e32 v45, 0
	v_mov_b32_e32 v46, 0
	s_and_saveexec_b64 s[6:7], s[0:1]
	s_cbranch_execz .LBB89_12
; %bb.11:                               ;   in Loop: Header=BB89_4 Depth=1
	v_mov_b32_e32 v47, s27
	v_add_co_u32_e64 v46, s[2:3], s26, v30
	v_addc_co_u32_e64 v47, s[2:3], v31, v47, s[2:3]
	global_load_ubyte v46, v[46:47], off
.LBB89_12:                              ;   in Loop: Header=BB89_4 Depth=1
	s_or_b64 exec, exec, s[6:7]
	v_mov_b32_e32 v48, s27
	v_add_co_u32_e64 v47, s[2:3], s26, v36
	v_addc_co_u32_e64 v48, s[2:3], v37, v48, s[2:3]
	v_cmp_gt_u64_e64 s[2:3], s[24:25], v[47:48]
	v_mov_b32_e32 v47, 0
	s_and_saveexec_b64 s[8:9], s[2:3]
	s_cbranch_execz .LBB89_14
; %bb.13:                               ;   in Loop: Header=BB89_4 Depth=1
	v_mov_b32_e32 v45, s27
	v_add_co_u32_e64 v48, s[6:7], s26, v12
	v_addc_co_u32_e64 v49, s[6:7], v13, v45, s[6:7]
	v_add_co_u32_e64 v50, s[6:7], s26, v10
	v_addc_co_u32_e64 v51, s[6:7], v11, v45, s[6:7]
	global_load_ubyte v47, v[50:51], off
	global_load_ubyte v45, v[48:49], off
.LBB89_14:                              ;   in Loop: Header=BB89_4 Depth=1
	s_or_b64 exec, exec, s[8:9]
	v_mov_b32_e32 v48, 0
	v_mov_b32_e32 v49, 0
	s_and_saveexec_b64 s[8:9], s[2:3]
	s_cbranch_execz .LBB89_16
; %bb.15:                               ;   in Loop: Header=BB89_4 Depth=1
	v_mov_b32_e32 v50, s27
	v_add_co_u32_e64 v49, s[6:7], s26, v14
	v_addc_co_u32_e64 v50, s[6:7], v15, v50, s[6:7]
	global_load_ubyte v49, v[49:50], off
.LBB89_16:                              ;   in Loop: Header=BB89_4 Depth=1
	s_or_b64 exec, exec, s[8:9]
	v_mov_b32_e32 v51, s27
	v_add_co_u32_e64 v50, s[6:7], s26, v34
	v_addc_co_u32_e64 v51, s[6:7], v35, v51, s[6:7]
	v_cmp_gt_u64_e64 s[6:7], s[24:25], v[50:51]
	v_mov_b32_e32 v50, 0
	s_and_saveexec_b64 s[28:29], s[6:7]
	s_cbranch_execnz .LBB89_22
; %bb.17:                               ;   in Loop: Header=BB89_4 Depth=1
	s_or_b64 exec, exec, s[28:29]
	v_mov_b32_e32 v51, 0
	s_and_saveexec_b64 s[28:29], s[6:7]
	s_cbranch_execnz .LBB89_23
.LBB89_18:                              ;   in Loop: Header=BB89_4 Depth=1
	s_or_b64 exec, exec, s[28:29]
	s_and_saveexec_b64 s[8:9], vcc
	s_cbranch_execnz .LBB89_24
.LBB89_19:                              ;   in Loop: Header=BB89_4 Depth=1
	s_or_b64 exec, exec, s[8:9]
	s_and_saveexec_b64 s[8:9], s[0:1]
	s_cbranch_execnz .LBB89_25
.LBB89_20:                              ;   in Loop: Header=BB89_4 Depth=1
	s_or_b64 exec, exec, s[8:9]
	s_and_saveexec_b64 s[0:1], s[2:3]
	s_cbranch_execnz .LBB89_26
.LBB89_21:                              ;   in Loop: Header=BB89_4 Depth=1
	s_or_b64 exec, exec, s[0:1]
	s_and_saveexec_b64 s[0:1], s[6:7]
	s_cbranch_execz .LBB89_3
	s_branch .LBB89_27
.LBB89_22:                              ;   in Loop: Header=BB89_4 Depth=1
	v_mov_b32_e32 v48, s27
	v_add_co_u32_e64 v51, s[8:9], s26, v3
	v_addc_co_u32_e64 v52, s[8:9], v5, v48, s[8:9]
	v_add_co_u32_e64 v53, s[8:9], s26, v1
	v_addc_co_u32_e64 v54, s[8:9], v2, v48, s[8:9]
	global_load_ubyte v50, v[53:54], off
	global_load_ubyte v48, v[51:52], off
	s_or_b64 exec, exec, s[28:29]
	v_mov_b32_e32 v51, 0
	s_and_saveexec_b64 s[28:29], s[6:7]
	s_cbranch_execz .LBB89_18
.LBB89_23:                              ;   in Loop: Header=BB89_4 Depth=1
	v_mov_b32_e32 v52, s27
	v_add_co_u32_e64 v51, s[8:9], s26, v6
	v_addc_co_u32_e64 v52, s[8:9], v7, v52, s[8:9]
	global_load_ubyte v51, v[51:52], off
	s_or_b64 exec, exec, s[28:29]
	s_and_saveexec_b64 s[8:9], vcc
	s_cbranch_execz .LBB89_19
.LBB89_24:                              ;   in Loop: Header=BB89_4 Depth=1
	s_waitcnt vmcnt(0)
	v_mul_lo_u16_e32 v41, v41, v4
	v_mad_legacy_u16 v43, v41, v43, v40
	v_mov_b32_e32 v41, s27
	v_add_co_u32_e32 v40, vcc, s26, v24
	v_addc_co_u32_e32 v41, vcc, v25, v41, vcc
	global_store_byte v[40:41], v43, off
	s_or_b64 exec, exec, s[8:9]
	s_and_saveexec_b64 s[8:9], s[0:1]
	s_cbranch_execz .LBB89_20
.LBB89_25:                              ;   in Loop: Header=BB89_4 Depth=1
	s_waitcnt vmcnt(0)
	v_mul_lo_u16_e32 v40, v42, v4
	v_mad_legacy_u16 v42, v40, v46, v44
	v_mov_b32_e32 v41, s27
	v_add_co_u32_e32 v40, vcc, s26, v32
	v_addc_co_u32_e32 v41, vcc, v33, v41, vcc
	global_store_byte v[40:41], v42, off
	s_or_b64 exec, exec, s[8:9]
	s_and_saveexec_b64 s[0:1], s[2:3]
	s_cbranch_execz .LBB89_21
.LBB89_26:                              ;   in Loop: Header=BB89_4 Depth=1
	s_waitcnt vmcnt(0)
	v_mul_lo_u16_e32 v40, v45, v4
	v_mad_legacy_u16 v42, v40, v49, v47
	v_mov_b32_e32 v41, s27
	v_add_co_u32_e32 v40, vcc, s26, v16
	v_addc_co_u32_e32 v41, vcc, v17, v41, vcc
	global_store_byte v[40:41], v42, off
	s_or_b64 exec, exec, s[0:1]
	s_and_saveexec_b64 s[0:1], s[6:7]
	s_cbranch_execz .LBB89_3
.LBB89_27:                              ;   in Loop: Header=BB89_4 Depth=1
	s_waitcnt vmcnt(0)
	v_mul_lo_u16_e32 v40, v48, v4
	v_mad_legacy_u16 v42, v40, v51, v50
	v_mov_b32_e32 v41, s27
	v_add_co_u32_e32 v40, vcc, s26, v8
	v_addc_co_u32_e32 v41, vcc, v9, v41, vcc
	global_store_byte v[40:41], v42, off
	s_branch .LBB89_3
.LBB89_28:
	s_mov_b64 s[0:1], 0
.LBB89_29:
	s_andn2_b64 vcc, exec, s[0:1]
	s_cbranch_vccnz .LBB89_33
; %bb.30:
	v_mov_b32_e32 v1, 0x10000
	v_mov_b32_e32 v2, 0
	v_cmp_lt_i64_e32 vcc, s[20:21], v[1:2]
	v_mov_b32_e32 v3, 0
	s_and_b64 s[0:1], vcc, exec
	s_cselect_b32 s1, s21, 0
	s_cselect_b32 s0, s20, 0x10000
	v_lshlrev_b32_e32 v2, 2, v0
	v_cmp_gt_i64_e32 vcc, s[0:1], v[2:3]
	s_and_saveexec_b64 s[2:3], vcc
	s_cbranch_execz .LBB89_33
; %bb.31:
	s_load_dword s2, s[4:5], 0xc1c
	v_mov_b32_e32 v1, v3
	v_mov_b32_e32 v3, s19
	v_add_co_u32_e32 v2, vcc, s18, v2
	s_waitcnt lgkmcnt(0)
	s_and_b32 s4, s2, 0xffff
	v_addc_co_u32_e32 v3, vcc, 0, v3, vcc
	s_lshl_b32 s5, s4, 2
	s_mov_b64 s[2:3], 0
	v_mov_b32_e32 v5, s11
	v_mov_b32_e32 v6, s13
	;; [unrolled: 1-line block ×3, first 2 shown]
	s_mov_b32 s6, 0x6050400
	v_mov_b32_e32 v8, s17
.LBB89_32:                              ; =>This Inner Loop Header: Depth=1
	v_add_co_u32_e32 v9, vcc, s10, v2
	v_addc_co_u32_e32 v10, vcc, v5, v3, vcc
	v_add_co_u32_e32 v11, vcc, s12, v2
	v_addc_co_u32_e32 v12, vcc, v6, v3, vcc
	;; [unrolled: 2-line block ×3, first 2 shown]
	global_load_dword v15, v[11:12], off
	global_load_dword v16, v[9:10], off
	;; [unrolled: 1-line block ×3, first 2 shown]
	v_add_co_u32_e32 v9, vcc, s16, v2
	v_addc_co_u32_e32 v10, vcc, v8, v3, vcc
	v_add_co_u32_e32 v0, vcc, s4, v0
	v_addc_co_u32_e32 v1, vcc, 0, v1, vcc
	v_add_co_u32_e32 v2, vcc, s5, v2
	v_lshlrev_b64 v[11:12], 2, v[0:1]
	v_addc_co_u32_e32 v3, vcc, 0, v3, vcc
	v_cmp_le_i64_e32 vcc, s[0:1], v[11:12]
	s_or_b64 s[2:3], vcc, s[2:3]
	s_waitcnt vmcnt(2)
	v_lshrrev_b32_e32 v13, 8, v15
	v_mul_lo_u16_e32 v11, v4, v15
	s_waitcnt vmcnt(1)
	v_lshrrev_b32_e32 v12, 8, v16
	s_waitcnt vmcnt(0)
	v_lshrrev_b32_e32 v14, 8, v17
	v_lshrrev_b32_e32 v18, 16, v16
	;; [unrolled: 1-line block ×3, first 2 shown]
	v_mul_lo_u16_sdwa v20, v4, v15 dst_sel:DWORD dst_unused:UNUSED_PAD src0_sel:DWORD src1_sel:WORD_1
	v_mul_lo_u16_e32 v13, v4, v13
	v_lshrrev_b32_e32 v21, 24, v16
	v_lshrrev_b32_e32 v22, 24, v17
	v_mul_lo_u16_sdwa v15, v4, v15 dst_sel:DWORD dst_unused:UNUSED_PAD src0_sel:DWORD src1_sel:BYTE_3
	v_mad_legacy_u16 v11, v11, v17, v16
	v_mad_legacy_u16 v16, v20, v19, v18
	;; [unrolled: 1-line block ×4, first 2 shown]
	v_and_b32_e32 v13, 0xff, v16
	v_and_b32_e32 v12, 0xff, v12
	v_lshlrev_b32_e32 v14, 24, v15
	v_lshlrev_b32_e32 v13, 16, v13
	v_perm_b32 v11, v12, v11, s6
	v_or3_b32 v11, v11, v13, v14
	global_store_dword v[9:10], v11, off
	s_andn2_b64 exec, exec, s[2:3]
	s_cbranch_execnz .LBB89_32
.LBB89_33:
	s_endpgm
	.section	.rodata,"a",@progbits
	.p2align	6, 0x0
	.amdhsa_kernel _ZN2at6native12_GLOBAL__N_125multi_tensor_apply_kernelINS1_28TensorListScalarListMetadataIaLi4EEENS1_28PointwiseOpScalarListFunctorIaLi4ELi3ELi3EEEJSt10multipliesIaEEEEvT_T0_DpT1_
		.amdhsa_group_segment_fixed_size 0
		.amdhsa_private_segment_fixed_size 0
		.amdhsa_kernarg_size 3344
		.amdhsa_user_sgpr_count 6
		.amdhsa_user_sgpr_private_segment_buffer 1
		.amdhsa_user_sgpr_dispatch_ptr 0
		.amdhsa_user_sgpr_queue_ptr 0
		.amdhsa_user_sgpr_kernarg_segment_ptr 1
		.amdhsa_user_sgpr_dispatch_id 0
		.amdhsa_user_sgpr_flat_scratch_init 0
		.amdhsa_user_sgpr_private_segment_size 0
		.amdhsa_uses_dynamic_stack 0
		.amdhsa_system_sgpr_private_segment_wavefront_offset 0
		.amdhsa_system_sgpr_workgroup_id_x 1
		.amdhsa_system_sgpr_workgroup_id_y 0
		.amdhsa_system_sgpr_workgroup_id_z 0
		.amdhsa_system_sgpr_workgroup_info 0
		.amdhsa_system_vgpr_workitem_id 0
		.amdhsa_next_free_vgpr 55
		.amdhsa_next_free_sgpr 31
		.amdhsa_reserve_vcc 1
		.amdhsa_reserve_flat_scratch 0
		.amdhsa_float_round_mode_32 0
		.amdhsa_float_round_mode_16_64 0
		.amdhsa_float_denorm_mode_32 3
		.amdhsa_float_denorm_mode_16_64 3
		.amdhsa_dx10_clamp 1
		.amdhsa_ieee_mode 1
		.amdhsa_fp16_overflow 0
		.amdhsa_exception_fp_ieee_invalid_op 0
		.amdhsa_exception_fp_denorm_src 0
		.amdhsa_exception_fp_ieee_div_zero 0
		.amdhsa_exception_fp_ieee_overflow 0
		.amdhsa_exception_fp_ieee_underflow 0
		.amdhsa_exception_fp_ieee_inexact 0
		.amdhsa_exception_int_div_zero 0
	.end_amdhsa_kernel
	.section	.text._ZN2at6native12_GLOBAL__N_125multi_tensor_apply_kernelINS1_28TensorListScalarListMetadataIaLi4EEENS1_28PointwiseOpScalarListFunctorIaLi4ELi3ELi3EEEJSt10multipliesIaEEEEvT_T0_DpT1_,"axG",@progbits,_ZN2at6native12_GLOBAL__N_125multi_tensor_apply_kernelINS1_28TensorListScalarListMetadataIaLi4EEENS1_28PointwiseOpScalarListFunctorIaLi4ELi3ELi3EEEJSt10multipliesIaEEEEvT_T0_DpT1_,comdat
.Lfunc_end89:
	.size	_ZN2at6native12_GLOBAL__N_125multi_tensor_apply_kernelINS1_28TensorListScalarListMetadataIaLi4EEENS1_28PointwiseOpScalarListFunctorIaLi4ELi3ELi3EEEJSt10multipliesIaEEEEvT_T0_DpT1_, .Lfunc_end89-_ZN2at6native12_GLOBAL__N_125multi_tensor_apply_kernelINS1_28TensorListScalarListMetadataIaLi4EEENS1_28PointwiseOpScalarListFunctorIaLi4ELi3ELi3EEEJSt10multipliesIaEEEEvT_T0_DpT1_
                                        ; -- End function
	.set _ZN2at6native12_GLOBAL__N_125multi_tensor_apply_kernelINS1_28TensorListScalarListMetadataIaLi4EEENS1_28PointwiseOpScalarListFunctorIaLi4ELi3ELi3EEEJSt10multipliesIaEEEEvT_T0_DpT1_.num_vgpr, 55
	.set _ZN2at6native12_GLOBAL__N_125multi_tensor_apply_kernelINS1_28TensorListScalarListMetadataIaLi4EEENS1_28PointwiseOpScalarListFunctorIaLi4ELi3ELi3EEEJSt10multipliesIaEEEEvT_T0_DpT1_.num_agpr, 0
	.set _ZN2at6native12_GLOBAL__N_125multi_tensor_apply_kernelINS1_28TensorListScalarListMetadataIaLi4EEENS1_28PointwiseOpScalarListFunctorIaLi4ELi3ELi3EEEJSt10multipliesIaEEEEvT_T0_DpT1_.numbered_sgpr, 31
	.set _ZN2at6native12_GLOBAL__N_125multi_tensor_apply_kernelINS1_28TensorListScalarListMetadataIaLi4EEENS1_28PointwiseOpScalarListFunctorIaLi4ELi3ELi3EEEJSt10multipliesIaEEEEvT_T0_DpT1_.num_named_barrier, 0
	.set _ZN2at6native12_GLOBAL__N_125multi_tensor_apply_kernelINS1_28TensorListScalarListMetadataIaLi4EEENS1_28PointwiseOpScalarListFunctorIaLi4ELi3ELi3EEEJSt10multipliesIaEEEEvT_T0_DpT1_.private_seg_size, 0
	.set _ZN2at6native12_GLOBAL__N_125multi_tensor_apply_kernelINS1_28TensorListScalarListMetadataIaLi4EEENS1_28PointwiseOpScalarListFunctorIaLi4ELi3ELi3EEEJSt10multipliesIaEEEEvT_T0_DpT1_.uses_vcc, 1
	.set _ZN2at6native12_GLOBAL__N_125multi_tensor_apply_kernelINS1_28TensorListScalarListMetadataIaLi4EEENS1_28PointwiseOpScalarListFunctorIaLi4ELi3ELi3EEEJSt10multipliesIaEEEEvT_T0_DpT1_.uses_flat_scratch, 0
	.set _ZN2at6native12_GLOBAL__N_125multi_tensor_apply_kernelINS1_28TensorListScalarListMetadataIaLi4EEENS1_28PointwiseOpScalarListFunctorIaLi4ELi3ELi3EEEJSt10multipliesIaEEEEvT_T0_DpT1_.has_dyn_sized_stack, 0
	.set _ZN2at6native12_GLOBAL__N_125multi_tensor_apply_kernelINS1_28TensorListScalarListMetadataIaLi4EEENS1_28PointwiseOpScalarListFunctorIaLi4ELi3ELi3EEEJSt10multipliesIaEEEEvT_T0_DpT1_.has_recursion, 0
	.set _ZN2at6native12_GLOBAL__N_125multi_tensor_apply_kernelINS1_28TensorListScalarListMetadataIaLi4EEENS1_28PointwiseOpScalarListFunctorIaLi4ELi3ELi3EEEJSt10multipliesIaEEEEvT_T0_DpT1_.has_indirect_call, 0
	.section	.AMDGPU.csdata,"",@progbits
; Kernel info:
; codeLenInByte = 1852
; TotalNumSgprs: 35
; NumVgprs: 55
; ScratchSize: 0
; MemoryBound: 0
; FloatMode: 240
; IeeeMode: 1
; LDSByteSize: 0 bytes/workgroup (compile time only)
; SGPRBlocks: 4
; VGPRBlocks: 13
; NumSGPRsForWavesPerEU: 35
; NumVGPRsForWavesPerEU: 55
; Occupancy: 4
; WaveLimiterHint : 0
; COMPUTE_PGM_RSRC2:SCRATCH_EN: 0
; COMPUTE_PGM_RSRC2:USER_SGPR: 6
; COMPUTE_PGM_RSRC2:TRAP_HANDLER: 0
; COMPUTE_PGM_RSRC2:TGID_X_EN: 1
; COMPUTE_PGM_RSRC2:TGID_Y_EN: 0
; COMPUTE_PGM_RSRC2:TGID_Z_EN: 0
; COMPUTE_PGM_RSRC2:TIDIG_COMP_CNT: 0
	.section	.text._ZN2at6native12_GLOBAL__N_125multi_tensor_apply_kernelINS1_28TensorListScalarListMetadataIiLi4EEENS1_28PointwiseOpScalarListFunctorIiLi4ELi3ELi3EEEJSt10multipliesIiEEEEvT_T0_DpT1_,"axG",@progbits,_ZN2at6native12_GLOBAL__N_125multi_tensor_apply_kernelINS1_28TensorListScalarListMetadataIiLi4EEENS1_28PointwiseOpScalarListFunctorIiLi4ELi3ELi3EEEJSt10multipliesIiEEEEvT_T0_DpT1_,comdat
	.globl	_ZN2at6native12_GLOBAL__N_125multi_tensor_apply_kernelINS1_28TensorListScalarListMetadataIiLi4EEENS1_28PointwiseOpScalarListFunctorIiLi4ELi3ELi3EEEJSt10multipliesIiEEEEvT_T0_DpT1_ ; -- Begin function _ZN2at6native12_GLOBAL__N_125multi_tensor_apply_kernelINS1_28TensorListScalarListMetadataIiLi4EEENS1_28PointwiseOpScalarListFunctorIiLi4ELi3ELi3EEEJSt10multipliesIiEEEEvT_T0_DpT1_
	.p2align	8
	.type	_ZN2at6native12_GLOBAL__N_125multi_tensor_apply_kernelINS1_28TensorListScalarListMetadataIiLi4EEENS1_28PointwiseOpScalarListFunctorIiLi4ELi3ELi3EEEJSt10multipliesIiEEEEvT_T0_DpT1_,@function
_ZN2at6native12_GLOBAL__N_125multi_tensor_apply_kernelINS1_28TensorListScalarListMetadataIiLi4EEENS1_28PointwiseOpScalarListFunctorIiLi4ELi3ELi3EEEJSt10multipliesIiEEEEvT_T0_DpT1_: ; @_ZN2at6native12_GLOBAL__N_125multi_tensor_apply_kernelINS1_28TensorListScalarListMetadataIiLi4EEENS1_28PointwiseOpScalarListFunctorIiLi4ELi3ELi3EEEJSt10multipliesIiEEEEvT_T0_DpT1_
; %bb.0:
	v_mov_b32_e32 v1, s6
	global_load_ubyte v1, v1, s[4:5] offset:1584
	s_add_u32 s0, s4, s6
	s_mul_i32 s1, s6, 3
	s_addc_u32 s2, s5, 0
	s_mul_hi_u32 s3, s6, 3
	s_add_u32 s0, s0, s1
	s_addc_u32 s1, s2, s3
	s_load_dword s12, s[0:1], 0x770
	s_mov_b32 s15, 0
	s_mov_b32 s17, s15
	;; [unrolled: 1-line block ×3, first 2 shown]
	s_waitcnt lgkmcnt(0)
	s_ashr_i32 s13, s12, 31
	s_waitcnt vmcnt(0)
	v_readfirstlane_b32 s0, v1
	v_lshlrev_b32_e32 v1, 2, v1
	s_lshl_b32 s10, s0, 3
	v_sub_co_u32_e32 v1, vcc, 0, v1
	v_subb_co_u32_e64 v2, s[0:1], 0, 0, vcc
	s_add_u32 s14, s4, s10
	s_load_dwordx2 s[20:21], s[4:5], s10 offset:0x480
	s_load_dwordx2 s[8:9], s[4:5], s10 offset:0x0
	;; [unrolled: 1-line block ×5, first 2 shown]
	s_addc_u32 s16, s5, 0
	s_lshl_b64 s[10:11], s[12:13], 18
	v_mov_b32_e32 v3, s16
	v_add_co_u32_e32 v1, vcc, s14, v1
	v_addc_co_u32_e32 v2, vcc, v3, v2, vcc
	s_waitcnt lgkmcnt(0)
	s_add_u32 s22, s8, s10
	v_readfirstlane_b32 s24, v1
	v_readfirstlane_b32 s25, v2
	s_addc_u32 s23, s9, s11
	s_and_b32 s14, s22, 15
	s_load_dword s24, s[24:25], 0x5a0
	s_add_u32 s25, s6, s10
	s_addc_u32 s26, s7, s11
	s_and_b32 s16, s25, 15
	s_cmp_eq_u64 s[16:17], 0
	s_cselect_b64 s[16:17], -1, 0
	s_add_u32 s27, s2, s10
	s_addc_u32 s28, s3, s11
	s_add_u32 s29, s0, s10
	s_addc_u32 s30, s1, s11
	s_or_b32 s18, s29, s27
	s_and_b32 s18, s18, 15
	s_cmp_eq_u32 s18, 0
	s_cselect_b64 s[34:35], -1, 0
	s_lshl_b64 s[12:13], s[12:13], 16
	s_and_b64 s[16:17], s[34:35], s[16:17]
	s_sub_u32 s12, s20, s12
	s_subb_u32 s13, s21, s13
	s_and_b32 s18, s20, 3
	s_or_b64 s[14:15], s[14:15], s[18:19]
	s_cmp_eq_u64 s[14:15], 0
	s_cselect_b64 s[14:15], -1, 0
	s_and_b64 s[16:17], s[16:17], s[14:15]
	s_mov_b64 s[14:15], -1
	s_and_b64 vcc, exec, s[16:17]
	s_cbranch_vccnz .LBB90_29
; %bb.1:
	v_cmp_lt_i64_e64 s[14:15], s[12:13], 1
	s_and_b64 vcc, exec, s[14:15]
	s_cbranch_vccnz .LBB90_28
; %bb.2:
	v_mov_b32_e32 v1, 0x10000
	s_load_dword s16, s[4:5], 0xc84
	v_mov_b32_e32 v2, 0
	v_cmp_lt_i64_e32 vcc, s[12:13], v[1:2]
	v_mov_b32_e32 v3, 0
	s_and_b64 s[14:15], vcc, exec
	s_cselect_b32 s15, s13, 0
	s_cselect_b32 s14, s12, 0x10000
	v_cmp_lt_u64_e32 vcc, s[12:13], v[1:2]
	s_waitcnt lgkmcnt(0)
	s_and_b32 s20, s16, 0xffff
	v_lshlrev_b32_e32 v2, 2, v0
	v_mad_u64_u32 v[3:4], s[18:19], s20, 12, v[2:3]
	s_and_b64 s[16:17], vcc, exec
	v_mov_b32_e32 v6, s9
	v_add_co_u32_e32 v5, vcc, s8, v3
	v_addc_co_u32_e32 v6, vcc, v6, v4, vcc
	v_mov_b32_e32 v8, s7
	v_add_co_u32_e32 v7, vcc, s6, v3
	v_addc_co_u32_e32 v8, vcc, v8, v4, vcc
	;; [unrolled: 3-line block ×3, first 2 shown]
	v_mov_b32_e32 v12, s1
	v_add_co_u32_e32 v11, vcc, s0, v3
	s_cselect_b32 s17, s13, 0
	s_cselect_b32 s16, s12, 0x10000
	v_addc_co_u32_e32 v12, vcc, v12, v4, vcc
	s_lshl_b32 s18, s20, 3
	v_add_co_u32_e32 v4, vcc, s18, v2
	v_addc_co_u32_e64 v20, s[18:19], 0, 0, vcc
	v_mov_b32_e32 v14, s9
	v_add_co_u32_e32 v13, vcc, s8, v4
	v_addc_co_u32_e32 v14, vcc, v14, v20, vcc
	v_mov_b32_e32 v16, s7
	v_add_co_u32_e32 v15, vcc, s6, v4
	v_addc_co_u32_e32 v16, vcc, v16, v20, vcc
	;; [unrolled: 3-line block ×8, first 2 shown]
	v_add_co_u32_e32 v29, vcc, s20, v0
	v_lshlrev_b32_e32 v1, 2, v29
	v_addc_co_u32_e64 v30, s[18:19], 0, 0, vcc
	v_mov_b32_e32 v2, s9
	v_add_co_u32_e32 v31, vcc, s8, v1
	v_addc_co_u32_e32 v32, vcc, 0, v2, vcc
	v_mov_b32_e32 v2, s7
	v_add_co_u32_e32 v33, vcc, s6, v1
	v_addc_co_u32_e32 v34, vcc, 0, v2, vcc
	;; [unrolled: 3-line block ×3, first 2 shown]
	v_mov_b32_e32 v2, s1
	v_add_co_u32_e32 v37, vcc, s0, v1
	s_mul_i32 s34, s20, 3
	v_addc_co_u32_e32 v38, vcc, 0, v2, vcc
	s_lshl_b32 s21, s20, 1
	v_add_co_u32_e32 v39, vcc, s34, v0
	v_addc_co_u32_e64 v40, s[0:1], 0, 0, vcc
	v_add_co_u32_e32 v41, vcc, s21, v0
	s_lshl_b32 s31, s20, 2
	s_lshl_b32 s33, s20, 4
	s_mov_b64 s[18:19], 0
	v_addc_co_u32_e64 v42, s[0:1], 0, 0, vcc
	s_branch .LBB90_4
.LBB90_3:                               ;   in Loop: Header=BB90_4 Depth=1
	s_or_b64 exec, exec, s[0:1]
	v_add_co_u32_e32 v21, vcc, s33, v21
	v_addc_co_u32_e32 v22, vcc, 0, v22, vcc
	v_add_co_u32_e32 v23, vcc, s33, v23
	v_addc_co_u32_e32 v24, vcc, 0, v24, vcc
	;; [unrolled: 2-line block ×14, first 2 shown]
	s_add_u32 s18, s18, s31
	v_add_co_u32_e32 v35, vcc, s33, v35
	s_waitcnt vmcnt(1)
	v_mov_b32_e32 v1, s14
	s_addc_u32 s19, s19, 0
	v_addc_co_u32_e32 v36, vcc, 0, v36, vcc
	v_mov_b32_e32 v2, s15
	v_cmp_lt_i64_e32 vcc, s[18:19], v[1:2]
	v_add_co_u32_e64 v37, s[0:1], s33, v37
	v_addc_co_u32_e64 v38, s[0:1], 0, v38, s[0:1]
	s_cbranch_vccz .LBB90_28
.LBB90_4:                               ; =>This Inner Loop Header: Depth=1
	v_mov_b32_e32 v2, s19
	v_add_co_u32_e32 v1, vcc, s18, v0
	v_addc_co_u32_e32 v2, vcc, 0, v2, vcc
	v_cmp_gt_u64_e32 vcc, s[16:17], v[1:2]
	s_waitcnt vmcnt(0)
	v_mov_b32_e32 v43, 0
	v_mov_b32_e32 v1, 0
	s_and_saveexec_b64 s[2:3], vcc
	s_cbranch_execz .LBB90_6
; %bb.5:                                ;   in Loop: Header=BB90_4 Depth=1
	v_mov_b32_e32 v1, s11
	v_add_co_u32_e64 v2, s[0:1], s10, v21
	v_addc_co_u32_e64 v3, s[0:1], v22, v1, s[0:1]
	v_add_co_u32_e64 v44, s[0:1], s10, v23
	v_addc_co_u32_e64 v45, s[0:1], v24, v1, s[0:1]
	global_load_dword v1, v[2:3], off
	global_load_dword v43, v[44:45], off
.LBB90_6:                               ;   in Loop: Header=BB90_4 Depth=1
	s_or_b64 exec, exec, s[2:3]
	v_mov_b32_e32 v44, 0
	v_mov_b32_e32 v45, 0
	s_and_saveexec_b64 s[2:3], vcc
	s_cbranch_execz .LBB90_8
; %bb.7:                                ;   in Loop: Header=BB90_4 Depth=1
	v_mov_b32_e32 v3, s11
	v_add_co_u32_e64 v2, s[0:1], s10, v25
	v_addc_co_u32_e64 v3, s[0:1], v26, v3, s[0:1]
	global_load_dword v45, v[2:3], off
.LBB90_8:                               ;   in Loop: Header=BB90_4 Depth=1
	s_or_b64 exec, exec, s[2:3]
	v_mov_b32_e32 v3, s19
	v_add_co_u32_e64 v2, s[0:1], s18, v29
	v_addc_co_u32_e64 v3, s[0:1], v30, v3, s[0:1]
	v_cmp_gt_u64_e64 s[0:1], s[16:17], v[2:3]
	v_mov_b32_e32 v2, 0
	s_and_saveexec_b64 s[6:7], s[0:1]
	s_cbranch_execz .LBB90_10
; %bb.9:                                ;   in Loop: Header=BB90_4 Depth=1
	v_mov_b32_e32 v2, s11
	v_add_co_u32_e64 v3, s[2:3], s10, v31
	v_addc_co_u32_e64 v4, s[2:3], v32, v2, s[2:3]
	v_add_co_u32_e64 v46, s[2:3], s10, v33
	v_addc_co_u32_e64 v47, s[2:3], v34, v2, s[2:3]
	global_load_dword v2, v[3:4], off
	global_load_dword v44, v[46:47], off
.LBB90_10:                              ;   in Loop: Header=BB90_4 Depth=1
	s_or_b64 exec, exec, s[6:7]
	v_mov_b32_e32 v46, 0
	v_mov_b32_e32 v47, 0
	s_and_saveexec_b64 s[6:7], s[0:1]
	s_cbranch_execz .LBB90_12
; %bb.11:                               ;   in Loop: Header=BB90_4 Depth=1
	v_mov_b32_e32 v4, s11
	v_add_co_u32_e64 v3, s[2:3], s10, v35
	v_addc_co_u32_e64 v4, s[2:3], v36, v4, s[2:3]
	global_load_dword v47, v[3:4], off
.LBB90_12:                              ;   in Loop: Header=BB90_4 Depth=1
	s_or_b64 exec, exec, s[6:7]
	v_mov_b32_e32 v4, s19
	v_add_co_u32_e64 v3, s[2:3], s18, v41
	v_addc_co_u32_e64 v4, s[2:3], v42, v4, s[2:3]
	v_cmp_gt_u64_e64 s[2:3], s[16:17], v[3:4]
	v_mov_b32_e32 v3, 0
	s_and_saveexec_b64 s[8:9], s[2:3]
	s_cbranch_execz .LBB90_14
; %bb.13:                               ;   in Loop: Header=BB90_4 Depth=1
	v_mov_b32_e32 v3, s11
	v_add_co_u32_e64 v48, s[6:7], s10, v13
	v_addc_co_u32_e64 v49, s[6:7], v14, v3, s[6:7]
	v_add_co_u32_e64 v50, s[6:7], s10, v15
	v_addc_co_u32_e64 v51, s[6:7], v16, v3, s[6:7]
	global_load_dword v3, v[48:49], off
	global_load_dword v46, v[50:51], off
.LBB90_14:                              ;   in Loop: Header=BB90_4 Depth=1
	s_or_b64 exec, exec, s[8:9]
	v_mov_b32_e32 v48, 0
	v_mov_b32_e32 v49, 0
	s_and_saveexec_b64 s[8:9], s[2:3]
	s_cbranch_execz .LBB90_16
; %bb.15:                               ;   in Loop: Header=BB90_4 Depth=1
	v_mov_b32_e32 v4, s11
	v_add_co_u32_e64 v49, s[6:7], s10, v17
	v_addc_co_u32_e64 v50, s[6:7], v18, v4, s[6:7]
	global_load_dword v49, v[49:50], off
.LBB90_16:                              ;   in Loop: Header=BB90_4 Depth=1
	s_or_b64 exec, exec, s[8:9]
	v_mov_b32_e32 v4, s19
	v_add_co_u32_e64 v50, s[6:7], s18, v39
	v_addc_co_u32_e64 v51, s[6:7], v40, v4, s[6:7]
	v_cmp_gt_u64_e64 s[6:7], s[16:17], v[50:51]
	v_mov_b32_e32 v4, 0
	s_and_saveexec_b64 s[20:21], s[6:7]
	s_cbranch_execnz .LBB90_22
; %bb.17:                               ;   in Loop: Header=BB90_4 Depth=1
	s_or_b64 exec, exec, s[20:21]
	v_mov_b32_e32 v50, 0
	s_and_saveexec_b64 s[20:21], s[6:7]
	s_cbranch_execnz .LBB90_23
.LBB90_18:                              ;   in Loop: Header=BB90_4 Depth=1
	s_or_b64 exec, exec, s[20:21]
	s_and_saveexec_b64 s[8:9], vcc
	s_cbranch_execnz .LBB90_24
.LBB90_19:                              ;   in Loop: Header=BB90_4 Depth=1
	s_or_b64 exec, exec, s[8:9]
	s_and_saveexec_b64 s[8:9], s[0:1]
	s_cbranch_execnz .LBB90_25
.LBB90_20:                              ;   in Loop: Header=BB90_4 Depth=1
	s_or_b64 exec, exec, s[8:9]
	s_and_saveexec_b64 s[0:1], s[2:3]
	s_cbranch_execnz .LBB90_26
.LBB90_21:                              ;   in Loop: Header=BB90_4 Depth=1
	s_or_b64 exec, exec, s[0:1]
	s_and_saveexec_b64 s[0:1], s[6:7]
	s_cbranch_execz .LBB90_3
	s_branch .LBB90_27
.LBB90_22:                              ;   in Loop: Header=BB90_4 Depth=1
	v_mov_b32_e32 v4, s11
	v_add_co_u32_e64 v50, s[8:9], s10, v5
	v_addc_co_u32_e64 v51, s[8:9], v6, v4, s[8:9]
	v_add_co_u32_e64 v52, s[8:9], s10, v7
	v_addc_co_u32_e64 v53, s[8:9], v8, v4, s[8:9]
	global_load_dword v4, v[50:51], off
	global_load_dword v48, v[52:53], off
	s_or_b64 exec, exec, s[20:21]
	v_mov_b32_e32 v50, 0
	s_and_saveexec_b64 s[20:21], s[6:7]
	s_cbranch_execz .LBB90_18
.LBB90_23:                              ;   in Loop: Header=BB90_4 Depth=1
	v_mov_b32_e32 v51, s11
	v_add_co_u32_e64 v50, s[8:9], s10, v9
	v_addc_co_u32_e64 v51, s[8:9], v10, v51, s[8:9]
	global_load_dword v50, v[50:51], off
	s_or_b64 exec, exec, s[20:21]
	s_and_saveexec_b64 s[8:9], vcc
	s_cbranch_execz .LBB90_19
.LBB90_24:                              ;   in Loop: Header=BB90_4 Depth=1
	s_waitcnt vmcnt(0)
	v_mul_lo_u32 v43, v43, s24
	v_mov_b32_e32 v53, s11
	v_mad_u64_u32 v[51:52], s[20:21], v43, v45, v[1:2]
	v_add_co_u32_e32 v52, vcc, s10, v27
	v_addc_co_u32_e32 v53, vcc, v28, v53, vcc
	global_store_dword v[52:53], v51, off
	s_or_b64 exec, exec, s[8:9]
	s_and_saveexec_b64 s[8:9], s[0:1]
	s_cbranch_execz .LBB90_20
.LBB90_25:                              ;   in Loop: Header=BB90_4 Depth=1
	s_waitcnt vmcnt(0)
	v_mul_lo_u32 v1, v44, s24
	v_mov_b32_e32 v44, s11
	v_add_co_u32_e32 v43, vcc, s10, v37
	v_mad_u64_u32 v[1:2], s[0:1], v1, v47, v[2:3]
	v_addc_co_u32_e32 v44, vcc, v38, v44, vcc
	global_store_dword v[43:44], v1, off
	s_or_b64 exec, exec, s[8:9]
	s_and_saveexec_b64 s[0:1], s[2:3]
	s_cbranch_execz .LBB90_21
.LBB90_26:                              ;   in Loop: Header=BB90_4 Depth=1
	s_waitcnt vmcnt(0)
	v_mul_lo_u32 v1, v46, s24
	v_mov_b32_e32 v43, s11
	v_mad_u64_u32 v[1:2], s[2:3], v1, v49, v[3:4]
	v_add_co_u32_e32 v2, vcc, s10, v19
	v_addc_co_u32_e32 v3, vcc, v20, v43, vcc
	global_store_dword v[2:3], v1, off
	s_or_b64 exec, exec, s[0:1]
	s_and_saveexec_b64 s[0:1], s[6:7]
	s_cbranch_execz .LBB90_3
.LBB90_27:                              ;   in Loop: Header=BB90_4 Depth=1
	s_waitcnt vmcnt(0)
	v_mul_lo_u32 v1, v48, s24
	v_mov_b32_e32 v3, s11
	v_mad_u64_u32 v[1:2], s[2:3], v1, v50, v[4:5]
	v_add_co_u32_e32 v2, vcc, s10, v11
	v_addc_co_u32_e32 v3, vcc, v12, v3, vcc
	global_store_dword v[2:3], v1, off
	s_branch .LBB90_3
.LBB90_28:
	s_mov_b64 s[14:15], 0
.LBB90_29:
	s_andn2_b64 vcc, exec, s[14:15]
	s_cbranch_vccnz .LBB90_33
; %bb.30:
	v_mov_b32_e32 v1, 0x10000
	v_mov_b32_e32 v2, 0
	v_cmp_lt_i64_e32 vcc, s[12:13], v[1:2]
	v_mov_b32_e32 v2, 0
	s_and_b64 s[0:1], vcc, exec
	s_cselect_b32 s7, s13, 0
	s_cselect_b32 s6, s12, 0x10000
	v_lshlrev_b32_e32 v1, 2, v0
	v_cmp_gt_i64_e32 vcc, s[6:7], v[1:2]
	s_and_saveexec_b64 s[0:1], vcc
	s_cbranch_execz .LBB90_33
; %bb.31:
	s_load_dword s0, s[4:5], 0xc84
	v_mov_b32_e32 v1, v2
	v_lshlrev_b32_e32 v2, 4, v0
	s_mov_b64 s[4:5], 0
	s_waitcnt lgkmcnt(0)
	s_and_b32 s8, s0, 0xffff
	s_lshl_b32 s9, s8, 4
.LBB90_32:                              ; =>This Inner Loop Header: Depth=1
	v_mov_b32_e32 v4, s26
	v_add_co_u32_e32 v15, vcc, s25, v2
	v_mov_b32_e32 v3, s23
	v_mov_b32_e32 v5, s28
	v_add_co_u32_e64 v17, s[0:1], s27, v2
	v_add_co_u32_e64 v19, s[2:3], s22, v2
	v_addc_co_u32_e32 v16, vcc, 0, v4, vcc
	v_addc_co_u32_e64 v20, s[2:3], 0, v3, s[2:3]
	v_addc_co_u32_e64 v18, vcc, 0, v5, s[0:1]
	global_load_dwordx4 v[3:6], v[15:16], off
	global_load_dwordx4 v[7:10], v[19:20], off
	;; [unrolled: 1-line block ×3, first 2 shown]
	v_add_co_u32_e32 v15, vcc, s29, v2
	v_add_co_u32_e64 v0, s[0:1], s8, v0
	s_add_u32 s29, s29, s9
	v_mov_b32_e32 v16, s30
	v_addc_co_u32_e64 v1, s[0:1], 0, v1, s[0:1]
	s_addc_u32 s30, s30, 0
	v_lshlrev_b64 v[17:18], 2, v[0:1]
	s_add_u32 s22, s22, s9
	v_addc_co_u32_e32 v16, vcc, 0, v16, vcc
	s_addc_u32 s23, s23, 0
	v_cmp_le_i64_e32 vcc, s[6:7], v[17:18]
	s_add_u32 s27, s27, s9
	s_addc_u32 s28, s28, 0
	s_add_u32 s25, s25, s9
	s_addc_u32 s26, s26, 0
	s_or_b64 s[4:5], vcc, s[4:5]
	s_waitcnt vmcnt(2)
	v_mul_lo_u32 v3, v3, s24
	v_mul_lo_u32 v19, v4, s24
	;; [unrolled: 1-line block ×4, first 2 shown]
	s_waitcnt vmcnt(1)
	v_mov_b32_e32 v5, v10
	s_waitcnt vmcnt(0)
	v_mad_u64_u32 v[3:4], s[0:1], v3, v11, v[7:8]
	v_mad_u64_u32 v[17:18], s[0:1], v6, v14, v[5:6]
	;; [unrolled: 1-line block ×4, first 2 shown]
	v_mov_b32_e32 v6, v17
	global_store_dwordx4 v[15:16], v[3:6], off
	s_andn2_b64 exec, exec, s[4:5]
	s_cbranch_execnz .LBB90_32
.LBB90_33:
	s_endpgm
	.section	.rodata,"a",@progbits
	.p2align	6, 0x0
	.amdhsa_kernel _ZN2at6native12_GLOBAL__N_125multi_tensor_apply_kernelINS1_28TensorListScalarListMetadataIiLi4EEENS1_28PointwiseOpScalarListFunctorIiLi4ELi3ELi3EEEJSt10multipliesIiEEEEvT_T0_DpT1_
		.amdhsa_group_segment_fixed_size 0
		.amdhsa_private_segment_fixed_size 0
		.amdhsa_kernarg_size 3448
		.amdhsa_user_sgpr_count 6
		.amdhsa_user_sgpr_private_segment_buffer 1
		.amdhsa_user_sgpr_dispatch_ptr 0
		.amdhsa_user_sgpr_queue_ptr 0
		.amdhsa_user_sgpr_kernarg_segment_ptr 1
		.amdhsa_user_sgpr_dispatch_id 0
		.amdhsa_user_sgpr_flat_scratch_init 0
		.amdhsa_user_sgpr_private_segment_size 0
		.amdhsa_uses_dynamic_stack 0
		.amdhsa_system_sgpr_private_segment_wavefront_offset 0
		.amdhsa_system_sgpr_workgroup_id_x 1
		.amdhsa_system_sgpr_workgroup_id_y 0
		.amdhsa_system_sgpr_workgroup_id_z 0
		.amdhsa_system_sgpr_workgroup_info 0
		.amdhsa_system_vgpr_workitem_id 0
		.amdhsa_next_free_vgpr 54
		.amdhsa_next_free_sgpr 36
		.amdhsa_reserve_vcc 1
		.amdhsa_reserve_flat_scratch 0
		.amdhsa_float_round_mode_32 0
		.amdhsa_float_round_mode_16_64 0
		.amdhsa_float_denorm_mode_32 3
		.amdhsa_float_denorm_mode_16_64 3
		.amdhsa_dx10_clamp 1
		.amdhsa_ieee_mode 1
		.amdhsa_fp16_overflow 0
		.amdhsa_exception_fp_ieee_invalid_op 0
		.amdhsa_exception_fp_denorm_src 0
		.amdhsa_exception_fp_ieee_div_zero 0
		.amdhsa_exception_fp_ieee_overflow 0
		.amdhsa_exception_fp_ieee_underflow 0
		.amdhsa_exception_fp_ieee_inexact 0
		.amdhsa_exception_int_div_zero 0
	.end_amdhsa_kernel
	.section	.text._ZN2at6native12_GLOBAL__N_125multi_tensor_apply_kernelINS1_28TensorListScalarListMetadataIiLi4EEENS1_28PointwiseOpScalarListFunctorIiLi4ELi3ELi3EEEJSt10multipliesIiEEEEvT_T0_DpT1_,"axG",@progbits,_ZN2at6native12_GLOBAL__N_125multi_tensor_apply_kernelINS1_28TensorListScalarListMetadataIiLi4EEENS1_28PointwiseOpScalarListFunctorIiLi4ELi3ELi3EEEJSt10multipliesIiEEEEvT_T0_DpT1_,comdat
.Lfunc_end90:
	.size	_ZN2at6native12_GLOBAL__N_125multi_tensor_apply_kernelINS1_28TensorListScalarListMetadataIiLi4EEENS1_28PointwiseOpScalarListFunctorIiLi4ELi3ELi3EEEJSt10multipliesIiEEEEvT_T0_DpT1_, .Lfunc_end90-_ZN2at6native12_GLOBAL__N_125multi_tensor_apply_kernelINS1_28TensorListScalarListMetadataIiLi4EEENS1_28PointwiseOpScalarListFunctorIiLi4ELi3ELi3EEEJSt10multipliesIiEEEEvT_T0_DpT1_
                                        ; -- End function
	.set _ZN2at6native12_GLOBAL__N_125multi_tensor_apply_kernelINS1_28TensorListScalarListMetadataIiLi4EEENS1_28PointwiseOpScalarListFunctorIiLi4ELi3ELi3EEEJSt10multipliesIiEEEEvT_T0_DpT1_.num_vgpr, 54
	.set _ZN2at6native12_GLOBAL__N_125multi_tensor_apply_kernelINS1_28TensorListScalarListMetadataIiLi4EEENS1_28PointwiseOpScalarListFunctorIiLi4ELi3ELi3EEEJSt10multipliesIiEEEEvT_T0_DpT1_.num_agpr, 0
	.set _ZN2at6native12_GLOBAL__N_125multi_tensor_apply_kernelINS1_28TensorListScalarListMetadataIiLi4EEENS1_28PointwiseOpScalarListFunctorIiLi4ELi3ELi3EEEJSt10multipliesIiEEEEvT_T0_DpT1_.numbered_sgpr, 36
	.set _ZN2at6native12_GLOBAL__N_125multi_tensor_apply_kernelINS1_28TensorListScalarListMetadataIiLi4EEENS1_28PointwiseOpScalarListFunctorIiLi4ELi3ELi3EEEJSt10multipliesIiEEEEvT_T0_DpT1_.num_named_barrier, 0
	.set _ZN2at6native12_GLOBAL__N_125multi_tensor_apply_kernelINS1_28TensorListScalarListMetadataIiLi4EEENS1_28PointwiseOpScalarListFunctorIiLi4ELi3ELi3EEEJSt10multipliesIiEEEEvT_T0_DpT1_.private_seg_size, 0
	.set _ZN2at6native12_GLOBAL__N_125multi_tensor_apply_kernelINS1_28TensorListScalarListMetadataIiLi4EEENS1_28PointwiseOpScalarListFunctorIiLi4ELi3ELi3EEEJSt10multipliesIiEEEEvT_T0_DpT1_.uses_vcc, 1
	.set _ZN2at6native12_GLOBAL__N_125multi_tensor_apply_kernelINS1_28TensorListScalarListMetadataIiLi4EEENS1_28PointwiseOpScalarListFunctorIiLi4ELi3ELi3EEEJSt10multipliesIiEEEEvT_T0_DpT1_.uses_flat_scratch, 0
	.set _ZN2at6native12_GLOBAL__N_125multi_tensor_apply_kernelINS1_28TensorListScalarListMetadataIiLi4EEENS1_28PointwiseOpScalarListFunctorIiLi4ELi3ELi3EEEJSt10multipliesIiEEEEvT_T0_DpT1_.has_dyn_sized_stack, 0
	.set _ZN2at6native12_GLOBAL__N_125multi_tensor_apply_kernelINS1_28TensorListScalarListMetadataIiLi4EEENS1_28PointwiseOpScalarListFunctorIiLi4ELi3ELi3EEEJSt10multipliesIiEEEEvT_T0_DpT1_.has_recursion, 0
	.set _ZN2at6native12_GLOBAL__N_125multi_tensor_apply_kernelINS1_28TensorListScalarListMetadataIiLi4EEENS1_28PointwiseOpScalarListFunctorIiLi4ELi3ELi3EEEJSt10multipliesIiEEEEvT_T0_DpT1_.has_indirect_call, 0
	.section	.AMDGPU.csdata,"",@progbits
; Kernel info:
; codeLenInByte = 2032
; TotalNumSgprs: 40
; NumVgprs: 54
; ScratchSize: 0
; MemoryBound: 0
; FloatMode: 240
; IeeeMode: 1
; LDSByteSize: 0 bytes/workgroup (compile time only)
; SGPRBlocks: 4
; VGPRBlocks: 13
; NumSGPRsForWavesPerEU: 40
; NumVGPRsForWavesPerEU: 54
; Occupancy: 4
; WaveLimiterHint : 0
; COMPUTE_PGM_RSRC2:SCRATCH_EN: 0
; COMPUTE_PGM_RSRC2:USER_SGPR: 6
; COMPUTE_PGM_RSRC2:TRAP_HANDLER: 0
; COMPUTE_PGM_RSRC2:TGID_X_EN: 1
; COMPUTE_PGM_RSRC2:TGID_Y_EN: 0
; COMPUTE_PGM_RSRC2:TGID_Z_EN: 0
; COMPUTE_PGM_RSRC2:TIDIG_COMP_CNT: 0
	.section	.text._ZN2at6native12_GLOBAL__N_125multi_tensor_apply_kernelINS1_28TensorListScalarListMetadataIlLi4EEENS1_28PointwiseOpScalarListFunctorIlLi4ELi3ELi3EEEJSt10multipliesIlEEEEvT_T0_DpT1_,"axG",@progbits,_ZN2at6native12_GLOBAL__N_125multi_tensor_apply_kernelINS1_28TensorListScalarListMetadataIlLi4EEENS1_28PointwiseOpScalarListFunctorIlLi4ELi3ELi3EEEJSt10multipliesIlEEEEvT_T0_DpT1_,comdat
	.globl	_ZN2at6native12_GLOBAL__N_125multi_tensor_apply_kernelINS1_28TensorListScalarListMetadataIlLi4EEENS1_28PointwiseOpScalarListFunctorIlLi4ELi3ELi3EEEJSt10multipliesIlEEEEvT_T0_DpT1_ ; -- Begin function _ZN2at6native12_GLOBAL__N_125multi_tensor_apply_kernelINS1_28TensorListScalarListMetadataIlLi4EEENS1_28PointwiseOpScalarListFunctorIlLi4ELi3ELi3EEEJSt10multipliesIlEEEEvT_T0_DpT1_
	.p2align	8
	.type	_ZN2at6native12_GLOBAL__N_125multi_tensor_apply_kernelINS1_28TensorListScalarListMetadataIlLi4EEENS1_28PointwiseOpScalarListFunctorIlLi4ELi3ELi3EEEJSt10multipliesIlEEEEvT_T0_DpT1_,@function
_ZN2at6native12_GLOBAL__N_125multi_tensor_apply_kernelINS1_28TensorListScalarListMetadataIlLi4EEENS1_28PointwiseOpScalarListFunctorIlLi4ELi3ELi3EEEJSt10multipliesIlEEEEvT_T0_DpT1_: ; @_ZN2at6native12_GLOBAL__N_125multi_tensor_apply_kernelINS1_28TensorListScalarListMetadataIlLi4EEENS1_28PointwiseOpScalarListFunctorIlLi4ELi3ELi3EEEJSt10multipliesIlEEEEvT_T0_DpT1_
; %bb.0:
	v_mov_b32_e32 v1, s6
	global_load_ubyte v1, v1, s[4:5] offset:1728
	s_add_u32 s0, s4, s6
	s_mul_hi_u32 s1, s6, 3
	s_mul_i32 s6, s6, 3
	s_addc_u32 s2, s5, 0
	s_add_u32 s0, s0, s6
	s_addc_u32 s1, s2, s1
	s_load_dword s20, s[0:1], 0x800
	s_mov_b32 s17, 0
	s_mov_b32 s15, s17
	s_mov_b32 s19, s17
	s_waitcnt lgkmcnt(0)
	s_ashr_i32 s21, s20, 31
	s_waitcnt vmcnt(0)
	v_readfirstlane_b32 s0, v1
	s_lshl_b32 s12, s0, 3
	s_load_dwordx2 s[22:23], s[4:5], s12 offset:0x480
	s_load_dwordx2 s[10:11], s[4:5], s12 offset:0x5a0
	;; [unrolled: 1-line block ×6, first 2 shown]
	s_lshl_b64 s[12:13], s[20:21], 19
	s_waitcnt lgkmcnt(0)
	s_add_u32 s24, s8, s12
	s_addc_u32 s25, s9, s13
	s_and_b32 s16, s24, 31
	s_add_u32 s26, s6, s12
	s_addc_u32 s27, s7, s13
	s_and_b32 s14, s26, 31
	s_cmp_eq_u64 s[14:15], 0
	s_cselect_b64 s[14:15], -1, 0
	s_add_u32 s28, s2, s12
	s_addc_u32 s29, s3, s13
	s_add_u32 s30, s0, s12
	s_addc_u32 s31, s1, s13
	s_or_b32 s18, s30, s28
	s_and_b32 s18, s18, 31
	s_cmp_eq_u32 s18, 0
	s_cselect_b64 s[34:35], -1, 0
	s_lshl_b64 s[20:21], s[20:21], 16
	s_and_b64 s[34:35], s[34:35], s[14:15]
	s_sub_u32 s14, s22, s20
	s_subb_u32 s15, s23, s21
	s_and_b32 s18, s22, 3
	s_or_b64 s[16:17], s[16:17], s[18:19]
	s_cmp_eq_u64 s[16:17], 0
	s_cselect_b64 s[16:17], -1, 0
	s_and_b64 s[18:19], s[34:35], s[16:17]
	s_mov_b64 s[16:17], -1
	s_and_b64 vcc, exec, s[18:19]
	s_cbranch_vccnz .LBB91_29
; %bb.1:
	v_cmp_lt_i64_e64 s[16:17], s[14:15], 1
	s_and_b64 vcc, exec, s[16:17]
	s_cbranch_vccnz .LBB91_28
; %bb.2:
	v_mov_b32_e32 v1, 0x10000
	s_load_dword s18, s[4:5], 0xd14
	v_mov_b32_e32 v2, 0
	v_cmp_lt_i64_e32 vcc, s[14:15], v[1:2]
	v_mov_b32_e32 v3, 0
	s_and_b64 s[16:17], vcc, exec
	s_cselect_b32 s17, s15, 0
	s_cselect_b32 s16, s14, 0x10000
	v_cmp_lt_u64_e32 vcc, s[14:15], v[1:2]
	s_waitcnt lgkmcnt(0)
	s_and_b32 s22, s18, 0xffff
	v_lshlrev_b32_e32 v2, 3, v0
	v_mad_u64_u32 v[3:4], s[20:21], s22, 24, v[2:3]
	s_and_b64 s[18:19], vcc, exec
	v_mov_b32_e32 v7, s9
	v_add_co_u32_e32 v25, vcc, s8, v3
	v_addc_co_u32_e32 v26, vcc, v7, v4, vcc
	v_mov_b32_e32 v7, s7
	v_add_co_u32_e32 v27, vcc, s6, v3
	v_addc_co_u32_e32 v28, vcc, v7, v4, vcc
	;; [unrolled: 3-line block ×3, first 2 shown]
	v_mov_b32_e32 v7, s1
	v_add_co_u32_e32 v31, vcc, s0, v3
	s_cselect_b32 s19, s15, 0
	s_cselect_b32 s18, s14, 0x10000
	v_addc_co_u32_e32 v32, vcc, v7, v4, vcc
	s_lshl_b32 s20, s22, 4
	v_add_co_u32_e32 v4, vcc, s20, v2
	v_addc_co_u32_e64 v7, s[20:21], 0, 0, vcc
	v_mov_b32_e32 v8, s9
	v_add_co_u32_e32 v33, vcc, s8, v4
	v_addc_co_u32_e32 v34, vcc, v8, v7, vcc
	v_mov_b32_e32 v8, s7
	v_add_co_u32_e32 v35, vcc, s6, v4
	v_addc_co_u32_e32 v36, vcc, v8, v7, vcc
	;; [unrolled: 3-line block ×8, first 2 shown]
	v_add_co_u32_e32 v49, vcc, s22, v0
	v_lshlrev_b32_e32 v1, 3, v49
	v_addc_co_u32_e64 v50, s[20:21], 0, 0, vcc
	v_mov_b32_e32 v2, s9
	v_add_co_u32_e32 v51, vcc, s8, v1
	v_addc_co_u32_e32 v52, vcc, 0, v2, vcc
	v_mov_b32_e32 v2, s7
	v_add_co_u32_e32 v53, vcc, s6, v1
	v_addc_co_u32_e32 v54, vcc, 0, v2, vcc
	;; [unrolled: 3-line block ×3, first 2 shown]
	v_mov_b32_e32 v2, s1
	v_add_co_u32_e32 v57, vcc, s0, v1
	s_mul_i32 s35, s22, 3
	v_addc_co_u32_e32 v58, vcc, 0, v2, vcc
	s_lshl_b32 s23, s22, 1
	v_add_co_u32_e32 v59, vcc, s35, v0
	v_addc_co_u32_e64 v60, s[0:1], 0, 0, vcc
	v_add_co_u32_e32 v61, vcc, s23, v0
	s_lshl_b32 s33, s22, 2
	s_lshl_b32 s34, s22, 5
	s_mov_b64 s[20:21], 0
	v_addc_co_u32_e64 v62, s[0:1], 0, 0, vcc
	s_branch .LBB91_4
.LBB91_3:                               ;   in Loop: Header=BB91_4 Depth=1
	s_or_b64 exec, exec, s[0:1]
	v_add_co_u32_e32 v41, vcc, s34, v41
	v_addc_co_u32_e32 v42, vcc, 0, v42, vcc
	v_add_co_u32_e32 v43, vcc, s34, v43
	v_addc_co_u32_e32 v44, vcc, 0, v44, vcc
	;; [unrolled: 2-line block ×14, first 2 shown]
	s_add_u32 s20, s20, s33
	v_add_co_u32_e32 v55, vcc, s34, v55
	s_waitcnt vmcnt(0)
	v_mov_b32_e32 v1, s16
	s_addc_u32 s21, s21, 0
	v_addc_co_u32_e32 v56, vcc, 0, v56, vcc
	v_mov_b32_e32 v2, s17
	v_cmp_lt_i64_e32 vcc, s[20:21], v[1:2]
	v_add_co_u32_e64 v57, s[0:1], s34, v57
	v_addc_co_u32_e64 v58, s[0:1], 0, v58, s[0:1]
	s_cbranch_vccz .LBB91_28
.LBB91_4:                               ; =>This Inner Loop Header: Depth=1
	v_mov_b32_e32 v2, s21
	v_add_co_u32_e32 v1, vcc, s20, v0
	v_addc_co_u32_e32 v2, vcc, 0, v2, vcc
	v_cmp_gt_u64_e32 vcc, s[18:19], v[1:2]
	v_mov_b32_e32 v1, 0
	v_mov_b32_e32 v5, 0
	;; [unrolled: 1-line block ×6, first 2 shown]
	s_and_saveexec_b64 s[2:3], vcc
	s_cbranch_execz .LBB91_6
; %bb.5:                                ;   in Loop: Header=BB91_4 Depth=1
	v_mov_b32_e32 v3, s13
	v_add_co_u32_e64 v7, s[0:1], s12, v41
	v_addc_co_u32_e64 v8, s[0:1], v42, v3, s[0:1]
	v_add_co_u32_e64 v9, s[0:1], s12, v43
	v_addc_co_u32_e64 v10, s[0:1], v44, v3, s[0:1]
	global_load_dwordx2 v[3:4], v[7:8], off
	global_load_dwordx2 v[5:6], v[9:10], off
.LBB91_6:                               ;   in Loop: Header=BB91_4 Depth=1
	s_or_b64 exec, exec, s[2:3]
	s_and_saveexec_b64 s[2:3], vcc
	s_cbranch_execz .LBB91_8
; %bb.7:                                ;   in Loop: Header=BB91_4 Depth=1
	v_mov_b32_e32 v2, s13
	v_add_co_u32_e64 v1, s[0:1], s12, v45
	v_addc_co_u32_e64 v2, s[0:1], v46, v2, s[0:1]
	global_load_dwordx2 v[1:2], v[1:2], off
.LBB91_8:                               ;   in Loop: Header=BB91_4 Depth=1
	s_or_b64 exec, exec, s[2:3]
	v_mov_b32_e32 v8, s21
	v_add_co_u32_e64 v7, s[0:1], s20, v49
	v_addc_co_u32_e64 v8, s[0:1], v50, v8, s[0:1]
	v_cmp_gt_u64_e64 s[0:1], s[18:19], v[7:8]
	v_mov_b32_e32 v7, 0
	v_mov_b32_e32 v11, 0
	;; [unrolled: 1-line block ×6, first 2 shown]
	s_and_saveexec_b64 s[6:7], s[0:1]
	s_cbranch_execz .LBB91_10
; %bb.9:                                ;   in Loop: Header=BB91_4 Depth=1
	v_mov_b32_e32 v9, s13
	v_add_co_u32_e64 v13, s[2:3], s12, v51
	v_addc_co_u32_e64 v14, s[2:3], v52, v9, s[2:3]
	v_add_co_u32_e64 v15, s[2:3], s12, v53
	v_addc_co_u32_e64 v16, s[2:3], v54, v9, s[2:3]
	global_load_dwordx2 v[9:10], v[13:14], off
	global_load_dwordx2 v[11:12], v[15:16], off
.LBB91_10:                              ;   in Loop: Header=BB91_4 Depth=1
	s_or_b64 exec, exec, s[6:7]
	s_and_saveexec_b64 s[6:7], s[0:1]
	s_cbranch_execz .LBB91_12
; %bb.11:                               ;   in Loop: Header=BB91_4 Depth=1
	v_mov_b32_e32 v8, s13
	v_add_co_u32_e64 v7, s[2:3], s12, v55
	v_addc_co_u32_e64 v8, s[2:3], v56, v8, s[2:3]
	global_load_dwordx2 v[7:8], v[7:8], off
.LBB91_12:                              ;   in Loop: Header=BB91_4 Depth=1
	s_or_b64 exec, exec, s[6:7]
	v_mov_b32_e32 v14, s21
	v_add_co_u32_e64 v13, s[2:3], s20, v61
	v_addc_co_u32_e64 v14, s[2:3], v62, v14, s[2:3]
	v_cmp_gt_u64_e64 s[2:3], s[18:19], v[13:14]
	v_mov_b32_e32 v13, 0
	v_mov_b32_e32 v17, 0
	;; [unrolled: 1-line block ×6, first 2 shown]
	s_and_saveexec_b64 s[8:9], s[2:3]
	s_cbranch_execz .LBB91_14
; %bb.13:                               ;   in Loop: Header=BB91_4 Depth=1
	v_mov_b32_e32 v15, s13
	v_add_co_u32_e64 v19, s[6:7], s12, v33
	v_addc_co_u32_e64 v20, s[6:7], v34, v15, s[6:7]
	v_add_co_u32_e64 v21, s[6:7], s12, v35
	v_addc_co_u32_e64 v22, s[6:7], v36, v15, s[6:7]
	global_load_dwordx2 v[15:16], v[19:20], off
	global_load_dwordx2 v[17:18], v[21:22], off
.LBB91_14:                              ;   in Loop: Header=BB91_4 Depth=1
	s_or_b64 exec, exec, s[8:9]
	s_and_saveexec_b64 s[8:9], s[2:3]
	s_cbranch_execz .LBB91_16
; %bb.15:                               ;   in Loop: Header=BB91_4 Depth=1
	v_mov_b32_e32 v14, s13
	v_add_co_u32_e64 v13, s[6:7], s12, v37
	v_addc_co_u32_e64 v14, s[6:7], v38, v14, s[6:7]
	global_load_dwordx2 v[13:14], v[13:14], off
.LBB91_16:                              ;   in Loop: Header=BB91_4 Depth=1
	s_or_b64 exec, exec, s[8:9]
	v_mov_b32_e32 v20, s21
	v_add_co_u32_e64 v19, s[6:7], s20, v59
	v_addc_co_u32_e64 v20, s[6:7], v60, v20, s[6:7]
	v_cmp_gt_u64_e64 s[6:7], s[18:19], v[19:20]
	v_mov_b32_e32 v19, 0
	v_mov_b32_e32 v23, 0
	;; [unrolled: 1-line block ×6, first 2 shown]
	s_and_saveexec_b64 s[22:23], s[6:7]
	s_cbranch_execnz .LBB91_22
; %bb.17:                               ;   in Loop: Header=BB91_4 Depth=1
	s_or_b64 exec, exec, s[22:23]
	s_and_saveexec_b64 s[22:23], s[6:7]
	s_cbranch_execnz .LBB91_23
.LBB91_18:                              ;   in Loop: Header=BB91_4 Depth=1
	s_or_b64 exec, exec, s[22:23]
	s_and_saveexec_b64 s[8:9], vcc
	s_cbranch_execnz .LBB91_24
.LBB91_19:                              ;   in Loop: Header=BB91_4 Depth=1
	s_or_b64 exec, exec, s[8:9]
	s_and_saveexec_b64 s[8:9], s[0:1]
	s_cbranch_execnz .LBB91_25
.LBB91_20:                              ;   in Loop: Header=BB91_4 Depth=1
	s_or_b64 exec, exec, s[8:9]
	s_and_saveexec_b64 s[0:1], s[2:3]
	s_cbranch_execnz .LBB91_26
.LBB91_21:                              ;   in Loop: Header=BB91_4 Depth=1
	s_or_b64 exec, exec, s[0:1]
	s_and_saveexec_b64 s[0:1], s[6:7]
	s_cbranch_execz .LBB91_3
	s_branch .LBB91_27
.LBB91_22:                              ;   in Loop: Header=BB91_4 Depth=1
	v_mov_b32_e32 v24, s13
	v_add_co_u32_e64 v21, s[8:9], s12, v25
	v_addc_co_u32_e64 v22, s[8:9], v26, v24, s[8:9]
	v_add_co_u32_e64 v23, s[8:9], s12, v27
	v_addc_co_u32_e64 v24, s[8:9], v28, v24, s[8:9]
	global_load_dwordx2 v[21:22], v[21:22], off
	s_nop 0
	global_load_dwordx2 v[23:24], v[23:24], off
	s_or_b64 exec, exec, s[22:23]
	s_and_saveexec_b64 s[22:23], s[6:7]
	s_cbranch_execz .LBB91_18
.LBB91_23:                              ;   in Loop: Header=BB91_4 Depth=1
	v_mov_b32_e32 v20, s13
	v_add_co_u32_e64 v19, s[8:9], s12, v29
	v_addc_co_u32_e64 v20, s[8:9], v30, v20, s[8:9]
	global_load_dwordx2 v[19:20], v[19:20], off
	s_or_b64 exec, exec, s[22:23]
	s_and_saveexec_b64 s[8:9], vcc
	s_cbranch_execz .LBB91_19
.LBB91_24:                              ;   in Loop: Header=BB91_4 Depth=1
	s_waitcnt vmcnt(0)
	v_mul_lo_u32 v63, v6, s10
	v_mul_lo_u32 v64, v5, s11
	v_mad_u64_u32 v[5:6], s[22:23], v5, s10, 0
	v_mov_b32_e32 v65, s13
	v_add3_u32 v6, v6, v64, v63
	v_mul_lo_u32 v6, v6, v1
	v_mul_lo_u32 v63, v5, v2
	v_mad_u64_u32 v[1:2], s[22:23], v5, v1, v[3:4]
	v_add_co_u32_e32 v3, vcc, s12, v47
	v_addc_co_u32_e32 v4, vcc, v48, v65, vcc
	v_add3_u32 v2, v6, v2, v63
	global_store_dwordx2 v[3:4], v[1:2], off
	s_or_b64 exec, exec, s[8:9]
	s_and_saveexec_b64 s[8:9], s[0:1]
	s_cbranch_execz .LBB91_20
.LBB91_25:                              ;   in Loop: Header=BB91_4 Depth=1
	s_waitcnt vmcnt(0)
	v_mul_lo_u32 v3, v12, s10
	v_mul_lo_u32 v4, v11, s11
	v_mad_u64_u32 v[1:2], s[0:1], v11, s10, 0
	v_add3_u32 v3, v2, v4, v3
	v_mul_lo_u32 v4, v1, v8
	v_mad_u64_u32 v[1:2], s[0:1], v1, v7, v[9:10]
	v_mul_lo_u32 v3, v3, v7
	v_add3_u32 v2, v3, v2, v4
	v_mov_b32_e32 v4, s13
	v_add_co_u32_e32 v3, vcc, s12, v57
	v_addc_co_u32_e32 v4, vcc, v58, v4, vcc
	global_store_dwordx2 v[3:4], v[1:2], off
	s_or_b64 exec, exec, s[8:9]
	s_and_saveexec_b64 s[0:1], s[2:3]
	s_cbranch_execz .LBB91_21
.LBB91_26:                              ;   in Loop: Header=BB91_4 Depth=1
	s_waitcnt vmcnt(0)
	v_mul_lo_u32 v3, v18, s10
	v_mul_lo_u32 v4, v17, s11
	v_mad_u64_u32 v[1:2], s[2:3], v17, s10, 0
	v_add3_u32 v3, v2, v4, v3
	v_mul_lo_u32 v4, v1, v14
	v_mad_u64_u32 v[1:2], s[2:3], v1, v13, v[15:16]
	v_mul_lo_u32 v3, v3, v13
	v_add3_u32 v2, v3, v2, v4
	v_mov_b32_e32 v4, s13
	v_add_co_u32_e32 v3, vcc, s12, v39
	v_addc_co_u32_e32 v4, vcc, v40, v4, vcc
	global_store_dwordx2 v[3:4], v[1:2], off
	s_or_b64 exec, exec, s[0:1]
	s_and_saveexec_b64 s[0:1], s[6:7]
	s_cbranch_execz .LBB91_3
.LBB91_27:                              ;   in Loop: Header=BB91_4 Depth=1
	s_waitcnt vmcnt(0)
	v_mul_lo_u32 v3, v24, s10
	v_mul_lo_u32 v4, v23, s11
	v_mad_u64_u32 v[1:2], s[2:3], v23, s10, 0
	v_add3_u32 v3, v2, v4, v3
	v_mul_lo_u32 v4, v1, v20
	v_mad_u64_u32 v[1:2], s[2:3], v1, v19, v[21:22]
	v_mul_lo_u32 v3, v3, v19
	v_add3_u32 v2, v3, v2, v4
	v_mov_b32_e32 v4, s13
	v_add_co_u32_e32 v3, vcc, s12, v31
	v_addc_co_u32_e32 v4, vcc, v32, v4, vcc
	global_store_dwordx2 v[3:4], v[1:2], off
	s_branch .LBB91_3
.LBB91_28:
	s_mov_b64 s[16:17], 0
.LBB91_29:
	s_andn2_b64 vcc, exec, s[16:17]
	s_cbranch_vccnz .LBB91_33
; %bb.30:
	v_mov_b32_e32 v1, 0x10000
	v_mov_b32_e32 v2, 0
	v_cmp_lt_i64_e32 vcc, s[14:15], v[1:2]
	v_mov_b32_e32 v2, 0
	s_and_b64 s[0:1], vcc, exec
	s_cselect_b32 s7, s15, 0
	s_cselect_b32 s6, s14, 0x10000
	v_lshlrev_b32_e32 v1, 2, v0
	v_cmp_gt_i64_e32 vcc, s[6:7], v[1:2]
	s_and_saveexec_b64 s[0:1], vcc
	s_cbranch_execz .LBB91_33
; %bb.31:
	s_load_dword s0, s[4:5], 0xd14
	v_mov_b32_e32 v1, v2
	v_lshlrev_b32_e32 v2, 5, v0
	s_mov_b64 s[4:5], 0
	s_waitcnt lgkmcnt(0)
	s_and_b32 s8, s0, 0xffff
	s_lshl_b32 s9, s8, 5
.LBB91_32:                              ; =>This Inner Loop Header: Depth=1
	v_mov_b32_e32 v4, s27
	v_add_co_u32_e32 v27, vcc, s26, v2
	v_mov_b32_e32 v3, s25
	v_mov_b32_e32 v5, s29
	v_add_co_u32_e64 v29, s[0:1], s28, v2
	v_add_co_u32_e64 v31, s[2:3], s24, v2
	v_addc_co_u32_e32 v28, vcc, 0, v4, vcc
	v_addc_co_u32_e64 v32, s[2:3], 0, v3, s[2:3]
	v_addc_co_u32_e64 v30, vcc, 0, v5, s[0:1]
	global_load_dwordx4 v[3:6], v[27:28], off
	global_load_dwordx4 v[7:10], v[27:28], off offset:16
	global_load_dwordx4 v[11:14], v[31:32], off
	global_load_dwordx4 v[15:18], v[29:30], off
	global_load_dwordx4 v[19:22], v[29:30], off offset:16
	global_load_dwordx4 v[23:26], v[31:32], off offset:16
	v_add_co_u32_e64 v0, s[0:1], s8, v0
	v_addc_co_u32_e64 v1, s[0:1], 0, v1, s[0:1]
	v_mov_b32_e32 v28, s31
	v_add_co_u32_e32 v27, vcc, s30, v2
	v_lshlrev_b64 v[29:30], 2, v[0:1]
	v_addc_co_u32_e32 v28, vcc, 0, v28, vcc
	v_cmp_le_i64_e32 vcc, s[6:7], v[29:30]
	s_add_u32 s30, s30, s9
	s_addc_u32 s31, s31, 0
	s_add_u32 s24, s24, s9
	s_addc_u32 s25, s25, 0
	s_add_u32 s28, s28, s9
	s_addc_u32 s29, s29, 0
	s_add_u32 s26, s26, s9
	s_addc_u32 s27, s27, 0
	s_or_b64 s[4:5], vcc, s[4:5]
	s_waitcnt vmcnt(5)
	v_mul_lo_u32 v33, v4, s10
	v_mul_lo_u32 v34, v3, s11
	v_mad_u64_u32 v[29:30], s[0:1], v3, s10, 0
	v_mul_lo_u32 v35, v6, s10
	v_mul_lo_u32 v36, v5, s11
	v_mad_u64_u32 v[31:32], s[0:1], v5, s10, 0
	s_waitcnt vmcnt(4)
	v_mul_lo_u32 v37, v8, s10
	v_mul_lo_u32 v38, v7, s11
	v_mad_u64_u32 v[7:8], s[0:1], v7, s10, 0
	v_mul_lo_u32 v39, v10, s10
	v_mul_lo_u32 v40, v9, s11
	v_mad_u64_u32 v[9:10], s[0:1], v9, s10, 0
	s_waitcnt vmcnt(2)
	v_mad_u64_u32 v[3:4], s[0:1], v29, v15, v[11:12]
	v_mad_u64_u32 v[5:6], s[0:1], v31, v17, v[13:14]
	v_add3_u32 v11, v30, v34, v33
	v_add3_u32 v13, v32, v36, v35
	v_mul_lo_u32 v12, v29, v16
	v_mul_lo_u32 v14, v31, v18
	v_add3_u32 v16, v8, v38, v37
	s_waitcnt vmcnt(1)
	v_mul_lo_u32 v18, v7, v20
	v_add3_u32 v20, v10, v40, v39
	v_mul_lo_u32 v11, v11, v15
	v_mul_lo_u32 v13, v13, v17
	s_waitcnt vmcnt(0)
	v_mad_u64_u32 v[7:8], s[0:1], v7, v19, v[23:24]
	v_mul_lo_u32 v22, v9, v22
	v_mad_u64_u32 v[9:10], s[0:1], v9, v21, v[25:26]
	v_mul_lo_u32 v15, v16, v19
	v_mul_lo_u32 v16, v20, v21
	v_add3_u32 v4, v11, v4, v12
	v_add3_u32 v6, v13, v6, v14
	;; [unrolled: 1-line block ×4, first 2 shown]
	global_store_dwordx4 v[27:28], v[3:6], off
	global_store_dwordx4 v[27:28], v[7:10], off offset:16
	s_andn2_b64 exec, exec, s[4:5]
	s_cbranch_execnz .LBB91_32
.LBB91_33:
	s_endpgm
	.section	.rodata,"a",@progbits
	.p2align	6, 0x0
	.amdhsa_kernel _ZN2at6native12_GLOBAL__N_125multi_tensor_apply_kernelINS1_28TensorListScalarListMetadataIlLi4EEENS1_28PointwiseOpScalarListFunctorIlLi4ELi3ELi3EEEJSt10multipliesIlEEEEvT_T0_DpT1_
		.amdhsa_group_segment_fixed_size 0
		.amdhsa_private_segment_fixed_size 0
		.amdhsa_kernarg_size 3592
		.amdhsa_user_sgpr_count 6
		.amdhsa_user_sgpr_private_segment_buffer 1
		.amdhsa_user_sgpr_dispatch_ptr 0
		.amdhsa_user_sgpr_queue_ptr 0
		.amdhsa_user_sgpr_kernarg_segment_ptr 1
		.amdhsa_user_sgpr_dispatch_id 0
		.amdhsa_user_sgpr_flat_scratch_init 0
		.amdhsa_user_sgpr_private_segment_size 0
		.amdhsa_uses_dynamic_stack 0
		.amdhsa_system_sgpr_private_segment_wavefront_offset 0
		.amdhsa_system_sgpr_workgroup_id_x 1
		.amdhsa_system_sgpr_workgroup_id_y 0
		.amdhsa_system_sgpr_workgroup_id_z 0
		.amdhsa_system_sgpr_workgroup_info 0
		.amdhsa_system_vgpr_workitem_id 0
		.amdhsa_next_free_vgpr 66
		.amdhsa_next_free_sgpr 36
		.amdhsa_reserve_vcc 1
		.amdhsa_reserve_flat_scratch 0
		.amdhsa_float_round_mode_32 0
		.amdhsa_float_round_mode_16_64 0
		.amdhsa_float_denorm_mode_32 3
		.amdhsa_float_denorm_mode_16_64 3
		.amdhsa_dx10_clamp 1
		.amdhsa_ieee_mode 1
		.amdhsa_fp16_overflow 0
		.amdhsa_exception_fp_ieee_invalid_op 0
		.amdhsa_exception_fp_denorm_src 0
		.amdhsa_exception_fp_ieee_div_zero 0
		.amdhsa_exception_fp_ieee_overflow 0
		.amdhsa_exception_fp_ieee_underflow 0
		.amdhsa_exception_fp_ieee_inexact 0
		.amdhsa_exception_int_div_zero 0
	.end_amdhsa_kernel
	.section	.text._ZN2at6native12_GLOBAL__N_125multi_tensor_apply_kernelINS1_28TensorListScalarListMetadataIlLi4EEENS1_28PointwiseOpScalarListFunctorIlLi4ELi3ELi3EEEJSt10multipliesIlEEEEvT_T0_DpT1_,"axG",@progbits,_ZN2at6native12_GLOBAL__N_125multi_tensor_apply_kernelINS1_28TensorListScalarListMetadataIlLi4EEENS1_28PointwiseOpScalarListFunctorIlLi4ELi3ELi3EEEJSt10multipliesIlEEEEvT_T0_DpT1_,comdat
.Lfunc_end91:
	.size	_ZN2at6native12_GLOBAL__N_125multi_tensor_apply_kernelINS1_28TensorListScalarListMetadataIlLi4EEENS1_28PointwiseOpScalarListFunctorIlLi4ELi3ELi3EEEJSt10multipliesIlEEEEvT_T0_DpT1_, .Lfunc_end91-_ZN2at6native12_GLOBAL__N_125multi_tensor_apply_kernelINS1_28TensorListScalarListMetadataIlLi4EEENS1_28PointwiseOpScalarListFunctorIlLi4ELi3ELi3EEEJSt10multipliesIlEEEEvT_T0_DpT1_
                                        ; -- End function
	.set _ZN2at6native12_GLOBAL__N_125multi_tensor_apply_kernelINS1_28TensorListScalarListMetadataIlLi4EEENS1_28PointwiseOpScalarListFunctorIlLi4ELi3ELi3EEEJSt10multipliesIlEEEEvT_T0_DpT1_.num_vgpr, 66
	.set _ZN2at6native12_GLOBAL__N_125multi_tensor_apply_kernelINS1_28TensorListScalarListMetadataIlLi4EEENS1_28PointwiseOpScalarListFunctorIlLi4ELi3ELi3EEEJSt10multipliesIlEEEEvT_T0_DpT1_.num_agpr, 0
	.set _ZN2at6native12_GLOBAL__N_125multi_tensor_apply_kernelINS1_28TensorListScalarListMetadataIlLi4EEENS1_28PointwiseOpScalarListFunctorIlLi4ELi3ELi3EEEJSt10multipliesIlEEEEvT_T0_DpT1_.numbered_sgpr, 36
	.set _ZN2at6native12_GLOBAL__N_125multi_tensor_apply_kernelINS1_28TensorListScalarListMetadataIlLi4EEENS1_28PointwiseOpScalarListFunctorIlLi4ELi3ELi3EEEJSt10multipliesIlEEEEvT_T0_DpT1_.num_named_barrier, 0
	.set _ZN2at6native12_GLOBAL__N_125multi_tensor_apply_kernelINS1_28TensorListScalarListMetadataIlLi4EEENS1_28PointwiseOpScalarListFunctorIlLi4ELi3ELi3EEEJSt10multipliesIlEEEEvT_T0_DpT1_.private_seg_size, 0
	.set _ZN2at6native12_GLOBAL__N_125multi_tensor_apply_kernelINS1_28TensorListScalarListMetadataIlLi4EEENS1_28PointwiseOpScalarListFunctorIlLi4ELi3ELi3EEEJSt10multipliesIlEEEEvT_T0_DpT1_.uses_vcc, 1
	.set _ZN2at6native12_GLOBAL__N_125multi_tensor_apply_kernelINS1_28TensorListScalarListMetadataIlLi4EEENS1_28PointwiseOpScalarListFunctorIlLi4ELi3ELi3EEEJSt10multipliesIlEEEEvT_T0_DpT1_.uses_flat_scratch, 0
	.set _ZN2at6native12_GLOBAL__N_125multi_tensor_apply_kernelINS1_28TensorListScalarListMetadataIlLi4EEENS1_28PointwiseOpScalarListFunctorIlLi4ELi3ELi3EEEJSt10multipliesIlEEEEvT_T0_DpT1_.has_dyn_sized_stack, 0
	.set _ZN2at6native12_GLOBAL__N_125multi_tensor_apply_kernelINS1_28TensorListScalarListMetadataIlLi4EEENS1_28PointwiseOpScalarListFunctorIlLi4ELi3ELi3EEEJSt10multipliesIlEEEEvT_T0_DpT1_.has_recursion, 0
	.set _ZN2at6native12_GLOBAL__N_125multi_tensor_apply_kernelINS1_28TensorListScalarListMetadataIlLi4EEENS1_28PointwiseOpScalarListFunctorIlLi4ELi3ELi3EEEJSt10multipliesIlEEEEvT_T0_DpT1_.has_indirect_call, 0
	.section	.AMDGPU.csdata,"",@progbits
; Kernel info:
; codeLenInByte = 2448
; TotalNumSgprs: 40
; NumVgprs: 66
; ScratchSize: 0
; MemoryBound: 0
; FloatMode: 240
; IeeeMode: 1
; LDSByteSize: 0 bytes/workgroup (compile time only)
; SGPRBlocks: 4
; VGPRBlocks: 16
; NumSGPRsForWavesPerEU: 40
; NumVGPRsForWavesPerEU: 66
; Occupancy: 3
; WaveLimiterHint : 1
; COMPUTE_PGM_RSRC2:SCRATCH_EN: 0
; COMPUTE_PGM_RSRC2:USER_SGPR: 6
; COMPUTE_PGM_RSRC2:TRAP_HANDLER: 0
; COMPUTE_PGM_RSRC2:TGID_X_EN: 1
; COMPUTE_PGM_RSRC2:TGID_Y_EN: 0
; COMPUTE_PGM_RSRC2:TGID_Z_EN: 0
; COMPUTE_PGM_RSRC2:TIDIG_COMP_CNT: 0
	.section	.text._ZN2at6native12_GLOBAL__N_125multi_tensor_apply_kernelINS1_28TensorListScalarListMetadataIsLi4EEENS1_28PointwiseOpScalarListFunctorIsLi4ELi3ELi3EEEJSt10multipliesIsEEEEvT_T0_DpT1_,"axG",@progbits,_ZN2at6native12_GLOBAL__N_125multi_tensor_apply_kernelINS1_28TensorListScalarListMetadataIsLi4EEENS1_28PointwiseOpScalarListFunctorIsLi4ELi3ELi3EEEJSt10multipliesIsEEEEvT_T0_DpT1_,comdat
	.globl	_ZN2at6native12_GLOBAL__N_125multi_tensor_apply_kernelINS1_28TensorListScalarListMetadataIsLi4EEENS1_28PointwiseOpScalarListFunctorIsLi4ELi3ELi3EEEJSt10multipliesIsEEEEvT_T0_DpT1_ ; -- Begin function _ZN2at6native12_GLOBAL__N_125multi_tensor_apply_kernelINS1_28TensorListScalarListMetadataIsLi4EEENS1_28PointwiseOpScalarListFunctorIsLi4ELi3ELi3EEEJSt10multipliesIsEEEEvT_T0_DpT1_
	.p2align	8
	.type	_ZN2at6native12_GLOBAL__N_125multi_tensor_apply_kernelINS1_28TensorListScalarListMetadataIsLi4EEENS1_28PointwiseOpScalarListFunctorIsLi4ELi3ELi3EEEJSt10multipliesIsEEEEvT_T0_DpT1_,@function
_ZN2at6native12_GLOBAL__N_125multi_tensor_apply_kernelINS1_28TensorListScalarListMetadataIsLi4EEENS1_28PointwiseOpScalarListFunctorIsLi4ELi3ELi3EEEJSt10multipliesIsEEEEvT_T0_DpT1_: ; @_ZN2at6native12_GLOBAL__N_125multi_tensor_apply_kernelINS1_28TensorListScalarListMetadataIsLi4EEENS1_28PointwiseOpScalarListFunctorIsLi4ELi3ELi3EEEJSt10multipliesIsEEEEvT_T0_DpT1_
; %bb.0:
	v_mov_b32_e32 v1, s6
	global_load_ubyte v1, v1, s[4:5] offset:1512
	s_add_u32 s0, s4, s6
	s_mul_i32 s1, s6, 3
	s_addc_u32 s2, s5, 0
	s_mul_hi_u32 s3, s6, 3
	s_add_u32 s0, s0, s1
	s_addc_u32 s1, s2, s3
	s_load_dword s0, s[0:1], 0x728
	s_waitcnt vmcnt(0)
	v_readfirstlane_b32 s1, v1
	v_mul_hi_i32 v2, v1, -6
	v_mul_lo_u32 v1, v1, -6
	s_lshl_b32 s6, s1, 3
	s_waitcnt lgkmcnt(0)
	s_ashr_i32 s1, s0, 31
	s_add_u32 s7, s4, s6
	s_addc_u32 s8, s5, 0
	v_mov_b32_e32 v3, s8
	v_add_co_u32_e32 v1, vcc, s7, v1
	v_addc_co_u32_e32 v2, vcc, v3, v2, vcc
	s_load_dwordx2 s[2:3], s[4:5], s6 offset:0x480
	global_load_ushort v3, v[1:2], off offset:1440
	s_load_dwordx2 s[10:11], s[4:5], s6 offset:0x0
	s_load_dwordx2 s[12:13], s[4:5], s6 offset:0x120
	s_lshl_b64 s[18:19], s[0:1], 17
	s_load_dwordx2 s[14:15], s[4:5], s6 offset:0x240
	s_load_dwordx2 s[16:17], s[4:5], s6 offset:0x360
	s_mov_b32 s7, 0
	s_waitcnt lgkmcnt(0)
	s_and_b32 s6, s10, 7
	s_add_u32 s8, s12, s18
	s_and_b32 s8, s8, 7
	s_mov_b32 s9, s7
	s_cmp_eq_u64 s[8:9], 0
	s_cselect_b64 s[8:9], -1, 0
	s_add_u32 s20, s14, s18
	s_or_b32 s20, s16, s20
	s_and_b32 s20, s20, 7
	s_cmp_eq_u32 s20, 0
	s_cselect_b64 s[20:21], -1, 0
	s_and_b64 s[8:9], s[20:21], s[8:9]
	s_lshl_b64 s[0:1], s[0:1], 16
	s_sub_u32 s20, s2, s0
	s_subb_u32 s21, s3, s1
	s_and_b32 s0, s2, 3
	s_mov_b32 s1, s7
	s_or_b64 s[0:1], s[6:7], s[0:1]
	s_cmp_eq_u64 s[0:1], 0
	s_cselect_b64 s[0:1], -1, 0
	s_and_b64 s[2:3], s[8:9], s[0:1]
	s_mov_b64 s[0:1], -1
	s_and_b64 vcc, exec, s[2:3]
	s_cbranch_vccnz .LBB92_29
; %bb.1:
	v_cmp_lt_i64_e64 s[0:1], s[20:21], 1
	s_and_b64 vcc, exec, s[0:1]
	s_cbranch_vccnz .LBB92_28
; %bb.2:
	v_mov_b32_e32 v1, 0x10000
	s_load_dword s2, s[4:5], 0xc3c
	v_mov_b32_e32 v2, 0
	v_cmp_lt_i64_e32 vcc, s[20:21], v[1:2]
	v_mov_b32_e32 v25, 0
	s_and_b64 s[0:1], vcc, exec
	s_cselect_b32 s23, s21, 0
	s_cselect_b32 s22, s20, 0x10000
	s_waitcnt lgkmcnt(0)
	s_and_b32 s2, s2, 0xffff
	v_lshlrev_b32_e32 v24, 1, v0
	v_mad_u64_u32 v[8:9], s[0:1], s2, 6, v[24:25]
	v_cmp_lt_u64_e32 vcc, s[20:21], v[1:2]
	v_mov_b32_e32 v2, s11
	s_and_b64 s[0:1], vcc, exec
	v_add_co_u32_e32 v1, vcc, s10, v8
	v_addc_co_u32_e32 v2, vcc, v2, v9, vcc
	v_mov_b32_e32 v5, s13
	v_add_co_u32_e32 v4, vcc, s12, v8
	v_addc_co_u32_e32 v5, vcc, v5, v9, vcc
	v_mov_b32_e32 v7, s15
	;; [unrolled: 3-line block ×3, first 2 shown]
	v_add_co_u32_e32 v8, vcc, s16, v8
	s_cselect_b32 s25, s21, 0
	s_cselect_b32 s24, s20, 0x10000
	s_lshl_b32 s30, s2, 2
	v_addc_co_u32_e32 v9, vcc, v10, v9, vcc
	v_add_co_u32_e32 v16, vcc, s30, v24
	v_addc_co_u32_e64 v17, s[0:1], 0, 0, vcc
	v_mov_b32_e32 v11, s11
	v_add_co_u32_e32 v10, vcc, s10, v16
	v_addc_co_u32_e32 v11, vcc, v11, v17, vcc
	v_mov_b32_e32 v13, s13
	v_add_co_u32_e32 v12, vcc, s12, v16
	v_addc_co_u32_e32 v13, vcc, v13, v17, vcc
	;; [unrolled: 3-line block ×8, first 2 shown]
	v_add_co_u32_e32 v26, vcc, s2, v0
	v_lshlrev_b32_e32 v34, 1, v26
	v_addc_co_u32_e64 v27, s[0:1], 0, 0, vcc
	v_mov_b32_e32 v29, s11
	v_add_co_u32_e32 v28, vcc, s10, v34
	v_addc_co_u32_e32 v29, vcc, 0, v29, vcc
	v_mov_b32_e32 v31, s13
	v_add_co_u32_e32 v30, vcc, s12, v34
	v_addc_co_u32_e32 v31, vcc, 0, v31, vcc
	;; [unrolled: 3-line block ×3, first 2 shown]
	v_mov_b32_e32 v35, s17
	v_add_co_u32_e32 v34, vcc, s16, v34
	s_mul_i32 s6, s2, 3
	v_addc_co_u32_e32 v35, vcc, 0, v35, vcc
	s_lshl_b32 s3, s2, 1
	v_add_co_u32_e32 v36, vcc, s6, v0
	v_addc_co_u32_e64 v37, s[0:1], 0, 0, vcc
	v_add_co_u32_e32 v38, vcc, s3, v0
	s_lshl_b32 s31, s2, 3
	s_mov_b64 s[26:27], 0
	v_addc_co_u32_e64 v39, s[0:1], 0, 0, vcc
	s_branch .LBB92_4
.LBB92_3:                               ;   in Loop: Header=BB92_4 Depth=1
	s_or_b64 exec, exec, s[0:1]
	v_add_co_u32_e32 v18, vcc, s31, v18
	v_addc_co_u32_e32 v19, vcc, 0, v19, vcc
	v_add_co_u32_e32 v20, vcc, s31, v20
	v_addc_co_u32_e32 v21, vcc, 0, v21, vcc
	;; [unrolled: 2-line block ×14, first 2 shown]
	s_add_u32 s26, s26, s30
	v_add_co_u32_e32 v32, vcc, s31, v32
	s_waitcnt vmcnt(0)
	v_mov_b32_e32 v41, s23
	s_addc_u32 s27, s27, 0
	v_addc_co_u32_e32 v33, vcc, 0, v33, vcc
	v_mov_b32_e32 v40, s22
	v_cmp_lt_i64_e32 vcc, s[26:27], v[40:41]
	v_add_co_u32_e64 v34, s[0:1], s31, v34
	v_addc_co_u32_e64 v35, s[0:1], 0, v35, s[0:1]
	s_cbranch_vccz .LBB92_28
.LBB92_4:                               ; =>This Inner Loop Header: Depth=1
	v_mov_b32_e32 v41, s27
	v_add_co_u32_e32 v40, vcc, s26, v0
	v_addc_co_u32_e32 v41, vcc, 0, v41, vcc
	v_cmp_gt_u64_e32 vcc, s[24:25], v[40:41]
	v_mov_b32_e32 v41, 0
	v_mov_b32_e32 v40, 0
	s_and_saveexec_b64 s[2:3], vcc
	s_cbranch_execz .LBB92_6
; %bb.5:                                ;   in Loop: Header=BB92_4 Depth=1
	v_mov_b32_e32 v40, s19
	v_add_co_u32_e64 v42, s[0:1], s18, v18
	v_addc_co_u32_e64 v43, s[0:1], v19, v40, s[0:1]
	v_add_co_u32_e64 v44, s[0:1], s18, v20
	v_addc_co_u32_e64 v45, s[0:1], v21, v40, s[0:1]
	global_load_ushort v40, v[42:43], off
	global_load_ushort v41, v[44:45], off
.LBB92_6:                               ;   in Loop: Header=BB92_4 Depth=1
	s_or_b64 exec, exec, s[2:3]
	v_mov_b32_e32 v42, 0
	v_mov_b32_e32 v43, 0
	s_and_saveexec_b64 s[2:3], vcc
	s_cbranch_execz .LBB92_8
; %bb.7:                                ;   in Loop: Header=BB92_4 Depth=1
	v_mov_b32_e32 v44, s19
	v_add_co_u32_e64 v43, s[0:1], s18, v22
	v_addc_co_u32_e64 v44, s[0:1], v23, v44, s[0:1]
	global_load_ushort v43, v[43:44], off
.LBB92_8:                               ;   in Loop: Header=BB92_4 Depth=1
	s_or_b64 exec, exec, s[2:3]
	v_mov_b32_e32 v45, s27
	v_add_co_u32_e64 v44, s[0:1], s26, v26
	v_addc_co_u32_e64 v45, s[0:1], v27, v45, s[0:1]
	v_cmp_gt_u64_e64 s[0:1], s[24:25], v[44:45]
	v_mov_b32_e32 v44, 0
	s_and_saveexec_b64 s[6:7], s[0:1]
	s_cbranch_execz .LBB92_10
; %bb.9:                                ;   in Loop: Header=BB92_4 Depth=1
	v_mov_b32_e32 v42, s19
	v_add_co_u32_e64 v45, s[2:3], s18, v30
	v_addc_co_u32_e64 v46, s[2:3], v31, v42, s[2:3]
	v_add_co_u32_e64 v47, s[2:3], s18, v28
	v_addc_co_u32_e64 v48, s[2:3], v29, v42, s[2:3]
	global_load_ushort v44, v[47:48], off
	global_load_ushort v42, v[45:46], off
.LBB92_10:                              ;   in Loop: Header=BB92_4 Depth=1
	s_or_b64 exec, exec, s[6:7]
	v_mov_b32_e32 v45, 0
	v_mov_b32_e32 v46, 0
	s_and_saveexec_b64 s[6:7], s[0:1]
	s_cbranch_execz .LBB92_12
; %bb.11:                               ;   in Loop: Header=BB92_4 Depth=1
	v_mov_b32_e32 v47, s19
	v_add_co_u32_e64 v46, s[2:3], s18, v32
	v_addc_co_u32_e64 v47, s[2:3], v33, v47, s[2:3]
	global_load_ushort v46, v[46:47], off
.LBB92_12:                              ;   in Loop: Header=BB92_4 Depth=1
	s_or_b64 exec, exec, s[6:7]
	v_mov_b32_e32 v48, s27
	v_add_co_u32_e64 v47, s[2:3], s26, v38
	v_addc_co_u32_e64 v48, s[2:3], v39, v48, s[2:3]
	v_cmp_gt_u64_e64 s[2:3], s[24:25], v[47:48]
	v_mov_b32_e32 v47, 0
	s_and_saveexec_b64 s[8:9], s[2:3]
	s_cbranch_execz .LBB92_14
; %bb.13:                               ;   in Loop: Header=BB92_4 Depth=1
	v_mov_b32_e32 v45, s19
	v_add_co_u32_e64 v48, s[6:7], s18, v12
	v_addc_co_u32_e64 v49, s[6:7], v13, v45, s[6:7]
	v_add_co_u32_e64 v50, s[6:7], s18, v10
	v_addc_co_u32_e64 v51, s[6:7], v11, v45, s[6:7]
	global_load_ushort v47, v[50:51], off
	global_load_ushort v45, v[48:49], off
.LBB92_14:                              ;   in Loop: Header=BB92_4 Depth=1
	s_or_b64 exec, exec, s[8:9]
	v_mov_b32_e32 v48, 0
	v_mov_b32_e32 v49, 0
	s_and_saveexec_b64 s[8:9], s[2:3]
	s_cbranch_execz .LBB92_16
; %bb.15:                               ;   in Loop: Header=BB92_4 Depth=1
	v_mov_b32_e32 v50, s19
	v_add_co_u32_e64 v49, s[6:7], s18, v14
	v_addc_co_u32_e64 v50, s[6:7], v15, v50, s[6:7]
	global_load_ushort v49, v[49:50], off
.LBB92_16:                              ;   in Loop: Header=BB92_4 Depth=1
	s_or_b64 exec, exec, s[8:9]
	v_mov_b32_e32 v51, s27
	v_add_co_u32_e64 v50, s[6:7], s26, v36
	v_addc_co_u32_e64 v51, s[6:7], v37, v51, s[6:7]
	v_cmp_gt_u64_e64 s[6:7], s[24:25], v[50:51]
	v_mov_b32_e32 v50, 0
	s_and_saveexec_b64 s[28:29], s[6:7]
	s_cbranch_execnz .LBB92_22
; %bb.17:                               ;   in Loop: Header=BB92_4 Depth=1
	s_or_b64 exec, exec, s[28:29]
	v_mov_b32_e32 v51, 0
	s_and_saveexec_b64 s[28:29], s[6:7]
	s_cbranch_execnz .LBB92_23
.LBB92_18:                              ;   in Loop: Header=BB92_4 Depth=1
	s_or_b64 exec, exec, s[28:29]
	s_and_saveexec_b64 s[8:9], vcc
	s_cbranch_execnz .LBB92_24
.LBB92_19:                              ;   in Loop: Header=BB92_4 Depth=1
	s_or_b64 exec, exec, s[8:9]
	s_and_saveexec_b64 s[8:9], s[0:1]
	s_cbranch_execnz .LBB92_25
.LBB92_20:                              ;   in Loop: Header=BB92_4 Depth=1
	s_or_b64 exec, exec, s[8:9]
	s_and_saveexec_b64 s[0:1], s[2:3]
	s_cbranch_execnz .LBB92_26
.LBB92_21:                              ;   in Loop: Header=BB92_4 Depth=1
	s_or_b64 exec, exec, s[0:1]
	s_and_saveexec_b64 s[0:1], s[6:7]
	s_cbranch_execz .LBB92_3
	s_branch .LBB92_27
.LBB92_22:                              ;   in Loop: Header=BB92_4 Depth=1
	v_mov_b32_e32 v48, s19
	v_add_co_u32_e64 v51, s[8:9], s18, v4
	v_addc_co_u32_e64 v52, s[8:9], v5, v48, s[8:9]
	v_add_co_u32_e64 v53, s[8:9], s18, v1
	v_addc_co_u32_e64 v54, s[8:9], v2, v48, s[8:9]
	global_load_ushort v50, v[53:54], off
	global_load_ushort v48, v[51:52], off
	s_or_b64 exec, exec, s[28:29]
	v_mov_b32_e32 v51, 0
	s_and_saveexec_b64 s[28:29], s[6:7]
	s_cbranch_execz .LBB92_18
.LBB92_23:                              ;   in Loop: Header=BB92_4 Depth=1
	v_mov_b32_e32 v52, s19
	v_add_co_u32_e64 v51, s[8:9], s18, v6
	v_addc_co_u32_e64 v52, s[8:9], v7, v52, s[8:9]
	global_load_ushort v51, v[51:52], off
	s_or_b64 exec, exec, s[28:29]
	s_and_saveexec_b64 s[8:9], vcc
	s_cbranch_execz .LBB92_19
.LBB92_24:                              ;   in Loop: Header=BB92_4 Depth=1
	s_waitcnt vmcnt(0)
	v_mul_lo_u16_e32 v41, v41, v3
	v_mad_legacy_u16 v43, v41, v43, v40
	v_mov_b32_e32 v41, s19
	v_add_co_u32_e32 v40, vcc, s18, v24
	v_addc_co_u32_e32 v41, vcc, v25, v41, vcc
	global_store_short v[40:41], v43, off
	s_or_b64 exec, exec, s[8:9]
	s_and_saveexec_b64 s[8:9], s[0:1]
	s_cbranch_execz .LBB92_20
.LBB92_25:                              ;   in Loop: Header=BB92_4 Depth=1
	s_waitcnt vmcnt(0)
	v_mul_lo_u16_e32 v40, v42, v3
	v_mad_legacy_u16 v42, v40, v46, v44
	v_mov_b32_e32 v41, s19
	v_add_co_u32_e32 v40, vcc, s18, v34
	v_addc_co_u32_e32 v41, vcc, v35, v41, vcc
	global_store_short v[40:41], v42, off
	s_or_b64 exec, exec, s[8:9]
	s_and_saveexec_b64 s[0:1], s[2:3]
	s_cbranch_execz .LBB92_21
.LBB92_26:                              ;   in Loop: Header=BB92_4 Depth=1
	s_waitcnt vmcnt(0)
	v_mul_lo_u16_e32 v40, v45, v3
	v_mad_legacy_u16 v42, v40, v49, v47
	v_mov_b32_e32 v41, s19
	v_add_co_u32_e32 v40, vcc, s18, v16
	v_addc_co_u32_e32 v41, vcc, v17, v41, vcc
	global_store_short v[40:41], v42, off
	s_or_b64 exec, exec, s[0:1]
	s_and_saveexec_b64 s[0:1], s[6:7]
	s_cbranch_execz .LBB92_3
.LBB92_27:                              ;   in Loop: Header=BB92_4 Depth=1
	s_waitcnt vmcnt(0)
	v_mul_lo_u16_e32 v40, v48, v3
	v_mad_legacy_u16 v42, v40, v51, v50
	v_mov_b32_e32 v41, s19
	v_add_co_u32_e32 v40, vcc, s18, v8
	v_addc_co_u32_e32 v41, vcc, v9, v41, vcc
	global_store_short v[40:41], v42, off
	s_branch .LBB92_3
.LBB92_28:
	s_mov_b64 s[0:1], 0
.LBB92_29:
	s_andn2_b64 vcc, exec, s[0:1]
	s_cbranch_vccnz .LBB92_33
; %bb.30:
	v_mov_b32_e32 v1, 0x10000
	v_mov_b32_e32 v2, 0
	v_cmp_lt_i64_e32 vcc, s[20:21], v[1:2]
	v_mov_b32_e32 v2, 0
	s_and_b64 s[0:1], vcc, exec
	s_cselect_b32 s1, s21, 0
	s_cselect_b32 s0, s20, 0x10000
	v_lshlrev_b32_e32 v1, 2, v0
	v_cmp_gt_i64_e32 vcc, s[0:1], v[1:2]
	s_and_saveexec_b64 s[2:3], vcc
	s_cbranch_execz .LBB92_33
; %bb.31:
	s_load_dword s2, s[4:5], 0xc3c
	v_mov_b32_e32 v1, v2
	v_lshlrev_b32_e32 v2, 3, v0
	v_mov_b32_e32 v4, s19
	v_add_co_u32_e32 v2, vcc, s18, v2
	s_waitcnt lgkmcnt(0)
	s_and_b32 s4, s2, 0xffff
	v_addc_co_u32_e32 v4, vcc, 0, v4, vcc
	s_lshl_b32 s5, s4, 3
	s_mov_b64 s[2:3], 0
	v_mov_b32_e32 v5, s11
	v_mov_b32_e32 v6, s13
	v_mov_b32_e32 v7, s15
	v_mov_b32_e32 v8, s17
.LBB92_32:                              ; =>This Inner Loop Header: Depth=1
	v_add_co_u32_e32 v9, vcc, s10, v2
	v_addc_co_u32_e32 v10, vcc, v5, v4, vcc
	v_add_co_u32_e32 v11, vcc, s12, v2
	v_addc_co_u32_e32 v12, vcc, v6, v4, vcc
	;; [unrolled: 2-line block ×3, first 2 shown]
	global_load_dwordx2 v[15:16], v[11:12], off
	global_load_dwordx2 v[17:18], v[9:10], off
	;; [unrolled: 1-line block ×3, first 2 shown]
	v_add_co_u32_e32 v9, vcc, s16, v2
	v_addc_co_u32_e32 v10, vcc, v8, v4, vcc
	v_add_co_u32_e32 v0, vcc, s4, v0
	v_addc_co_u32_e32 v1, vcc, 0, v1, vcc
	v_add_co_u32_e32 v2, vcc, s5, v2
	v_lshlrev_b64 v[11:12], 2, v[0:1]
	v_addc_co_u32_e32 v4, vcc, 0, v4, vcc
	v_cmp_le_i64_e32 vcc, s[0:1], v[11:12]
	s_or_b64 s[2:3], vcc, s[2:3]
	s_waitcnt vmcnt(2)
	v_mul_lo_u16_e32 v11, v3, v15
	s_waitcnt vmcnt(1)
	v_lshrrev_b32_e32 v12, 16, v17
	s_waitcnt vmcnt(0)
	v_lshrrev_b32_e32 v13, 16, v19
	v_mul_lo_u16_sdwa v14, v3, v15 dst_sel:DWORD dst_unused:UNUSED_PAD src0_sel:DWORD src1_sel:WORD_1
	v_mul_lo_u16_e32 v15, v3, v16
	v_lshrrev_b32_e32 v21, 16, v18
	v_lshrrev_b32_e32 v22, 16, v20
	v_mul_lo_u16_sdwa v16, v3, v16 dst_sel:DWORD dst_unused:UNUSED_PAD src0_sel:DWORD src1_sel:WORD_1
	v_mul_lo_u16_e32 v11, v11, v19
	v_mad_legacy_u16 v12, v14, v13, v12
	v_mad_legacy_u16 v14, v16, v22, v21
	v_add_u16_e32 v11, v11, v17
	v_lshlrev_b32_e32 v12, 16, v12
	v_mad_legacy_u16 v13, v15, v20, v18
	v_lshlrev_b32_e32 v14, 16, v14
	v_or_b32_e32 v11, v12, v11
	v_or3_b32 v12, 0, v13, v14
	v_or3_b32 v11, v11, 0, 0
	global_store_dwordx2 v[9:10], v[11:12], off
	s_andn2_b64 exec, exec, s[2:3]
	s_cbranch_execnz .LBB92_32
.LBB92_33:
	s_endpgm
	.section	.rodata,"a",@progbits
	.p2align	6, 0x0
	.amdhsa_kernel _ZN2at6native12_GLOBAL__N_125multi_tensor_apply_kernelINS1_28TensorListScalarListMetadataIsLi4EEENS1_28PointwiseOpScalarListFunctorIsLi4ELi3ELi3EEEJSt10multipliesIsEEEEvT_T0_DpT1_
		.amdhsa_group_segment_fixed_size 0
		.amdhsa_private_segment_fixed_size 0
		.amdhsa_kernarg_size 3376
		.amdhsa_user_sgpr_count 6
		.amdhsa_user_sgpr_private_segment_buffer 1
		.amdhsa_user_sgpr_dispatch_ptr 0
		.amdhsa_user_sgpr_queue_ptr 0
		.amdhsa_user_sgpr_kernarg_segment_ptr 1
		.amdhsa_user_sgpr_dispatch_id 0
		.amdhsa_user_sgpr_flat_scratch_init 0
		.amdhsa_user_sgpr_private_segment_size 0
		.amdhsa_uses_dynamic_stack 0
		.amdhsa_system_sgpr_private_segment_wavefront_offset 0
		.amdhsa_system_sgpr_workgroup_id_x 1
		.amdhsa_system_sgpr_workgroup_id_y 0
		.amdhsa_system_sgpr_workgroup_id_z 0
		.amdhsa_system_sgpr_workgroup_info 0
		.amdhsa_system_vgpr_workitem_id 0
		.amdhsa_next_free_vgpr 55
		.amdhsa_next_free_sgpr 32
		.amdhsa_reserve_vcc 1
		.amdhsa_reserve_flat_scratch 0
		.amdhsa_float_round_mode_32 0
		.amdhsa_float_round_mode_16_64 0
		.amdhsa_float_denorm_mode_32 3
		.amdhsa_float_denorm_mode_16_64 3
		.amdhsa_dx10_clamp 1
		.amdhsa_ieee_mode 1
		.amdhsa_fp16_overflow 0
		.amdhsa_exception_fp_ieee_invalid_op 0
		.amdhsa_exception_fp_denorm_src 0
		.amdhsa_exception_fp_ieee_div_zero 0
		.amdhsa_exception_fp_ieee_overflow 0
		.amdhsa_exception_fp_ieee_underflow 0
		.amdhsa_exception_fp_ieee_inexact 0
		.amdhsa_exception_int_div_zero 0
	.end_amdhsa_kernel
	.section	.text._ZN2at6native12_GLOBAL__N_125multi_tensor_apply_kernelINS1_28TensorListScalarListMetadataIsLi4EEENS1_28PointwiseOpScalarListFunctorIsLi4ELi3ELi3EEEJSt10multipliesIsEEEEvT_T0_DpT1_,"axG",@progbits,_ZN2at6native12_GLOBAL__N_125multi_tensor_apply_kernelINS1_28TensorListScalarListMetadataIsLi4EEENS1_28PointwiseOpScalarListFunctorIsLi4ELi3ELi3EEEJSt10multipliesIsEEEEvT_T0_DpT1_,comdat
.Lfunc_end92:
	.size	_ZN2at6native12_GLOBAL__N_125multi_tensor_apply_kernelINS1_28TensorListScalarListMetadataIsLi4EEENS1_28PointwiseOpScalarListFunctorIsLi4ELi3ELi3EEEJSt10multipliesIsEEEEvT_T0_DpT1_, .Lfunc_end92-_ZN2at6native12_GLOBAL__N_125multi_tensor_apply_kernelINS1_28TensorListScalarListMetadataIsLi4EEENS1_28PointwiseOpScalarListFunctorIsLi4ELi3ELi3EEEJSt10multipliesIsEEEEvT_T0_DpT1_
                                        ; -- End function
	.set _ZN2at6native12_GLOBAL__N_125multi_tensor_apply_kernelINS1_28TensorListScalarListMetadataIsLi4EEENS1_28PointwiseOpScalarListFunctorIsLi4ELi3ELi3EEEJSt10multipliesIsEEEEvT_T0_DpT1_.num_vgpr, 55
	.set _ZN2at6native12_GLOBAL__N_125multi_tensor_apply_kernelINS1_28TensorListScalarListMetadataIsLi4EEENS1_28PointwiseOpScalarListFunctorIsLi4ELi3ELi3EEEJSt10multipliesIsEEEEvT_T0_DpT1_.num_agpr, 0
	.set _ZN2at6native12_GLOBAL__N_125multi_tensor_apply_kernelINS1_28TensorListScalarListMetadataIsLi4EEENS1_28PointwiseOpScalarListFunctorIsLi4ELi3ELi3EEEJSt10multipliesIsEEEEvT_T0_DpT1_.numbered_sgpr, 32
	.set _ZN2at6native12_GLOBAL__N_125multi_tensor_apply_kernelINS1_28TensorListScalarListMetadataIsLi4EEENS1_28PointwiseOpScalarListFunctorIsLi4ELi3ELi3EEEJSt10multipliesIsEEEEvT_T0_DpT1_.num_named_barrier, 0
	.set _ZN2at6native12_GLOBAL__N_125multi_tensor_apply_kernelINS1_28TensorListScalarListMetadataIsLi4EEENS1_28PointwiseOpScalarListFunctorIsLi4ELi3ELi3EEEJSt10multipliesIsEEEEvT_T0_DpT1_.private_seg_size, 0
	.set _ZN2at6native12_GLOBAL__N_125multi_tensor_apply_kernelINS1_28TensorListScalarListMetadataIsLi4EEENS1_28PointwiseOpScalarListFunctorIsLi4ELi3ELi3EEEJSt10multipliesIsEEEEvT_T0_DpT1_.uses_vcc, 1
	.set _ZN2at6native12_GLOBAL__N_125multi_tensor_apply_kernelINS1_28TensorListScalarListMetadataIsLi4EEENS1_28PointwiseOpScalarListFunctorIsLi4ELi3ELi3EEEJSt10multipliesIsEEEEvT_T0_DpT1_.uses_flat_scratch, 0
	.set _ZN2at6native12_GLOBAL__N_125multi_tensor_apply_kernelINS1_28TensorListScalarListMetadataIsLi4EEENS1_28PointwiseOpScalarListFunctorIsLi4ELi3ELi3EEEJSt10multipliesIsEEEEvT_T0_DpT1_.has_dyn_sized_stack, 0
	.set _ZN2at6native12_GLOBAL__N_125multi_tensor_apply_kernelINS1_28TensorListScalarListMetadataIsLi4EEENS1_28PointwiseOpScalarListFunctorIsLi4ELi3ELi3EEEJSt10multipliesIsEEEEvT_T0_DpT1_.has_recursion, 0
	.set _ZN2at6native12_GLOBAL__N_125multi_tensor_apply_kernelINS1_28TensorListScalarListMetadataIsLi4EEENS1_28PointwiseOpScalarListFunctorIsLi4ELi3ELi3EEEJSt10multipliesIsEEEEvT_T0_DpT1_.has_indirect_call, 0
	.section	.AMDGPU.csdata,"",@progbits
; Kernel info:
; codeLenInByte = 1968
; TotalNumSgprs: 36
; NumVgprs: 55
; ScratchSize: 0
; MemoryBound: 0
; FloatMode: 240
; IeeeMode: 1
; LDSByteSize: 0 bytes/workgroup (compile time only)
; SGPRBlocks: 4
; VGPRBlocks: 13
; NumSGPRsForWavesPerEU: 36
; NumVGPRsForWavesPerEU: 55
; Occupancy: 4
; WaveLimiterHint : 0
; COMPUTE_PGM_RSRC2:SCRATCH_EN: 0
; COMPUTE_PGM_RSRC2:USER_SGPR: 6
; COMPUTE_PGM_RSRC2:TRAP_HANDLER: 0
; COMPUTE_PGM_RSRC2:TGID_X_EN: 1
; COMPUTE_PGM_RSRC2:TGID_Y_EN: 0
; COMPUTE_PGM_RSRC2:TGID_Z_EN: 0
; COMPUTE_PGM_RSRC2:TIDIG_COMP_CNT: 0
	.section	.text._ZN2at6native12_GLOBAL__N_125multi_tensor_apply_kernelINS1_28TensorListScalarListMetadataIdLi4EEENS1_28PointwiseOpScalarListFunctorIdLi4ELi3ELi3EEEJSt10multipliesIdEEEEvT_T0_DpT1_,"axG",@progbits,_ZN2at6native12_GLOBAL__N_125multi_tensor_apply_kernelINS1_28TensorListScalarListMetadataIdLi4EEENS1_28PointwiseOpScalarListFunctorIdLi4ELi3ELi3EEEJSt10multipliesIdEEEEvT_T0_DpT1_,comdat
	.globl	_ZN2at6native12_GLOBAL__N_125multi_tensor_apply_kernelINS1_28TensorListScalarListMetadataIdLi4EEENS1_28PointwiseOpScalarListFunctorIdLi4ELi3ELi3EEEJSt10multipliesIdEEEEvT_T0_DpT1_ ; -- Begin function _ZN2at6native12_GLOBAL__N_125multi_tensor_apply_kernelINS1_28TensorListScalarListMetadataIdLi4EEENS1_28PointwiseOpScalarListFunctorIdLi4ELi3ELi3EEEJSt10multipliesIdEEEEvT_T0_DpT1_
	.p2align	8
	.type	_ZN2at6native12_GLOBAL__N_125multi_tensor_apply_kernelINS1_28TensorListScalarListMetadataIdLi4EEENS1_28PointwiseOpScalarListFunctorIdLi4ELi3ELi3EEEJSt10multipliesIdEEEEvT_T0_DpT1_,@function
_ZN2at6native12_GLOBAL__N_125multi_tensor_apply_kernelINS1_28TensorListScalarListMetadataIdLi4EEENS1_28PointwiseOpScalarListFunctorIdLi4ELi3ELi3EEEJSt10multipliesIdEEEEvT_T0_DpT1_: ; @_ZN2at6native12_GLOBAL__N_125multi_tensor_apply_kernelINS1_28TensorListScalarListMetadataIdLi4EEENS1_28PointwiseOpScalarListFunctorIdLi4ELi3ELi3EEEJSt10multipliesIdEEEEvT_T0_DpT1_
; %bb.0:
	v_mov_b32_e32 v1, s6
	global_load_ubyte v1, v1, s[4:5] offset:1728
	s_add_u32 s0, s4, s6
	s_mul_hi_u32 s1, s6, 3
	s_mul_i32 s6, s6, 3
	s_addc_u32 s2, s5, 0
	s_add_u32 s0, s0, s6
	s_addc_u32 s1, s2, s1
	s_load_dword s20, s[0:1], 0x800
	s_mov_b32 s11, 0
	s_mov_b32 s17, s11
	;; [unrolled: 1-line block ×3, first 2 shown]
	s_waitcnt lgkmcnt(0)
	s_ashr_i32 s21, s20, 31
	s_lshl_b64 s[14:15], s[20:21], 19
	s_waitcnt vmcnt(0)
	v_readfirstlane_b32 s0, v1
	s_lshl_b32 s10, s0, 3
	s_load_dwordx2 s[22:23], s[4:5], s10 offset:0x480
	s_load_dwordx2 s[12:13], s[4:5], s10 offset:0x5a0
	;; [unrolled: 1-line block ×6, first 2 shown]
	s_waitcnt lgkmcnt(0)
	s_add_u32 s28, s8, s14
	s_addc_u32 s29, s9, s15
	s_and_b32 s10, s28, 31
	s_add_u32 s30, s6, s14
	s_addc_u32 s31, s7, s15
	s_and_b32 s16, s30, 31
	s_cmp_eq_u64 s[16:17], 0
	s_cselect_b64 s[16:17], -1, 0
	s_add_u32 s33, s2, s14
	s_addc_u32 s34, s3, s15
	s_add_u32 s35, s0, s14
	s_addc_u32 s36, s1, s15
	s_or_b32 s18, s35, s33
	s_and_b32 s18, s18, 31
	s_cmp_eq_u32 s18, 0
	s_cselect_b64 s[24:25], -1, 0
	s_lshl_b64 s[20:21], s[20:21], 16
	s_and_b64 s[24:25], s[24:25], s[16:17]
	s_sub_u32 s16, s22, s20
	s_subb_u32 s17, s23, s21
	s_and_b32 s18, s22, 3
	s_or_b64 s[10:11], s[10:11], s[18:19]
	s_cmp_eq_u64 s[10:11], 0
	s_cselect_b64 s[10:11], -1, 0
	s_and_b64 s[18:19], s[24:25], s[10:11]
	s_mov_b64 s[10:11], -1
	s_and_b64 vcc, exec, s[18:19]
	s_cbranch_vccnz .LBB93_45
; %bb.1:
	v_cmp_lt_i64_e64 s[10:11], s[16:17], 1
	s_and_b64 vcc, exec, s[10:11]
	s_cbranch_vccnz .LBB93_44
; %bb.2:
	v_mov_b32_e32 v1, 0x10000
	s_load_dword s20, s[4:5], 0xd14
	v_mov_b32_e32 v2, 0
	v_cmp_lt_i64_e32 vcc, s[16:17], v[1:2]
	v_mov_b32_e32 v3, 0
	s_and_b64 s[10:11], vcc, exec
	s_cselect_b32 s19, s17, 0
	s_cselect_b32 s18, s16, 0x10000
	v_cmp_lt_u64_e32 vcc, s[16:17], v[1:2]
	s_waitcnt lgkmcnt(0)
	s_and_b32 s24, s20, 0xffff
	v_lshlrev_b32_e32 v2, 3, v0
	v_mad_u64_u32 v[3:4], s[10:11], s24, 24, v[2:3]
	s_and_b64 s[10:11], vcc, exec
	v_mov_b32_e32 v7, s9
	v_add_co_u32_e32 v27, vcc, s8, v3
	v_addc_co_u32_e32 v28, vcc, v7, v4, vcc
	v_mov_b32_e32 v7, s7
	v_add_co_u32_e32 v29, vcc, s6, v3
	v_addc_co_u32_e32 v30, vcc, v7, v4, vcc
	;; [unrolled: 3-line block ×3, first 2 shown]
	v_mov_b32_e32 v7, s1
	v_add_co_u32_e32 v33, vcc, s0, v3
	s_cselect_b32 s21, s17, 0
	s_cselect_b32 s20, s16, 0x10000
	v_addc_co_u32_e32 v34, vcc, v7, v4, vcc
	s_lshl_b32 s10, s24, 4
	v_add_co_u32_e32 v4, vcc, s10, v2
	v_addc_co_u32_e64 v7, s[10:11], 0, 0, vcc
	v_mov_b32_e32 v8, s9
	v_add_co_u32_e32 v35, vcc, s8, v4
	v_addc_co_u32_e32 v36, vcc, v8, v7, vcc
	v_mov_b32_e32 v8, s7
	v_add_co_u32_e32 v37, vcc, s6, v4
	v_addc_co_u32_e32 v38, vcc, v8, v7, vcc
	;; [unrolled: 3-line block ×8, first 2 shown]
	v_add_co_u32_e32 v51, vcc, s24, v0
	v_lshlrev_b32_e32 v1, 3, v51
	v_addc_co_u32_e64 v52, s[10:11], 0, 0, vcc
	v_mov_b32_e32 v2, s9
	v_add_co_u32_e32 v53, vcc, s8, v1
	v_addc_co_u32_e32 v54, vcc, 0, v2, vcc
	v_mov_b32_e32 v2, s7
	v_add_co_u32_e32 v55, vcc, s6, v1
	v_cmp_neq_f64_e64 s[22:23], s[12:13], 1.0
	v_addc_co_u32_e32 v56, vcc, 0, v2, vcc
	v_mov_b32_e32 v2, s3
	v_add_co_u32_e32 v57, vcc, s2, v1
	v_addc_co_u32_e32 v58, vcc, 0, v2, vcc
	v_mov_b32_e32 v2, s1
	v_add_co_u32_e32 v59, vcc, s0, v1
	s_mul_i32 s27, s24, 3
	v_addc_co_u32_e32 v60, vcc, 0, v2, vcc
	s_lshl_b32 s26, s24, 1
	v_add_co_u32_e32 v61, vcc, s27, v0
	v_addc_co_u32_e64 v62, s[0:1], 0, 0, vcc
	v_add_co_u32_e32 v63, vcc, s26, v0
	s_lshl_b32 s37, s24, 2
	s_lshl_b32 s38, s24, 5
	s_mov_b64 s[24:25], 0
	v_addc_co_u32_e64 v64, s[0:1], 0, 0, vcc
	s_branch .LBB93_4
.LBB93_3:                               ;   in Loop: Header=BB93_4 Depth=1
	s_or_b64 exec, exec, s[0:1]
	v_add_co_u32_e32 v43, vcc, s38, v43
	v_addc_co_u32_e32 v44, vcc, 0, v44, vcc
	v_add_co_u32_e32 v45, vcc, s38, v45
	v_addc_co_u32_e32 v46, vcc, 0, v46, vcc
	;; [unrolled: 2-line block ×14, first 2 shown]
	s_add_u32 s24, s24, s37
	v_add_co_u32_e32 v57, vcc, s38, v57
	v_mov_b32_e32 v1, s18
	s_addc_u32 s25, s25, 0
	v_addc_co_u32_e32 v58, vcc, 0, v58, vcc
	v_mov_b32_e32 v2, s19
	v_cmp_ge_i64_e32 vcc, s[24:25], v[1:2]
	v_add_co_u32_e64 v59, s[0:1], s38, v59
	v_addc_co_u32_e64 v60, s[0:1], 0, v60, s[0:1]
	s_cbranch_vccnz .LBB93_44
.LBB93_4:                               ; =>This Inner Loop Header: Depth=1
	v_mov_b32_e32 v2, s25
	v_add_co_u32_e32 v1, vcc, s24, v0
	v_addc_co_u32_e32 v2, vcc, 0, v2, vcc
	v_cmp_gt_u64_e64 s[0:1], s[20:21], v[1:2]
	v_mov_b32_e32 v1, 0
	v_mov_b32_e32 v3, 0
	v_mov_b32_e32 v5, 0
	v_mov_b32_e32 v2, 0
	v_mov_b32_e32 v4, 0
	v_mov_b32_e32 v6, 0
	s_and_saveexec_b64 s[2:3], s[0:1]
	s_cbranch_execz .LBB93_6
; %bb.5:                                ;   in Loop: Header=BB93_4 Depth=1
	v_mov_b32_e32 v3, s15
	v_add_co_u32_e32 v7, vcc, s14, v43
	v_addc_co_u32_e32 v8, vcc, v44, v3, vcc
	v_add_co_u32_e32 v9, vcc, s14, v45
	v_addc_co_u32_e32 v10, vcc, v46, v3, vcc
	global_load_dwordx2 v[5:6], v[7:8], off
	global_load_dwordx2 v[3:4], v[9:10], off
.LBB93_6:                               ;   in Loop: Header=BB93_4 Depth=1
	s_or_b64 exec, exec, s[2:3]
	s_and_saveexec_b64 s[2:3], s[0:1]
	s_cbranch_execz .LBB93_8
; %bb.7:                                ;   in Loop: Header=BB93_4 Depth=1
	v_mov_b32_e32 v2, s15
	v_add_co_u32_e32 v1, vcc, s14, v47
	v_addc_co_u32_e32 v2, vcc, v48, v2, vcc
	global_load_dwordx2 v[1:2], v[1:2], off
.LBB93_8:                               ;   in Loop: Header=BB93_4 Depth=1
	s_or_b64 exec, exec, s[2:3]
	v_mov_b32_e32 v8, s25
	v_add_co_u32_e32 v7, vcc, s24, v51
	v_addc_co_u32_e32 v8, vcc, v52, v8, vcc
	v_cmp_gt_u64_e64 s[2:3], s[20:21], v[7:8]
	v_mov_b32_e32 v7, 0
	v_mov_b32_e32 v9, 0
	;; [unrolled: 1-line block ×6, first 2 shown]
	s_and_saveexec_b64 s[6:7], s[2:3]
	s_cbranch_execz .LBB93_10
; %bb.9:                                ;   in Loop: Header=BB93_4 Depth=1
	v_mov_b32_e32 v9, s15
	v_add_co_u32_e32 v13, vcc, s14, v53
	v_addc_co_u32_e32 v14, vcc, v54, v9, vcc
	v_add_co_u32_e32 v15, vcc, s14, v55
	v_addc_co_u32_e32 v16, vcc, v56, v9, vcc
	global_load_dwordx2 v[11:12], v[13:14], off
	global_load_dwordx2 v[9:10], v[15:16], off
.LBB93_10:                              ;   in Loop: Header=BB93_4 Depth=1
	s_or_b64 exec, exec, s[6:7]
	s_and_saveexec_b64 s[6:7], s[2:3]
	s_cbranch_execz .LBB93_12
; %bb.11:                               ;   in Loop: Header=BB93_4 Depth=1
	v_mov_b32_e32 v8, s15
	v_add_co_u32_e32 v7, vcc, s14, v57
	v_addc_co_u32_e32 v8, vcc, v58, v8, vcc
	global_load_dwordx2 v[7:8], v[7:8], off
.LBB93_12:                              ;   in Loop: Header=BB93_4 Depth=1
	s_or_b64 exec, exec, s[6:7]
	v_mov_b32_e32 v14, s25
	v_add_co_u32_e32 v13, vcc, s24, v63
	v_addc_co_u32_e32 v14, vcc, v64, v14, vcc
	v_cmp_gt_u64_e64 s[6:7], s[20:21], v[13:14]
	v_mov_b32_e32 v13, 0
	v_mov_b32_e32 v15, 0
	v_mov_b32_e32 v17, 0
	v_mov_b32_e32 v14, 0
	v_mov_b32_e32 v16, 0
	v_mov_b32_e32 v18, 0
	s_and_saveexec_b64 s[8:9], s[6:7]
	s_cbranch_execz .LBB93_14
; %bb.13:                               ;   in Loop: Header=BB93_4 Depth=1
	v_mov_b32_e32 v15, s15
	v_add_co_u32_e32 v19, vcc, s14, v35
	v_addc_co_u32_e32 v20, vcc, v36, v15, vcc
	v_add_co_u32_e32 v21, vcc, s14, v37
	v_addc_co_u32_e32 v22, vcc, v38, v15, vcc
	global_load_dwordx2 v[17:18], v[19:20], off
	global_load_dwordx2 v[15:16], v[21:22], off
.LBB93_14:                              ;   in Loop: Header=BB93_4 Depth=1
	s_or_b64 exec, exec, s[8:9]
	s_and_saveexec_b64 s[8:9], s[6:7]
	s_cbranch_execz .LBB93_16
; %bb.15:                               ;   in Loop: Header=BB93_4 Depth=1
	v_mov_b32_e32 v14, s15
	v_add_co_u32_e32 v13, vcc, s14, v39
	v_addc_co_u32_e32 v14, vcc, v40, v14, vcc
	global_load_dwordx2 v[13:14], v[13:14], off
.LBB93_16:                              ;   in Loop: Header=BB93_4 Depth=1
	s_or_b64 exec, exec, s[8:9]
	v_mov_b32_e32 v20, s25
	v_add_co_u32_e32 v19, vcc, s24, v61
	v_addc_co_u32_e32 v20, vcc, v62, v20, vcc
	v_cmp_gt_u64_e64 s[8:9], s[20:21], v[19:20]
	v_mov_b32_e32 v19, 0
	v_mov_b32_e32 v21, 0
	;; [unrolled: 1-line block ×6, first 2 shown]
	s_and_saveexec_b64 s[10:11], s[8:9]
	s_cbranch_execnz .LBB93_34
; %bb.17:                               ;   in Loop: Header=BB93_4 Depth=1
	s_or_b64 exec, exec, s[10:11]
	s_and_saveexec_b64 s[10:11], s[8:9]
	s_cbranch_execnz .LBB93_35
.LBB93_18:                              ;   in Loop: Header=BB93_4 Depth=1
	s_or_b64 exec, exec, s[10:11]
	s_and_b64 vcc, exec, s[22:23]
	s_cbranch_vccz .LBB93_36
.LBB93_19:                              ;   in Loop: Header=BB93_4 Depth=1
	s_waitcnt vmcnt(0)
	v_mul_f64 v[25:26], v[3:4], v[1:2]
	v_fma_f64 v[25:26], s[12:13], v[25:26], v[5:6]
	s_cbranch_execnz .LBB93_21
.LBB93_20:                              ;   in Loop: Header=BB93_4 Depth=1
	s_waitcnt vmcnt(0)
	v_fma_f64 v[25:26], v[3:4], v[1:2], v[5:6]
.LBB93_21:                              ;   in Loop: Header=BB93_4 Depth=1
	s_waitcnt vmcnt(0)
	v_cndmask_b32_e64 v1, 0, 1, s[22:23]
	v_cmp_ne_u32_e64 s[10:11], 1, v1
	s_andn2_b64 vcc, exec, s[22:23]
	s_cbranch_vccnz .LBB93_41
; %bb.22:                               ;   in Loop: Header=BB93_4 Depth=1
	v_mul_f64 v[1:2], v[9:10], v[7:8]
	v_fma_f64 v[1:2], s[12:13], v[1:2], v[11:12]
	s_cbranch_execnz .LBB93_24
.LBB93_23:                              ;   in Loop: Header=BB93_4 Depth=1
	v_fma_f64 v[1:2], v[9:10], v[7:8], v[11:12]
.LBB93_24:                              ;   in Loop: Header=BB93_4 Depth=1
	s_and_b64 vcc, exec, s[10:11]
	s_cbranch_vccnz .LBB93_42
; %bb.25:                               ;   in Loop: Header=BB93_4 Depth=1
	v_mul_f64 v[3:4], v[15:16], v[13:14]
	v_fma_f64 v[3:4], s[12:13], v[3:4], v[17:18]
	s_cbranch_execnz .LBB93_27
.LBB93_26:                              ;   in Loop: Header=BB93_4 Depth=1
	v_fma_f64 v[3:4], v[15:16], v[13:14], v[17:18]
.LBB93_27:                              ;   in Loop: Header=BB93_4 Depth=1
	s_and_b64 vcc, exec, s[10:11]
	s_cbranch_vccnz .LBB93_43
; %bb.28:                               ;   in Loop: Header=BB93_4 Depth=1
	v_mul_f64 v[5:6], v[21:22], v[19:20]
	v_fma_f64 v[5:6], s[12:13], v[5:6], v[23:24]
	s_cbranch_execnz .LBB93_30
.LBB93_29:                              ;   in Loop: Header=BB93_4 Depth=1
	v_fma_f64 v[5:6], v[21:22], v[19:20], v[23:24]
.LBB93_30:                              ;   in Loop: Header=BB93_4 Depth=1
	s_and_saveexec_b64 s[10:11], s[0:1]
	s_xor_b64 s[0:1], exec, s[10:11]
	s_cbranch_execnz .LBB93_37
; %bb.31:                               ;   in Loop: Header=BB93_4 Depth=1
	s_or_b64 exec, exec, s[0:1]
	s_and_saveexec_b64 s[0:1], s[2:3]
	s_cbranch_execnz .LBB93_38
.LBB93_32:                              ;   in Loop: Header=BB93_4 Depth=1
	s_or_b64 exec, exec, s[0:1]
	s_and_saveexec_b64 s[0:1], s[6:7]
	s_cbranch_execnz .LBB93_39
.LBB93_33:                              ;   in Loop: Header=BB93_4 Depth=1
	s_or_b64 exec, exec, s[0:1]
	s_and_saveexec_b64 s[0:1], s[8:9]
	s_cbranch_execz .LBB93_3
	s_branch .LBB93_40
.LBB93_34:                              ;   in Loop: Header=BB93_4 Depth=1
	v_mov_b32_e32 v23, s15
	v_add_co_u32_e32 v21, vcc, s14, v27
	v_addc_co_u32_e32 v22, vcc, v28, v23, vcc
	v_add_co_u32_e32 v25, vcc, s14, v29
	v_addc_co_u32_e32 v26, vcc, v30, v23, vcc
	global_load_dwordx2 v[23:24], v[21:22], off
	s_nop 0
	global_load_dwordx2 v[21:22], v[25:26], off
	s_or_b64 exec, exec, s[10:11]
	s_and_saveexec_b64 s[10:11], s[8:9]
	s_cbranch_execz .LBB93_18
.LBB93_35:                              ;   in Loop: Header=BB93_4 Depth=1
	v_mov_b32_e32 v20, s15
	v_add_co_u32_e32 v19, vcc, s14, v31
	v_addc_co_u32_e32 v20, vcc, v32, v20, vcc
	global_load_dwordx2 v[19:20], v[19:20], off
	s_or_b64 exec, exec, s[10:11]
	s_and_b64 vcc, exec, s[22:23]
	s_cbranch_vccnz .LBB93_19
.LBB93_36:                              ;   in Loop: Header=BB93_4 Depth=1
                                        ; implicit-def: $vgpr25_vgpr26
	s_branch .LBB93_20
.LBB93_37:                              ;   in Loop: Header=BB93_4 Depth=1
	v_mov_b32_e32 v8, s15
	v_add_co_u32_e32 v7, vcc, s14, v49
	v_addc_co_u32_e32 v8, vcc, v50, v8, vcc
	global_store_dwordx2 v[7:8], v[25:26], off
	s_or_b64 exec, exec, s[0:1]
	s_and_saveexec_b64 s[0:1], s[2:3]
	s_cbranch_execz .LBB93_32
.LBB93_38:                              ;   in Loop: Header=BB93_4 Depth=1
	v_mov_b32_e32 v8, s15
	v_add_co_u32_e32 v7, vcc, s14, v59
	v_addc_co_u32_e32 v8, vcc, v60, v8, vcc
	global_store_dwordx2 v[7:8], v[1:2], off
	s_or_b64 exec, exec, s[0:1]
	s_and_saveexec_b64 s[0:1], s[6:7]
	s_cbranch_execz .LBB93_33
.LBB93_39:                              ;   in Loop: Header=BB93_4 Depth=1
	v_mov_b32_e32 v2, s15
	v_add_co_u32_e32 v1, vcc, s14, v41
	v_addc_co_u32_e32 v2, vcc, v42, v2, vcc
	global_store_dwordx2 v[1:2], v[3:4], off
	s_or_b64 exec, exec, s[0:1]
	s_and_saveexec_b64 s[0:1], s[8:9]
	s_cbranch_execz .LBB93_3
.LBB93_40:                              ;   in Loop: Header=BB93_4 Depth=1
	v_mov_b32_e32 v2, s15
	v_add_co_u32_e32 v1, vcc, s14, v33
	v_addc_co_u32_e32 v2, vcc, v34, v2, vcc
	global_store_dwordx2 v[1:2], v[5:6], off
	s_branch .LBB93_3
.LBB93_41:                              ;   in Loop: Header=BB93_4 Depth=1
                                        ; implicit-def: $vgpr1_vgpr2
	s_branch .LBB93_23
.LBB93_42:                              ;   in Loop: Header=BB93_4 Depth=1
                                        ; implicit-def: $vgpr3_vgpr4
	s_branch .LBB93_26
.LBB93_43:                              ;   in Loop: Header=BB93_4 Depth=1
                                        ; implicit-def: $vgpr5_vgpr6
	s_branch .LBB93_29
.LBB93_44:
	s_mov_b64 s[10:11], 0
.LBB93_45:
	s_andn2_b64 vcc, exec, s[10:11]
	s_cbranch_vccnz .LBB93_65
; %bb.46:
	v_mov_b32_e32 v1, 0x10000
	v_mov_b32_e32 v2, 0
	v_cmp_lt_i64_e32 vcc, s[16:17], v[1:2]
	v_mov_b32_e32 v2, 0
	s_and_b64 s[0:1], vcc, exec
	s_cselect_b32 s3, s17, 0
	s_cselect_b32 s2, s16, 0x10000
	v_lshlrev_b32_e32 v1, 2, v0
	v_cmp_gt_i64_e32 vcc, s[2:3], v[1:2]
	s_and_saveexec_b64 s[0:1], vcc
	s_cbranch_execz .LBB93_65
; %bb.47:
	s_load_dword s0, s[4:5], 0xd14
	v_cmp_neq_f64_e64 s[4:5], s[12:13], 1.0
	v_mov_b32_e32 v1, v2
	v_lshlrev_b32_e32 v28, 5, v0
	s_mov_b64 s[6:7], 0
	s_waitcnt lgkmcnt(0)
	s_and_b32 s10, s0, 0xffff
	s_lshl_b32 s11, s10, 5
	s_branch .LBB93_49
.LBB93_48:                              ;   in Loop: Header=BB93_49 Depth=1
	v_mov_b32_e32 v3, s36
	v_add_co_u32_e32 v2, vcc, s35, v28
	s_add_u32 s35, s35, s11
	v_addc_co_u32_e32 v3, vcc, 0, v3, vcc
	s_addc_u32 s36, s36, 0
	v_add_co_u32_e32 v0, vcc, s10, v0
	s_add_u32 s28, s28, s11
	v_addc_co_u32_e32 v1, vcc, 0, v1, vcc
	s_addc_u32 s29, s29, 0
	v_lshlrev_b64 v[4:5], 2, v[0:1]
	s_add_u32 s33, s33, s11
	s_addc_u32 s34, s34, 0
	s_add_u32 s30, s30, s11
	v_cmp_le_i64_e32 vcc, s[2:3], v[4:5]
	s_addc_u32 s31, s31, 0
	s_or_b64 s[6:7], vcc, s[6:7]
	global_store_dwordx4 v[2:3], v[14:17], off
	s_waitcnt vmcnt(3)
	global_store_dwordx4 v[2:3], v[18:21], off offset:16
	s_andn2_b64 exec, exec, s[6:7]
	s_cbranch_execz .LBB93_65
.LBB93_49:                              ; =>This Inner Loop Header: Depth=1
	v_mov_b32_e32 v2, s29
	v_add_co_u32_e32 v6, vcc, s28, v28
	v_addc_co_u32_e32 v7, vcc, 0, v2, vcc
	global_load_dwordx4 v[2:5], v[6:7], off offset:16
	global_load_dwordx4 v[16:19], v[6:7], off
	v_mov_b32_e32 v6, s31
	s_waitcnt vmcnt(5)
	v_add_co_u32_e32 v10, vcc, s30, v28
	v_addc_co_u32_e32 v11, vcc, 0, v6, vcc
	global_load_dwordx4 v[6:9], v[10:11], off offset:16
	global_load_dwordx4 v[20:23], v[10:11], off
	v_mov_b32_e32 v10, s34
	v_add_co_u32_e32 v14, vcc, s33, v28
	v_addc_co_u32_e32 v15, vcc, 0, v10, vcc
	global_load_dwordx4 v[10:13], v[14:15], off offset:16
	global_load_dwordx4 v[24:27], v[14:15], off
	s_and_b64 vcc, exec, s[4:5]
	s_cbranch_vccz .LBB93_60
; %bb.50:                               ;   in Loop: Header=BB93_49 Depth=1
	s_waitcnt vmcnt(0)
	v_mul_f64 v[14:15], v[20:21], v[24:25]
	v_fma_f64 v[14:15], s[12:13], v[14:15], v[16:17]
	s_cbranch_execnz .LBB93_52
.LBB93_51:                              ;   in Loop: Header=BB93_49 Depth=1
	s_waitcnt vmcnt(0)
	v_fma_f64 v[14:15], v[20:21], v[24:25], v[16:17]
.LBB93_52:                              ;   in Loop: Header=BB93_49 Depth=1
	s_waitcnt vmcnt(4)
	v_cndmask_b32_e64 v16, 0, 1, s[4:5]
	v_cmp_ne_u32_e64 s[0:1], 1, v16
	s_andn2_b64 vcc, exec, s[4:5]
	s_cbranch_vccnz .LBB93_61
; %bb.53:                               ;   in Loop: Header=BB93_49 Depth=1
	s_waitcnt vmcnt(0)
	v_mul_f64 v[16:17], v[22:23], v[26:27]
	v_fma_f64 v[16:17], s[12:13], v[16:17], v[18:19]
	s_cbranch_execnz .LBB93_55
.LBB93_54:                              ;   in Loop: Header=BB93_49 Depth=1
	s_waitcnt vmcnt(0)
	v_fma_f64 v[16:17], v[22:23], v[26:27], v[18:19]
.LBB93_55:                              ;   in Loop: Header=BB93_49 Depth=1
	s_and_b64 vcc, exec, s[0:1]
	s_cbranch_vccnz .LBB93_62
; %bb.56:                               ;   in Loop: Header=BB93_49 Depth=1
	s_waitcnt vmcnt(1)
	v_mul_f64 v[18:19], v[6:7], v[10:11]
	v_fma_f64 v[18:19], s[12:13], v[18:19], v[2:3]
	s_cbranch_execnz .LBB93_58
.LBB93_57:                              ;   in Loop: Header=BB93_49 Depth=1
	s_waitcnt vmcnt(1)
	v_fma_f64 v[18:19], v[6:7], v[10:11], v[2:3]
.LBB93_58:                              ;   in Loop: Header=BB93_49 Depth=1
	s_and_b64 vcc, exec, s[0:1]
	s_cbranch_vccnz .LBB93_63
; %bb.59:                               ;   in Loop: Header=BB93_49 Depth=1
	s_waitcnt vmcnt(1)
	v_mul_f64 v[2:3], v[8:9], v[12:13]
	v_fma_f64 v[20:21], s[12:13], v[2:3], v[4:5]
	s_cbranch_execnz .LBB93_48
	s_branch .LBB93_64
.LBB93_60:                              ;   in Loop: Header=BB93_49 Depth=1
                                        ; implicit-def: $vgpr14_vgpr15
	s_branch .LBB93_51
.LBB93_61:                              ;   in Loop: Header=BB93_49 Depth=1
	s_branch .LBB93_54
.LBB93_62:                              ;   in Loop: Header=BB93_49 Depth=1
                                        ; implicit-def: $vgpr18_vgpr19
	s_branch .LBB93_57
.LBB93_63:                              ;   in Loop: Header=BB93_49 Depth=1
.LBB93_64:                              ;   in Loop: Header=BB93_49 Depth=1
	s_waitcnt vmcnt(1)
	v_fma_f64 v[20:21], v[8:9], v[12:13], v[4:5]
	s_branch .LBB93_48
.LBB93_65:
	s_endpgm
	.section	.rodata,"a",@progbits
	.p2align	6, 0x0
	.amdhsa_kernel _ZN2at6native12_GLOBAL__N_125multi_tensor_apply_kernelINS1_28TensorListScalarListMetadataIdLi4EEENS1_28PointwiseOpScalarListFunctorIdLi4ELi3ELi3EEEJSt10multipliesIdEEEEvT_T0_DpT1_
		.amdhsa_group_segment_fixed_size 0
		.amdhsa_private_segment_fixed_size 0
		.amdhsa_kernarg_size 3592
		.amdhsa_user_sgpr_count 6
		.amdhsa_user_sgpr_private_segment_buffer 1
		.amdhsa_user_sgpr_dispatch_ptr 0
		.amdhsa_user_sgpr_queue_ptr 0
		.amdhsa_user_sgpr_kernarg_segment_ptr 1
		.amdhsa_user_sgpr_dispatch_id 0
		.amdhsa_user_sgpr_flat_scratch_init 0
		.amdhsa_user_sgpr_private_segment_size 0
		.amdhsa_uses_dynamic_stack 0
		.amdhsa_system_sgpr_private_segment_wavefront_offset 0
		.amdhsa_system_sgpr_workgroup_id_x 1
		.amdhsa_system_sgpr_workgroup_id_y 0
		.amdhsa_system_sgpr_workgroup_id_z 0
		.amdhsa_system_sgpr_workgroup_info 0
		.amdhsa_system_vgpr_workitem_id 0
		.amdhsa_next_free_vgpr 65
		.amdhsa_next_free_sgpr 39
		.amdhsa_reserve_vcc 1
		.amdhsa_reserve_flat_scratch 0
		.amdhsa_float_round_mode_32 0
		.amdhsa_float_round_mode_16_64 0
		.amdhsa_float_denorm_mode_32 3
		.amdhsa_float_denorm_mode_16_64 3
		.amdhsa_dx10_clamp 1
		.amdhsa_ieee_mode 1
		.amdhsa_fp16_overflow 0
		.amdhsa_exception_fp_ieee_invalid_op 0
		.amdhsa_exception_fp_denorm_src 0
		.amdhsa_exception_fp_ieee_div_zero 0
		.amdhsa_exception_fp_ieee_overflow 0
		.amdhsa_exception_fp_ieee_underflow 0
		.amdhsa_exception_fp_ieee_inexact 0
		.amdhsa_exception_int_div_zero 0
	.end_amdhsa_kernel
	.section	.text._ZN2at6native12_GLOBAL__N_125multi_tensor_apply_kernelINS1_28TensorListScalarListMetadataIdLi4EEENS1_28PointwiseOpScalarListFunctorIdLi4ELi3ELi3EEEJSt10multipliesIdEEEEvT_T0_DpT1_,"axG",@progbits,_ZN2at6native12_GLOBAL__N_125multi_tensor_apply_kernelINS1_28TensorListScalarListMetadataIdLi4EEENS1_28PointwiseOpScalarListFunctorIdLi4ELi3ELi3EEEJSt10multipliesIdEEEEvT_T0_DpT1_,comdat
.Lfunc_end93:
	.size	_ZN2at6native12_GLOBAL__N_125multi_tensor_apply_kernelINS1_28TensorListScalarListMetadataIdLi4EEENS1_28PointwiseOpScalarListFunctorIdLi4ELi3ELi3EEEJSt10multipliesIdEEEEvT_T0_DpT1_, .Lfunc_end93-_ZN2at6native12_GLOBAL__N_125multi_tensor_apply_kernelINS1_28TensorListScalarListMetadataIdLi4EEENS1_28PointwiseOpScalarListFunctorIdLi4ELi3ELi3EEEJSt10multipliesIdEEEEvT_T0_DpT1_
                                        ; -- End function
	.set _ZN2at6native12_GLOBAL__N_125multi_tensor_apply_kernelINS1_28TensorListScalarListMetadataIdLi4EEENS1_28PointwiseOpScalarListFunctorIdLi4ELi3ELi3EEEJSt10multipliesIdEEEEvT_T0_DpT1_.num_vgpr, 65
	.set _ZN2at6native12_GLOBAL__N_125multi_tensor_apply_kernelINS1_28TensorListScalarListMetadataIdLi4EEENS1_28PointwiseOpScalarListFunctorIdLi4ELi3ELi3EEEJSt10multipliesIdEEEEvT_T0_DpT1_.num_agpr, 0
	.set _ZN2at6native12_GLOBAL__N_125multi_tensor_apply_kernelINS1_28TensorListScalarListMetadataIdLi4EEENS1_28PointwiseOpScalarListFunctorIdLi4ELi3ELi3EEEJSt10multipliesIdEEEEvT_T0_DpT1_.numbered_sgpr, 39
	.set _ZN2at6native12_GLOBAL__N_125multi_tensor_apply_kernelINS1_28TensorListScalarListMetadataIdLi4EEENS1_28PointwiseOpScalarListFunctorIdLi4ELi3ELi3EEEJSt10multipliesIdEEEEvT_T0_DpT1_.num_named_barrier, 0
	.set _ZN2at6native12_GLOBAL__N_125multi_tensor_apply_kernelINS1_28TensorListScalarListMetadataIdLi4EEENS1_28PointwiseOpScalarListFunctorIdLi4ELi3ELi3EEEJSt10multipliesIdEEEEvT_T0_DpT1_.private_seg_size, 0
	.set _ZN2at6native12_GLOBAL__N_125multi_tensor_apply_kernelINS1_28TensorListScalarListMetadataIdLi4EEENS1_28PointwiseOpScalarListFunctorIdLi4ELi3ELi3EEEJSt10multipliesIdEEEEvT_T0_DpT1_.uses_vcc, 1
	.set _ZN2at6native12_GLOBAL__N_125multi_tensor_apply_kernelINS1_28TensorListScalarListMetadataIdLi4EEENS1_28PointwiseOpScalarListFunctorIdLi4ELi3ELi3EEEJSt10multipliesIdEEEEvT_T0_DpT1_.uses_flat_scratch, 0
	.set _ZN2at6native12_GLOBAL__N_125multi_tensor_apply_kernelINS1_28TensorListScalarListMetadataIdLi4EEENS1_28PointwiseOpScalarListFunctorIdLi4ELi3ELi3EEEJSt10multipliesIdEEEEvT_T0_DpT1_.has_dyn_sized_stack, 0
	.set _ZN2at6native12_GLOBAL__N_125multi_tensor_apply_kernelINS1_28TensorListScalarListMetadataIdLi4EEENS1_28PointwiseOpScalarListFunctorIdLi4ELi3ELi3EEEJSt10multipliesIdEEEEvT_T0_DpT1_.has_recursion, 0
	.set _ZN2at6native12_GLOBAL__N_125multi_tensor_apply_kernelINS1_28TensorListScalarListMetadataIdLi4EEENS1_28PointwiseOpScalarListFunctorIdLi4ELi3ELi3EEEJSt10multipliesIdEEEEvT_T0_DpT1_.has_indirect_call, 0
	.section	.AMDGPU.csdata,"",@progbits
; Kernel info:
; codeLenInByte = 2192
; TotalNumSgprs: 43
; NumVgprs: 65
; ScratchSize: 0
; MemoryBound: 1
; FloatMode: 240
; IeeeMode: 1
; LDSByteSize: 0 bytes/workgroup (compile time only)
; SGPRBlocks: 5
; VGPRBlocks: 16
; NumSGPRsForWavesPerEU: 43
; NumVGPRsForWavesPerEU: 65
; Occupancy: 3
; WaveLimiterHint : 1
; COMPUTE_PGM_RSRC2:SCRATCH_EN: 0
; COMPUTE_PGM_RSRC2:USER_SGPR: 6
; COMPUTE_PGM_RSRC2:TRAP_HANDLER: 0
; COMPUTE_PGM_RSRC2:TGID_X_EN: 1
; COMPUTE_PGM_RSRC2:TGID_Y_EN: 0
; COMPUTE_PGM_RSRC2:TGID_Z_EN: 0
; COMPUTE_PGM_RSRC2:TIDIG_COMP_CNT: 0
	.section	.text._ZN2at6native12_GLOBAL__N_125multi_tensor_apply_kernelINS1_28TensorListScalarListMetadataIfLi4EEENS1_28PointwiseOpScalarListFunctorIfLi4ELi3ELi3EEEJSt10multipliesIfEEEEvT_T0_DpT1_,"axG",@progbits,_ZN2at6native12_GLOBAL__N_125multi_tensor_apply_kernelINS1_28TensorListScalarListMetadataIfLi4EEENS1_28PointwiseOpScalarListFunctorIfLi4ELi3ELi3EEEJSt10multipliesIfEEEEvT_T0_DpT1_,comdat
	.globl	_ZN2at6native12_GLOBAL__N_125multi_tensor_apply_kernelINS1_28TensorListScalarListMetadataIfLi4EEENS1_28PointwiseOpScalarListFunctorIfLi4ELi3ELi3EEEJSt10multipliesIfEEEEvT_T0_DpT1_ ; -- Begin function _ZN2at6native12_GLOBAL__N_125multi_tensor_apply_kernelINS1_28TensorListScalarListMetadataIfLi4EEENS1_28PointwiseOpScalarListFunctorIfLi4ELi3ELi3EEEJSt10multipliesIfEEEEvT_T0_DpT1_
	.p2align	8
	.type	_ZN2at6native12_GLOBAL__N_125multi_tensor_apply_kernelINS1_28TensorListScalarListMetadataIfLi4EEENS1_28PointwiseOpScalarListFunctorIfLi4ELi3ELi3EEEJSt10multipliesIfEEEEvT_T0_DpT1_,@function
_ZN2at6native12_GLOBAL__N_125multi_tensor_apply_kernelINS1_28TensorListScalarListMetadataIfLi4EEENS1_28PointwiseOpScalarListFunctorIfLi4ELi3ELi3EEEJSt10multipliesIfEEEEvT_T0_DpT1_: ; @_ZN2at6native12_GLOBAL__N_125multi_tensor_apply_kernelINS1_28TensorListScalarListMetadataIfLi4EEENS1_28PointwiseOpScalarListFunctorIfLi4ELi3ELi3EEEJSt10multipliesIfEEEEvT_T0_DpT1_
; %bb.0:
	v_mov_b32_e32 v1, s6
	global_load_ubyte v1, v1, s[4:5] offset:1584
	s_add_u32 s0, s4, s6
	s_mul_i32 s1, s6, 3
	s_addc_u32 s2, s5, 0
	s_mul_hi_u32 s3, s6, 3
	s_add_u32 s0, s0, s1
	s_addc_u32 s1, s2, s3
	s_load_dword s14, s[0:1], 0x770
	s_mov_b32 s1, 0
	s_mov_b32 s17, s1
	;; [unrolled: 1-line block ×3, first 2 shown]
	s_waitcnt lgkmcnt(0)
	s_ashr_i32 s15, s14, 31
	s_waitcnt vmcnt(0)
	v_readfirstlane_b32 s0, v1
	v_lshlrev_b32_e32 v1, 2, v1
	v_sub_co_u32_e32 v1, vcc, 0, v1
	s_lshl_b32 s0, s0, 3
	v_subb_co_u32_e64 v2, s[2:3], 0, 0, vcc
	s_load_dwordx2 s[20:21], s[4:5], s0 offset:0x480
	s_load_dwordx2 s[10:11], s[4:5], s0 offset:0x0
	;; [unrolled: 1-line block ×5, first 2 shown]
	s_add_u32 s0, s4, s0
	s_addc_u32 s16, s5, 0
	s_lshl_b64 s[12:13], s[14:15], 18
	s_waitcnt lgkmcnt(0)
	s_add_u32 s24, s10, s12
	v_add_co_u32_e32 v1, vcc, s0, v1
	s_addc_u32 s25, s11, s13
	s_and_b32 s0, s24, 15
	s_add_u32 s27, s8, s12
	v_mov_b32_e32 v3, s16
	s_addc_u32 s28, s9, s13
	s_and_b32 s16, s27, 15
	s_cmp_eq_u64 s[16:17], 0
	s_cselect_b64 s[16:17], -1, 0
	s_add_u32 s29, s6, s12
	s_addc_u32 s30, s7, s13
	s_add_u32 s31, s2, s12
	s_addc_u32 s33, s3, s13
	s_or_b32 s18, s31, s29
	v_addc_co_u32_e32 v2, vcc, v3, v2, vcc
	s_and_b32 s18, s18, 15
	v_readfirstlane_b32 s22, v1
	v_readfirstlane_b32 s23, v2
	s_cmp_eq_u32 s18, 0
	s_load_dword s26, s[22:23], 0x5a0
	s_cselect_b64 s[22:23], -1, 0
	s_lshl_b64 s[14:15], s[14:15], 16
	s_and_b64 s[16:17], s[22:23], s[16:17]
	s_sub_u32 s14, s20, s14
	s_subb_u32 s15, s21, s15
	s_and_b32 s18, s20, 3
	s_or_b64 s[0:1], s[0:1], s[18:19]
	s_cmp_eq_u64 s[0:1], 0
	s_cselect_b64 s[0:1], -1, 0
	s_and_b64 s[16:17], s[16:17], s[0:1]
	s_mov_b64 s[0:1], -1
	s_and_b64 vcc, exec, s[16:17]
	s_cbranch_vccnz .LBB94_29
; %bb.1:
	v_cmp_lt_i64_e64 s[0:1], s[14:15], 1
	s_and_b64 vcc, exec, s[0:1]
	s_cbranch_vccnz .LBB94_28
; %bb.2:
	v_mov_b32_e32 v1, 0x10000
	s_load_dword s18, s[4:5], 0xc84
	v_mov_b32_e32 v2, 0
	v_cmp_lt_i64_e32 vcc, s[14:15], v[1:2]
	v_mov_b32_e32 v24, 0
	s_and_b64 s[0:1], vcc, exec
	s_cselect_b32 s17, s15, 0
	s_cselect_b32 s16, s14, 0x10000
	s_waitcnt lgkmcnt(0)
	s_and_b32 s20, s18, 0xffff
	v_lshlrev_b32_e32 v23, 2, v0
	v_mad_u64_u32 v[7:8], s[0:1], s20, 12, v[23:24]
	v_cmp_lt_u64_e32 vcc, s[14:15], v[1:2]
	v_mov_b32_e32 v2, s11
	s_and_b64 s[0:1], vcc, exec
	v_add_co_u32_e32 v1, vcc, s10, v7
	v_addc_co_u32_e32 v2, vcc, v2, v8, vcc
	v_mov_b32_e32 v4, s9
	v_add_co_u32_e32 v3, vcc, s8, v7
	v_addc_co_u32_e32 v4, vcc, v4, v8, vcc
	v_mov_b32_e32 v6, s7
	;; [unrolled: 3-line block ×3, first 2 shown]
	v_add_co_u32_e32 v7, vcc, s2, v7
	s_cselect_b32 s19, s15, 0
	s_cselect_b32 s18, s14, 0x10000
	v_addc_co_u32_e32 v8, vcc, v9, v8, vcc
	s_lshl_b32 s0, s20, 3
	v_add_co_u32_e32 v15, vcc, s0, v23
	v_addc_co_u32_e64 v16, s[0:1], 0, 0, vcc
	v_mov_b32_e32 v10, s11
	v_add_co_u32_e32 v9, vcc, s10, v15
	v_addc_co_u32_e32 v10, vcc, v10, v16, vcc
	v_mov_b32_e32 v12, s9
	v_add_co_u32_e32 v11, vcc, s8, v15
	v_addc_co_u32_e32 v12, vcc, v12, v16, vcc
	;; [unrolled: 3-line block ×8, first 2 shown]
	v_add_co_u32_e32 v25, vcc, s20, v0
	v_lshlrev_b32_e32 v33, 2, v25
	s_lshl_b32 s22, s20, 1
	s_mul_i32 s23, s20, 3
	s_lshl_b32 s34, s20, 2
	s_lshl_b32 s35, s20, 4
	v_addc_co_u32_e64 v26, s[20:21], 0, 0, vcc
	v_mov_b32_e32 v28, s11
	v_add_co_u32_e32 v27, vcc, s10, v33
	v_addc_co_u32_e32 v28, vcc, 0, v28, vcc
	v_mov_b32_e32 v30, s9
	v_add_co_u32_e32 v29, vcc, s8, v33
	v_addc_co_u32_e32 v30, vcc, 0, v30, vcc
	;; [unrolled: 3-line block ×4, first 2 shown]
	v_add_co_u32_e32 v35, vcc, s23, v0
	v_addc_co_u32_e64 v36, s[2:3], 0, 0, vcc
	v_add_co_u32_e32 v37, vcc, s22, v0
	v_cmp_eq_f32_e64 s[0:1], s26, 1.0
	s_mov_b64 s[20:21], 0
	v_addc_co_u32_e64 v38, s[2:3], 0, 0, vcc
	s_branch .LBB94_4
.LBB94_3:                               ;   in Loop: Header=BB94_4 Depth=1
	s_or_b64 exec, exec, s[2:3]
	v_add_co_u32_e32 v17, vcc, s35, v17
	v_addc_co_u32_e32 v18, vcc, 0, v18, vcc
	v_add_co_u32_e32 v19, vcc, s35, v19
	v_addc_co_u32_e32 v20, vcc, 0, v20, vcc
	;; [unrolled: 2-line block ×14, first 2 shown]
	s_add_u32 s20, s20, s34
	v_add_co_u32_e32 v31, vcc, s35, v31
	s_waitcnt vmcnt(0)
	v_mov_b32_e32 v40, s17
	s_addc_u32 s21, s21, 0
	v_addc_co_u32_e32 v32, vcc, 0, v32, vcc
	v_mov_b32_e32 v39, s16
	v_cmp_lt_i64_e32 vcc, s[20:21], v[39:40]
	v_add_co_u32_e64 v33, s[2:3], s35, v33
	v_addc_co_u32_e64 v34, s[2:3], 0, v34, s[2:3]
	s_cbranch_vccz .LBB94_28
.LBB94_4:                               ; =>This Inner Loop Header: Depth=1
	v_mov_b32_e32 v40, s21
	v_add_co_u32_e32 v39, vcc, s20, v0
	v_addc_co_u32_e32 v40, vcc, 0, v40, vcc
	v_cmp_gt_u64_e32 vcc, s[18:19], v[39:40]
	v_mov_b32_e32 v40, 0
	v_mov_b32_e32 v39, 0
	s_and_saveexec_b64 s[6:7], vcc
	s_cbranch_execz .LBB94_6
; %bb.5:                                ;   in Loop: Header=BB94_4 Depth=1
	v_mov_b32_e32 v39, s13
	v_add_co_u32_e64 v41, s[2:3], s12, v17
	v_addc_co_u32_e64 v42, s[2:3], v18, v39, s[2:3]
	v_add_co_u32_e64 v43, s[2:3], s12, v19
	v_addc_co_u32_e64 v44, s[2:3], v20, v39, s[2:3]
	global_load_dword v39, v[41:42], off
	global_load_dword v40, v[43:44], off
.LBB94_6:                               ;   in Loop: Header=BB94_4 Depth=1
	s_or_b64 exec, exec, s[6:7]
	v_mov_b32_e32 v41, 0
	v_mov_b32_e32 v42, 0
	s_and_saveexec_b64 s[6:7], vcc
	s_cbranch_execz .LBB94_8
; %bb.7:                                ;   in Loop: Header=BB94_4 Depth=1
	v_mov_b32_e32 v43, s13
	v_add_co_u32_e64 v42, s[2:3], s12, v21
	v_addc_co_u32_e64 v43, s[2:3], v22, v43, s[2:3]
	global_load_dword v42, v[42:43], off
.LBB94_8:                               ;   in Loop: Header=BB94_4 Depth=1
	s_or_b64 exec, exec, s[6:7]
	v_mov_b32_e32 v44, s21
	v_add_co_u32_e64 v43, s[2:3], s20, v25
	v_addc_co_u32_e64 v44, s[2:3], v26, v44, s[2:3]
	v_cmp_gt_u64_e64 s[2:3], s[18:19], v[43:44]
	v_mov_b32_e32 v43, 0
	s_and_saveexec_b64 s[8:9], s[2:3]
	s_cbranch_execz .LBB94_10
; %bb.9:                                ;   in Loop: Header=BB94_4 Depth=1
	v_mov_b32_e32 v41, s13
	v_add_co_u32_e64 v44, s[6:7], s12, v27
	v_addc_co_u32_e64 v45, s[6:7], v28, v41, s[6:7]
	v_add_co_u32_e64 v46, s[6:7], s12, v29
	v_addc_co_u32_e64 v47, s[6:7], v30, v41, s[6:7]
	global_load_dword v43, v[44:45], off
	global_load_dword v41, v[46:47], off
.LBB94_10:                              ;   in Loop: Header=BB94_4 Depth=1
	s_or_b64 exec, exec, s[8:9]
	v_mov_b32_e32 v44, 0
	v_mov_b32_e32 v45, 0
	s_and_saveexec_b64 s[8:9], s[2:3]
	s_cbranch_execz .LBB94_12
; %bb.11:                               ;   in Loop: Header=BB94_4 Depth=1
	v_mov_b32_e32 v46, s13
	v_add_co_u32_e64 v45, s[6:7], s12, v31
	v_addc_co_u32_e64 v46, s[6:7], v32, v46, s[6:7]
	global_load_dword v45, v[45:46], off
.LBB94_12:                              ;   in Loop: Header=BB94_4 Depth=1
	s_or_b64 exec, exec, s[8:9]
	v_mov_b32_e32 v47, s21
	v_add_co_u32_e64 v46, s[6:7], s20, v37
	v_addc_co_u32_e64 v47, s[6:7], v38, v47, s[6:7]
	v_cmp_gt_u64_e64 s[6:7], s[18:19], v[46:47]
	v_mov_b32_e32 v46, 0
	s_and_saveexec_b64 s[10:11], s[6:7]
	s_cbranch_execz .LBB94_14
; %bb.13:                               ;   in Loop: Header=BB94_4 Depth=1
	v_mov_b32_e32 v44, s13
	v_add_co_u32_e64 v47, s[8:9], s12, v9
	v_addc_co_u32_e64 v48, s[8:9], v10, v44, s[8:9]
	v_add_co_u32_e64 v49, s[8:9], s12, v11
	v_addc_co_u32_e64 v50, s[8:9], v12, v44, s[8:9]
	global_load_dword v46, v[47:48], off
	global_load_dword v44, v[49:50], off
.LBB94_14:                              ;   in Loop: Header=BB94_4 Depth=1
	s_or_b64 exec, exec, s[10:11]
	v_mov_b32_e32 v47, 0
	v_mov_b32_e32 v48, 0
	s_and_saveexec_b64 s[10:11], s[6:7]
	s_cbranch_execz .LBB94_16
; %bb.15:                               ;   in Loop: Header=BB94_4 Depth=1
	v_mov_b32_e32 v49, s13
	v_add_co_u32_e64 v48, s[8:9], s12, v13
	v_addc_co_u32_e64 v49, s[8:9], v14, v49, s[8:9]
	global_load_dword v48, v[48:49], off
.LBB94_16:                              ;   in Loop: Header=BB94_4 Depth=1
	s_or_b64 exec, exec, s[10:11]
	v_mov_b32_e32 v50, s21
	v_add_co_u32_e64 v49, s[8:9], s20, v35
	v_addc_co_u32_e64 v50, s[8:9], v36, v50, s[8:9]
	v_cmp_gt_u64_e64 s[8:9], s[18:19], v[49:50]
	v_mov_b32_e32 v49, 0
	s_and_saveexec_b64 s[22:23], s[8:9]
	s_cbranch_execnz .LBB94_22
; %bb.17:                               ;   in Loop: Header=BB94_4 Depth=1
	s_or_b64 exec, exec, s[22:23]
	v_mov_b32_e32 v50, 0
	s_and_saveexec_b64 s[22:23], s[8:9]
	s_cbranch_execnz .LBB94_23
.LBB94_18:                              ;   in Loop: Header=BB94_4 Depth=1
	s_or_b64 exec, exec, s[22:23]
	s_and_saveexec_b64 s[10:11], vcc
	s_cbranch_execnz .LBB94_24
.LBB94_19:                              ;   in Loop: Header=BB94_4 Depth=1
	s_or_b64 exec, exec, s[10:11]
	s_and_saveexec_b64 s[10:11], s[2:3]
	s_cbranch_execnz .LBB94_25
.LBB94_20:                              ;   in Loop: Header=BB94_4 Depth=1
	s_or_b64 exec, exec, s[10:11]
	s_and_saveexec_b64 s[2:3], s[6:7]
	s_cbranch_execnz .LBB94_26
.LBB94_21:                              ;   in Loop: Header=BB94_4 Depth=1
	s_or_b64 exec, exec, s[2:3]
	s_and_saveexec_b64 s[2:3], s[8:9]
	s_cbranch_execz .LBB94_3
	s_branch .LBB94_27
.LBB94_22:                              ;   in Loop: Header=BB94_4 Depth=1
	v_mov_b32_e32 v47, s13
	v_add_co_u32_e64 v50, s[10:11], s12, v1
	v_addc_co_u32_e64 v51, s[10:11], v2, v47, s[10:11]
	v_add_co_u32_e64 v52, s[10:11], s12, v3
	v_addc_co_u32_e64 v53, s[10:11], v4, v47, s[10:11]
	global_load_dword v49, v[50:51], off
	global_load_dword v47, v[52:53], off
	s_or_b64 exec, exec, s[22:23]
	v_mov_b32_e32 v50, 0
	s_and_saveexec_b64 s[22:23], s[8:9]
	s_cbranch_execz .LBB94_18
.LBB94_23:                              ;   in Loop: Header=BB94_4 Depth=1
	v_mov_b32_e32 v51, s13
	v_add_co_u32_e64 v50, s[10:11], s12, v5
	v_addc_co_u32_e64 v51, s[10:11], v6, v51, s[10:11]
	global_load_dword v50, v[50:51], off
	s_or_b64 exec, exec, s[22:23]
	s_and_saveexec_b64 s[10:11], vcc
	s_cbranch_execz .LBB94_19
.LBB94_24:                              ;   in Loop: Header=BB94_4 Depth=1
	s_waitcnt vmcnt(0)
	v_fma_f32 v51, v40, v42, v39
	v_mul_f32_e32 v40, v40, v42
	v_fmac_f32_e32 v39, s26, v40
	v_cndmask_b32_e64 v42, v39, v51, s[0:1]
	v_mov_b32_e32 v40, s13
	v_add_co_u32_e32 v39, vcc, s12, v23
	v_addc_co_u32_e32 v40, vcc, v24, v40, vcc
	global_store_dword v[39:40], v42, off
	s_or_b64 exec, exec, s[10:11]
	s_and_saveexec_b64 s[10:11], s[2:3]
	s_cbranch_execz .LBB94_20
.LBB94_25:                              ;   in Loop: Header=BB94_4 Depth=1
	s_waitcnt vmcnt(0)
	v_mul_f32_e32 v40, v41, v45
	v_fma_f32 v39, v41, v45, v43
	v_fmac_f32_e32 v43, s26, v40
	v_cndmask_b32_e64 v41, v43, v39, s[0:1]
	v_mov_b32_e32 v40, s13
	v_add_co_u32_e32 v39, vcc, s12, v33
	v_addc_co_u32_e32 v40, vcc, v34, v40, vcc
	global_store_dword v[39:40], v41, off
	s_or_b64 exec, exec, s[10:11]
	s_and_saveexec_b64 s[2:3], s[6:7]
	s_cbranch_execz .LBB94_21
.LBB94_26:                              ;   in Loop: Header=BB94_4 Depth=1
	s_waitcnt vmcnt(0)
	v_mul_f32_e32 v40, v44, v48
	v_fma_f32 v39, v44, v48, v46
	v_fmac_f32_e32 v46, s26, v40
	v_cndmask_b32_e64 v41, v46, v39, s[0:1]
	v_mov_b32_e32 v40, s13
	v_add_co_u32_e32 v39, vcc, s12, v15
	v_addc_co_u32_e32 v40, vcc, v16, v40, vcc
	global_store_dword v[39:40], v41, off
	s_or_b64 exec, exec, s[2:3]
	s_and_saveexec_b64 s[2:3], s[8:9]
	s_cbranch_execz .LBB94_3
.LBB94_27:                              ;   in Loop: Header=BB94_4 Depth=1
	s_waitcnt vmcnt(0)
	v_mul_f32_e32 v40, v47, v50
	v_fma_f32 v39, v47, v50, v49
	v_fmac_f32_e32 v49, s26, v40
	v_cndmask_b32_e64 v41, v49, v39, s[0:1]
	v_mov_b32_e32 v40, s13
	v_add_co_u32_e32 v39, vcc, s12, v7
	v_addc_co_u32_e32 v40, vcc, v8, v40, vcc
	global_store_dword v[39:40], v41, off
	s_branch .LBB94_3
.LBB94_28:
	s_mov_b64 s[0:1], 0
.LBB94_29:
	s_andn2_b64 vcc, exec, s[0:1]
	s_cbranch_vccnz .LBB94_33
; %bb.30:
	v_mov_b32_e32 v1, 0x10000
	v_mov_b32_e32 v2, 0
	v_cmp_lt_i64_e32 vcc, s[14:15], v[1:2]
	v_mov_b32_e32 v2, 0
	s_and_b64 s[0:1], vcc, exec
	s_cselect_b32 s7, s15, 0
	s_cselect_b32 s6, s14, 0x10000
	v_lshlrev_b32_e32 v1, 2, v0
	v_cmp_gt_i64_e32 vcc, s[6:7], v[1:2]
	s_and_saveexec_b64 s[0:1], vcc
	s_cbranch_execz .LBB94_33
; %bb.31:
	s_load_dword s0, s[4:5], 0xc84
	v_mov_b32_e32 v1, v2
	s_waitcnt lgkmcnt(0)
	v_cmp_eq_f32_e64 vcc, s26, 1.0
	v_lshlrev_b32_e32 v2, 4, v0
	s_mov_b64 s[8:9], 0
	s_and_b32 s10, s0, 0xffff
	s_lshl_b32 s11, s10, 4
.LBB94_32:                              ; =>This Inner Loop Header: Depth=1
	v_mov_b32_e32 v4, s28
	v_add_co_u32_e64 v15, s[0:1], s27, v2
	v_mov_b32_e32 v3, s25
	v_mov_b32_e32 v5, s30
	v_add_co_u32_e64 v17, s[2:3], s29, v2
	v_add_co_u32_e64 v19, s[4:5], s24, v2
	v_addc_co_u32_e64 v16, s[0:1], 0, v4, s[0:1]
	v_addc_co_u32_e64 v20, s[4:5], 0, v3, s[4:5]
	;; [unrolled: 1-line block ×3, first 2 shown]
	global_load_dwordx4 v[3:6], v[15:16], off
	global_load_dwordx4 v[7:10], v[17:18], off
	;; [unrolled: 1-line block ×3, first 2 shown]
	v_add_co_u32_e64 v15, s[0:1], s31, v2
	s_add_u32 s31, s31, s11
	v_mov_b32_e32 v16, s33
	s_addc_u32 s33, s33, 0
	v_add_co_u32_e64 v0, s[2:3], s10, v0
	s_add_u32 s24, s24, s11
	v_addc_co_u32_e64 v1, s[2:3], 0, v1, s[2:3]
	s_addc_u32 s25, s25, 0
	v_lshlrev_b64 v[17:18], 2, v[0:1]
	s_add_u32 s29, s29, s11
	v_addc_co_u32_e64 v16, s[0:1], 0, v16, s[0:1]
	s_addc_u32 s30, s30, 0
	v_cmp_le_i64_e64 s[0:1], s[6:7], v[17:18]
	s_add_u32 s27, s27, s11
	s_addc_u32 s28, s28, 0
	s_or_b64 s[8:9], s[0:1], s[8:9]
	s_waitcnt vmcnt(0)
	v_fma_f32 v17, v3, v7, v11
	v_mul_f32_e32 v3, v3, v7
	v_fma_f32 v7, v4, v8, v12
	v_mul_f32_e32 v4, v4, v8
	;; [unrolled: 2-line block ×4, first 2 shown]
	v_fma_f32 v3, s26, v3, v11
	v_fma_f32 v4, s26, v4, v12
	;; [unrolled: 1-line block ×3, first 2 shown]
	v_fmac_f32_e32 v14, s26, v6
	v_cndmask_b32_e32 v3, v3, v17, vcc
	v_cndmask_b32_e32 v4, v4, v7, vcc
	;; [unrolled: 1-line block ×4, first 2 shown]
	global_store_dwordx4 v[15:16], v[3:6], off
	s_andn2_b64 exec, exec, s[8:9]
	s_cbranch_execnz .LBB94_32
.LBB94_33:
	s_endpgm
	.section	.rodata,"a",@progbits
	.p2align	6, 0x0
	.amdhsa_kernel _ZN2at6native12_GLOBAL__N_125multi_tensor_apply_kernelINS1_28TensorListScalarListMetadataIfLi4EEENS1_28PointwiseOpScalarListFunctorIfLi4ELi3ELi3EEEJSt10multipliesIfEEEEvT_T0_DpT1_
		.amdhsa_group_segment_fixed_size 0
		.amdhsa_private_segment_fixed_size 0
		.amdhsa_kernarg_size 3448
		.amdhsa_user_sgpr_count 6
		.amdhsa_user_sgpr_private_segment_buffer 1
		.amdhsa_user_sgpr_dispatch_ptr 0
		.amdhsa_user_sgpr_queue_ptr 0
		.amdhsa_user_sgpr_kernarg_segment_ptr 1
		.amdhsa_user_sgpr_dispatch_id 0
		.amdhsa_user_sgpr_flat_scratch_init 0
		.amdhsa_user_sgpr_private_segment_size 0
		.amdhsa_uses_dynamic_stack 0
		.amdhsa_system_sgpr_private_segment_wavefront_offset 0
		.amdhsa_system_sgpr_workgroup_id_x 1
		.amdhsa_system_sgpr_workgroup_id_y 0
		.amdhsa_system_sgpr_workgroup_id_z 0
		.amdhsa_system_sgpr_workgroup_info 0
		.amdhsa_system_vgpr_workitem_id 0
		.amdhsa_next_free_vgpr 54
		.amdhsa_next_free_sgpr 36
		.amdhsa_reserve_vcc 1
		.amdhsa_reserve_flat_scratch 0
		.amdhsa_float_round_mode_32 0
		.amdhsa_float_round_mode_16_64 0
		.amdhsa_float_denorm_mode_32 3
		.amdhsa_float_denorm_mode_16_64 3
		.amdhsa_dx10_clamp 1
		.amdhsa_ieee_mode 1
		.amdhsa_fp16_overflow 0
		.amdhsa_exception_fp_ieee_invalid_op 0
		.amdhsa_exception_fp_denorm_src 0
		.amdhsa_exception_fp_ieee_div_zero 0
		.amdhsa_exception_fp_ieee_overflow 0
		.amdhsa_exception_fp_ieee_underflow 0
		.amdhsa_exception_fp_ieee_inexact 0
		.amdhsa_exception_int_div_zero 0
	.end_amdhsa_kernel
	.section	.text._ZN2at6native12_GLOBAL__N_125multi_tensor_apply_kernelINS1_28TensorListScalarListMetadataIfLi4EEENS1_28PointwiseOpScalarListFunctorIfLi4ELi3ELi3EEEJSt10multipliesIfEEEEvT_T0_DpT1_,"axG",@progbits,_ZN2at6native12_GLOBAL__N_125multi_tensor_apply_kernelINS1_28TensorListScalarListMetadataIfLi4EEENS1_28PointwiseOpScalarListFunctorIfLi4ELi3ELi3EEEJSt10multipliesIfEEEEvT_T0_DpT1_,comdat
.Lfunc_end94:
	.size	_ZN2at6native12_GLOBAL__N_125multi_tensor_apply_kernelINS1_28TensorListScalarListMetadataIfLi4EEENS1_28PointwiseOpScalarListFunctorIfLi4ELi3ELi3EEEJSt10multipliesIfEEEEvT_T0_DpT1_, .Lfunc_end94-_ZN2at6native12_GLOBAL__N_125multi_tensor_apply_kernelINS1_28TensorListScalarListMetadataIfLi4EEENS1_28PointwiseOpScalarListFunctorIfLi4ELi3ELi3EEEJSt10multipliesIfEEEEvT_T0_DpT1_
                                        ; -- End function
	.set _ZN2at6native12_GLOBAL__N_125multi_tensor_apply_kernelINS1_28TensorListScalarListMetadataIfLi4EEENS1_28PointwiseOpScalarListFunctorIfLi4ELi3ELi3EEEJSt10multipliesIfEEEEvT_T0_DpT1_.num_vgpr, 54
	.set _ZN2at6native12_GLOBAL__N_125multi_tensor_apply_kernelINS1_28TensorListScalarListMetadataIfLi4EEENS1_28PointwiseOpScalarListFunctorIfLi4ELi3ELi3EEEJSt10multipliesIfEEEEvT_T0_DpT1_.num_agpr, 0
	.set _ZN2at6native12_GLOBAL__N_125multi_tensor_apply_kernelINS1_28TensorListScalarListMetadataIfLi4EEENS1_28PointwiseOpScalarListFunctorIfLi4ELi3ELi3EEEJSt10multipliesIfEEEEvT_T0_DpT1_.numbered_sgpr, 36
	.set _ZN2at6native12_GLOBAL__N_125multi_tensor_apply_kernelINS1_28TensorListScalarListMetadataIfLi4EEENS1_28PointwiseOpScalarListFunctorIfLi4ELi3ELi3EEEJSt10multipliesIfEEEEvT_T0_DpT1_.num_named_barrier, 0
	.set _ZN2at6native12_GLOBAL__N_125multi_tensor_apply_kernelINS1_28TensorListScalarListMetadataIfLi4EEENS1_28PointwiseOpScalarListFunctorIfLi4ELi3ELi3EEEJSt10multipliesIfEEEEvT_T0_DpT1_.private_seg_size, 0
	.set _ZN2at6native12_GLOBAL__N_125multi_tensor_apply_kernelINS1_28TensorListScalarListMetadataIfLi4EEENS1_28PointwiseOpScalarListFunctorIfLi4ELi3ELi3EEEJSt10multipliesIfEEEEvT_T0_DpT1_.uses_vcc, 1
	.set _ZN2at6native12_GLOBAL__N_125multi_tensor_apply_kernelINS1_28TensorListScalarListMetadataIfLi4EEENS1_28PointwiseOpScalarListFunctorIfLi4ELi3ELi3EEEJSt10multipliesIfEEEEvT_T0_DpT1_.uses_flat_scratch, 0
	.set _ZN2at6native12_GLOBAL__N_125multi_tensor_apply_kernelINS1_28TensorListScalarListMetadataIfLi4EEENS1_28PointwiseOpScalarListFunctorIfLi4ELi3ELi3EEEJSt10multipliesIfEEEEvT_T0_DpT1_.has_dyn_sized_stack, 0
	.set _ZN2at6native12_GLOBAL__N_125multi_tensor_apply_kernelINS1_28TensorListScalarListMetadataIfLi4EEENS1_28PointwiseOpScalarListFunctorIfLi4ELi3ELi3EEEJSt10multipliesIfEEEEvT_T0_DpT1_.has_recursion, 0
	.set _ZN2at6native12_GLOBAL__N_125multi_tensor_apply_kernelINS1_28TensorListScalarListMetadataIfLi4EEENS1_28PointwiseOpScalarListFunctorIfLi4ELi3ELi3EEEJSt10multipliesIfEEEEvT_T0_DpT1_.has_indirect_call, 0
	.section	.AMDGPU.csdata,"",@progbits
; Kernel info:
; codeLenInByte = 2108
; TotalNumSgprs: 40
; NumVgprs: 54
; ScratchSize: 0
; MemoryBound: 0
; FloatMode: 240
; IeeeMode: 1
; LDSByteSize: 0 bytes/workgroup (compile time only)
; SGPRBlocks: 4
; VGPRBlocks: 13
; NumSGPRsForWavesPerEU: 40
; NumVGPRsForWavesPerEU: 54
; Occupancy: 4
; WaveLimiterHint : 0
; COMPUTE_PGM_RSRC2:SCRATCH_EN: 0
; COMPUTE_PGM_RSRC2:USER_SGPR: 6
; COMPUTE_PGM_RSRC2:TRAP_HANDLER: 0
; COMPUTE_PGM_RSRC2:TGID_X_EN: 1
; COMPUTE_PGM_RSRC2:TGID_Y_EN: 0
; COMPUTE_PGM_RSRC2:TGID_Z_EN: 0
; COMPUTE_PGM_RSRC2:TIDIG_COMP_CNT: 0
	.section	.text._ZN2at6native12_GLOBAL__N_125multi_tensor_apply_kernelINS1_28TensorListScalarListMetadataIN3c107complexIdEELi4EEENS1_28PointwiseOpScalarListFunctorIS6_Li4ELi3ELi3EEEJSt10multipliesIS6_EEEEvT_T0_DpT1_,"axG",@progbits,_ZN2at6native12_GLOBAL__N_125multi_tensor_apply_kernelINS1_28TensorListScalarListMetadataIN3c107complexIdEELi4EEENS1_28PointwiseOpScalarListFunctorIS6_Li4ELi3ELi3EEEJSt10multipliesIS6_EEEEvT_T0_DpT1_,comdat
	.globl	_ZN2at6native12_GLOBAL__N_125multi_tensor_apply_kernelINS1_28TensorListScalarListMetadataIN3c107complexIdEELi4EEENS1_28PointwiseOpScalarListFunctorIS6_Li4ELi3ELi3EEEJSt10multipliesIS6_EEEEvT_T0_DpT1_ ; -- Begin function _ZN2at6native12_GLOBAL__N_125multi_tensor_apply_kernelINS1_28TensorListScalarListMetadataIN3c107complexIdEELi4EEENS1_28PointwiseOpScalarListFunctorIS6_Li4ELi3ELi3EEEJSt10multipliesIS6_EEEEvT_T0_DpT1_
	.p2align	8
	.type	_ZN2at6native12_GLOBAL__N_125multi_tensor_apply_kernelINS1_28TensorListScalarListMetadataIN3c107complexIdEELi4EEENS1_28PointwiseOpScalarListFunctorIS6_Li4ELi3ELi3EEEJSt10multipliesIS6_EEEEvT_T0_DpT1_,@function
_ZN2at6native12_GLOBAL__N_125multi_tensor_apply_kernelINS1_28TensorListScalarListMetadataIN3c107complexIdEELi4EEENS1_28PointwiseOpScalarListFunctorIS6_Li4ELi3ELi3EEEJSt10multipliesIS6_EEEEvT_T0_DpT1_: ; @_ZN2at6native12_GLOBAL__N_125multi_tensor_apply_kernelINS1_28TensorListScalarListMetadataIN3c107complexIdEELi4EEENS1_28PointwiseOpScalarListFunctorIS6_Li4ELi3ELi3EEEJSt10multipliesIS6_EEEEvT_T0_DpT1_
; %bb.0:
	v_mov_b32_e32 v1, s6
	global_load_ubyte v1, v1, s[4:5] offset:2016
	s_add_u32 s0, s4, s6
	s_mul_hi_u32 s3, s6, 3
	s_mul_i32 s6, s6, 3
	s_addc_u32 s7, s5, 0
	s_add_u32 s2, s0, s6
	s_addc_u32 s3, s7, s3
	s_load_dword s2, s[2:3], 0x920
	s_mov_b32 s1, 0
	s_mov_b32 s7, s1
	s_waitcnt lgkmcnt(0)
	s_ashr_i32 s3, s2, 31
	s_waitcnt vmcnt(0)
	v_readfirstlane_b32 s0, v1
	s_lshl_b32 s0, s0, 3
	s_load_dwordx2 s[8:9], s[4:5], s0 offset:0x480
	s_load_dwordx2 s[10:11], s[4:5], s0 offset:0x0
	;; [unrolled: 1-line block ×5, first 2 shown]
	s_add_u32 s12, s4, s0
	s_addc_u32 s13, s5, 0
	s_lshl_b64 s[22:23], s[2:3], 20
	s_waitcnt lgkmcnt(0)
	s_add_u32 s26, s10, s22
	s_addc_u32 s27, s11, s23
	s_add_u32 s28, s16, s22
	s_load_dwordx4 s[12:15], s[12:13], s0 offset:0x5a0
	s_addc_u32 s29, s17, s23
	s_and_b32 s0, s28, 63
	s_add_u32 s30, s18, s22
	s_addc_u32 s31, s19, s23
	s_add_u32 s33, s20, s22
	s_addc_u32 s34, s21, s23
	s_or_b32 s6, s33, s30
	s_and_b32 s6, s6, 63
	s_cmp_eq_u32 s6, 0
	s_cselect_b64 s[10:11], -1, 0
	s_and_b32 s6, s26, 63
	s_cmp_eq_u64 s[0:1], 0
	s_cselect_b64 s[16:17], -1, 0
	s_lshl_b64 s[2:3], s[2:3], 16
	s_and_b64 s[10:11], s[10:11], s[16:17]
	s_sub_u32 s16, s8, s2
	s_subb_u32 s17, s9, s3
	s_and_b32 s0, s8, 3
	s_or_b64 s[0:1], s[6:7], s[0:1]
	s_cmp_eq_u64 s[0:1], 0
	s_cselect_b64 s[0:1], -1, 0
	s_and_b64 s[2:3], s[10:11], s[0:1]
	s_mov_b64 s[0:1], -1
	s_and_b64 vcc, exec, s[2:3]
	s_cbranch_vccnz .LBB95_29
; %bb.1:
	v_cmp_lt_i64_e64 s[0:1], s[16:17], 1
	s_and_b64 vcc, exec, s[0:1]
	s_cbranch_vccnz .LBB95_28
; %bb.2:
	v_mov_b32_e32 v1, 0x10000
	v_mov_b32_e32 v2, 0
	v_cmp_lt_i64_e32 vcc, s[16:17], v[1:2]
	s_waitcnt lgkmcnt(0)
	v_cmp_eq_f64_e64 s[2:3], s[14:15], 0
	s_and_b64 s[0:1], vcc, exec
	v_cmp_eq_f64_e64 s[0:1], s[12:13], 1.0
	s_load_dword s6, s[4:5], 0xe34
	v_cmp_lt_u64_e32 vcc, s[16:17], v[1:2]
	s_cselect_b32 s19, s17, 0
	s_cselect_b32 s18, s16, 0x10000
	s_mov_b64 s[22:23], 0
	s_waitcnt lgkmcnt(0)
	s_and_b32 s35, s6, 0xffff
	s_and_b64 s[6:7], vcc, exec
	s_cselect_b32 s21, s17, 0
	s_cselect_b32 s20, s16, 0x10000
	s_lshl_b32 s36, s35, 1
	s_mul_i32 s37, s35, 3
	s_and_b64 s[0:1], s[0:1], s[2:3]
	s_lshl_b32 s38, s35, 2
	s_branch .LBB95_4
.LBB95_3:                               ;   in Loop: Header=BB95_4 Depth=1
	s_or_b64 exec, exec, s[2:3]
	s_add_u32 s22, s22, s38
	s_waitcnt vmcnt(1)
	v_mov_b32_e32 v1, s18
	s_addc_u32 s23, s23, 0
	v_mov_b32_e32 v2, s19
	v_cmp_lt_i64_e32 vcc, s[22:23], v[1:2]
	s_cbranch_vccz .LBB95_28
.LBB95_4:                               ; =>This Inner Loop Header: Depth=1
	v_mov_b32_e32 v1, s23
	v_add_co_u32_e32 v49, vcc, s22, v0
	v_addc_co_u32_e32 v50, vcc, 0, v1, vcc
	v_cmp_gt_u64_e32 vcc, s[20:21], v[49:50]
	s_waitcnt vmcnt(0)
	v_mov_b32_e32 v7, 0
	v_mov_b32_e32 v11, 0
	;; [unrolled: 1-line block ×10, first 2 shown]
	s_and_saveexec_b64 s[6:7], vcc
	s_cbranch_execz .LBB95_6
; %bb.5:                                ;   in Loop: Header=BB95_4 Depth=1
	v_lshlrev_b64 v[1:2], 4, v[49:50]
	v_mov_b32_e32 v3, s29
	v_add_co_u32_e64 v5, s[2:3], s28, v1
	v_addc_co_u32_e64 v6, s[2:3], v3, v2, s[2:3]
	v_mov_b32_e32 v3, s27
	v_add_co_u32_e64 v13, s[2:3], s26, v1
	v_addc_co_u32_e64 v14, s[2:3], v3, v2, s[2:3]
	global_load_dwordx4 v[1:4], v[13:14], off
	global_load_dwordx4 v[9:12], v[5:6], off
.LBB95_6:                               ;   in Loop: Header=BB95_4 Depth=1
	s_or_b64 exec, exec, s[6:7]
	v_mov_b32_e32 v5, 0
	v_mov_b32_e32 v6, 0
	s_and_saveexec_b64 s[6:7], vcc
	s_cbranch_execz .LBB95_8
; %bb.7:                                ;   in Loop: Header=BB95_4 Depth=1
	v_lshlrev_b64 v[5:6], 4, v[49:50]
	v_mov_b32_e32 v7, s31
	v_add_co_u32_e64 v5, s[2:3], s30, v5
	v_addc_co_u32_e64 v6, s[2:3], v7, v6, s[2:3]
	global_load_dwordx4 v[5:8], v[5:6], off
.LBB95_8:                               ;   in Loop: Header=BB95_4 Depth=1
	s_or_b64 exec, exec, s[6:7]
	v_add_co_u32_e64 v51, s[2:3], s35, v49
	v_addc_co_u32_e64 v52, s[2:3], 0, v50, s[2:3]
	v_cmp_gt_u64_e64 s[2:3], s[20:21], v[51:52]
	v_mov_b32_e32 v19, 0
	v_mov_b32_e32 v23, 0
	;; [unrolled: 1-line block ×10, first 2 shown]
	s_and_saveexec_b64 s[8:9], s[2:3]
	s_cbranch_execz .LBB95_10
; %bb.9:                                ;   in Loop: Header=BB95_4 Depth=1
	v_lshlrev_b64 v[13:14], 4, v[51:52]
	v_mov_b32_e32 v15, s29
	v_add_co_u32_e64 v17, s[6:7], s28, v13
	v_addc_co_u32_e64 v18, s[6:7], v15, v14, s[6:7]
	v_mov_b32_e32 v15, s27
	v_add_co_u32_e64 v25, s[6:7], s26, v13
	v_addc_co_u32_e64 v26, s[6:7], v15, v14, s[6:7]
	global_load_dwordx4 v[13:16], v[25:26], off
	global_load_dwordx4 v[21:24], v[17:18], off
.LBB95_10:                              ;   in Loop: Header=BB95_4 Depth=1
	s_or_b64 exec, exec, s[8:9]
	v_mov_b32_e32 v17, 0
	v_mov_b32_e32 v18, 0
	s_and_saveexec_b64 s[8:9], s[2:3]
	s_cbranch_execz .LBB95_12
; %bb.11:                               ;   in Loop: Header=BB95_4 Depth=1
	v_lshlrev_b64 v[17:18], 4, v[51:52]
	v_mov_b32_e32 v19, s31
	v_add_co_u32_e64 v17, s[6:7], s30, v17
	v_addc_co_u32_e64 v18, s[6:7], v19, v18, s[6:7]
	global_load_dwordx4 v[17:20], v[17:18], off
.LBB95_12:                              ;   in Loop: Header=BB95_4 Depth=1
	s_or_b64 exec, exec, s[8:9]
	v_add_co_u32_e64 v53, s[6:7], s36, v49
	v_addc_co_u32_e64 v54, s[6:7], 0, v50, s[6:7]
	v_cmp_gt_u64_e64 s[6:7], s[20:21], v[53:54]
	v_mov_b32_e32 v31, 0
	v_mov_b32_e32 v35, 0
	;; [unrolled: 1-line block ×10, first 2 shown]
	s_and_saveexec_b64 s[10:11], s[6:7]
	s_cbranch_execz .LBB95_14
; %bb.13:                               ;   in Loop: Header=BB95_4 Depth=1
	v_lshlrev_b64 v[25:26], 4, v[53:54]
	v_mov_b32_e32 v27, s29
	v_add_co_u32_e64 v29, s[8:9], s28, v25
	v_addc_co_u32_e64 v30, s[8:9], v27, v26, s[8:9]
	v_mov_b32_e32 v27, s27
	v_add_co_u32_e64 v37, s[8:9], s26, v25
	v_addc_co_u32_e64 v38, s[8:9], v27, v26, s[8:9]
	global_load_dwordx4 v[25:28], v[37:38], off
	global_load_dwordx4 v[33:36], v[29:30], off
.LBB95_14:                              ;   in Loop: Header=BB95_4 Depth=1
	s_or_b64 exec, exec, s[10:11]
	v_mov_b32_e32 v29, 0
	v_mov_b32_e32 v30, 0
	s_and_saveexec_b64 s[10:11], s[6:7]
	s_cbranch_execz .LBB95_16
; %bb.15:                               ;   in Loop: Header=BB95_4 Depth=1
	v_lshlrev_b64 v[29:30], 4, v[53:54]
	v_mov_b32_e32 v31, s31
	v_add_co_u32_e64 v29, s[8:9], s30, v29
	v_addc_co_u32_e64 v30, s[8:9], v31, v30, s[8:9]
	global_load_dwordx4 v[29:32], v[29:30], off
.LBB95_16:                              ;   in Loop: Header=BB95_4 Depth=1
	s_or_b64 exec, exec, s[10:11]
	v_add_co_u32_e64 v55, s[8:9], s37, v49
	v_addc_co_u32_e64 v56, s[8:9], 0, v50, s[8:9]
	v_cmp_gt_u64_e64 s[8:9], s[20:21], v[55:56]
	v_mov_b32_e32 v43, 0
	v_mov_b32_e32 v47, 0
	;; [unrolled: 1-line block ×10, first 2 shown]
	s_and_saveexec_b64 s[24:25], s[8:9]
	s_cbranch_execz .LBB95_18
; %bb.17:                               ;   in Loop: Header=BB95_4 Depth=1
	v_lshlrev_b64 v[37:38], 4, v[55:56]
	v_mov_b32_e32 v39, s29
	v_add_co_u32_e64 v41, s[10:11], s28, v37
	v_addc_co_u32_e64 v42, s[10:11], v39, v38, s[10:11]
	v_mov_b32_e32 v39, s27
	v_add_co_u32_e64 v57, s[10:11], s26, v37
	v_addc_co_u32_e64 v58, s[10:11], v39, v38, s[10:11]
	global_load_dwordx4 v[37:40], v[57:58], off
	global_load_dwordx4 v[45:48], v[41:42], off
.LBB95_18:                              ;   in Loop: Header=BB95_4 Depth=1
	s_or_b64 exec, exec, s[24:25]
	v_mov_b32_e32 v41, 0
	v_mov_b32_e32 v42, 0
	s_and_saveexec_b64 s[24:25], s[8:9]
	s_cbranch_execnz .LBB95_23
; %bb.19:                               ;   in Loop: Header=BB95_4 Depth=1
	s_or_b64 exec, exec, s[24:25]
	s_and_saveexec_b64 s[10:11], vcc
	s_cbranch_execnz .LBB95_24
.LBB95_20:                              ;   in Loop: Header=BB95_4 Depth=1
	s_or_b64 exec, exec, s[10:11]
	s_and_saveexec_b64 s[10:11], s[2:3]
	s_cbranch_execnz .LBB95_25
.LBB95_21:                              ;   in Loop: Header=BB95_4 Depth=1
	s_or_b64 exec, exec, s[10:11]
	s_and_saveexec_b64 s[2:3], s[6:7]
	s_cbranch_execnz .LBB95_26
.LBB95_22:                              ;   in Loop: Header=BB95_4 Depth=1
	s_or_b64 exec, exec, s[2:3]
	s_and_saveexec_b64 s[2:3], s[8:9]
	s_cbranch_execz .LBB95_3
	s_branch .LBB95_27
.LBB95_23:                              ;   in Loop: Header=BB95_4 Depth=1
	v_lshlrev_b64 v[41:42], 4, v[55:56]
	v_mov_b32_e32 v43, s31
	v_add_co_u32_e64 v41, s[10:11], s30, v41
	v_addc_co_u32_e64 v42, s[10:11], v43, v42, s[10:11]
	global_load_dwordx4 v[41:44], v[41:42], off
	s_or_b64 exec, exec, s[24:25]
	s_and_saveexec_b64 s[10:11], vcc
	s_cbranch_execz .LBB95_20
.LBB95_24:                              ;   in Loop: Header=BB95_4 Depth=1
	s_waitcnt vmcnt(0)
	v_mul_f64 v[57:58], v[11:12], v[5:6]
	v_mul_f64 v[11:12], v[11:12], v[7:8]
	v_fma_f64 v[7:8], v[9:10], v[7:8], v[57:58]
	v_fma_f64 v[5:6], v[9:10], v[5:6], -v[11:12]
	v_mul_f64 v[9:10], s[14:15], v[7:8]
	v_mul_f64 v[11:12], s[14:15], v[5:6]
	v_fma_f64 v[9:10], s[12:13], v[5:6], -v[9:10]
	v_fma_f64 v[11:12], s[12:13], v[7:8], v[11:12]
	v_cndmask_b32_e64 v6, v10, v6, s[0:1]
	v_cndmask_b32_e64 v5, v9, v5, s[0:1]
	v_cndmask_b32_e64 v8, v12, v8, s[0:1]
	v_cndmask_b32_e64 v7, v11, v7, s[0:1]
	v_add_f64 v[1:2], v[1:2], v[5:6]
	v_add_f64 v[3:4], v[3:4], v[7:8]
	v_lshlrev_b64 v[5:6], 4, v[49:50]
	v_mov_b32_e32 v7, s34
	v_add_co_u32_e32 v5, vcc, s33, v5
	v_addc_co_u32_e32 v6, vcc, v7, v6, vcc
	global_store_dwordx4 v[5:6], v[1:4], off
	s_or_b64 exec, exec, s[10:11]
	s_and_saveexec_b64 s[10:11], s[2:3]
	s_cbranch_execz .LBB95_21
.LBB95_25:                              ;   in Loop: Header=BB95_4 Depth=1
	s_waitcnt vmcnt(0)
	v_mul_f64 v[1:2], v[23:24], v[17:18]
	v_mul_f64 v[3:4], v[23:24], v[19:20]
	v_fma_f64 v[1:2], v[21:22], v[19:20], v[1:2]
	v_fma_f64 v[3:4], v[21:22], v[17:18], -v[3:4]
	v_mul_f64 v[5:6], s[14:15], v[1:2]
	v_mul_f64 v[7:8], s[14:15], v[3:4]
	v_fma_f64 v[5:6], s[12:13], v[3:4], -v[5:6]
	v_fma_f64 v[7:8], s[12:13], v[1:2], v[7:8]
	v_cndmask_b32_e64 v6, v6, v4, s[0:1]
	v_cndmask_b32_e64 v5, v5, v3, s[0:1]
	;; [unrolled: 1-line block ×4, first 2 shown]
	v_add_f64 v[3:4], v[15:16], v[1:2]
	v_add_f64 v[1:2], v[13:14], v[5:6]
	v_lshlrev_b64 v[5:6], 4, v[51:52]
	v_mov_b32_e32 v7, s34
	v_add_co_u32_e32 v5, vcc, s33, v5
	v_addc_co_u32_e32 v6, vcc, v7, v6, vcc
	global_store_dwordx4 v[5:6], v[1:4], off
	s_or_b64 exec, exec, s[10:11]
	s_and_saveexec_b64 s[2:3], s[6:7]
	s_cbranch_execz .LBB95_22
.LBB95_26:                              ;   in Loop: Header=BB95_4 Depth=1
	s_waitcnt vmcnt(0)
	v_mul_f64 v[1:2], v[35:36], v[29:30]
	v_mul_f64 v[3:4], v[35:36], v[31:32]
	v_fma_f64 v[1:2], v[33:34], v[31:32], v[1:2]
	v_fma_f64 v[3:4], v[33:34], v[29:30], -v[3:4]
	v_mul_f64 v[5:6], s[14:15], v[1:2]
	v_mul_f64 v[7:8], s[14:15], v[3:4]
	v_fma_f64 v[5:6], s[12:13], v[3:4], -v[5:6]
	v_fma_f64 v[7:8], s[12:13], v[1:2], v[7:8]
	v_cndmask_b32_e64 v6, v6, v4, s[0:1]
	v_cndmask_b32_e64 v5, v5, v3, s[0:1]
	;; [unrolled: 1-line block ×4, first 2 shown]
	v_add_f64 v[3:4], v[27:28], v[1:2]
	v_add_f64 v[1:2], v[25:26], v[5:6]
	v_lshlrev_b64 v[5:6], 4, v[53:54]
	v_mov_b32_e32 v7, s34
	v_add_co_u32_e32 v5, vcc, s33, v5
	v_addc_co_u32_e32 v6, vcc, v7, v6, vcc
	global_store_dwordx4 v[5:6], v[1:4], off
	s_or_b64 exec, exec, s[2:3]
	s_and_saveexec_b64 s[2:3], s[8:9]
	s_cbranch_execz .LBB95_3
.LBB95_27:                              ;   in Loop: Header=BB95_4 Depth=1
	s_waitcnt vmcnt(0)
	v_mul_f64 v[1:2], v[47:48], v[41:42]
	v_mul_f64 v[3:4], v[47:48], v[43:44]
	v_fma_f64 v[1:2], v[45:46], v[43:44], v[1:2]
	v_fma_f64 v[3:4], v[45:46], v[41:42], -v[3:4]
	v_mul_f64 v[5:6], s[14:15], v[1:2]
	v_mul_f64 v[7:8], s[14:15], v[3:4]
	v_fma_f64 v[5:6], s[12:13], v[3:4], -v[5:6]
	v_fma_f64 v[7:8], s[12:13], v[1:2], v[7:8]
	v_cndmask_b32_e64 v6, v6, v4, s[0:1]
	v_cndmask_b32_e64 v5, v5, v3, s[0:1]
	;; [unrolled: 1-line block ×4, first 2 shown]
	v_add_f64 v[3:4], v[39:40], v[1:2]
	v_add_f64 v[1:2], v[37:38], v[5:6]
	v_lshlrev_b64 v[5:6], 4, v[55:56]
	v_mov_b32_e32 v7, s34
	v_add_co_u32_e32 v5, vcc, s33, v5
	v_addc_co_u32_e32 v6, vcc, v7, v6, vcc
	global_store_dwordx4 v[5:6], v[1:4], off
	s_branch .LBB95_3
.LBB95_28:
	s_mov_b64 s[0:1], 0
.LBB95_29:
	s_andn2_b64 vcc, exec, s[0:1]
	s_cbranch_vccnz .LBB95_33
; %bb.30:
	v_mov_b32_e32 v1, 0x10000
	v_mov_b32_e32 v2, 0
	v_cmp_lt_i64_e32 vcc, s[16:17], v[1:2]
	v_mov_b32_e32 v2, 0
	s_and_b64 s[0:1], vcc, exec
	s_cselect_b32 s7, s17, 0
	s_cselect_b32 s6, s16, 0x10000
	v_lshlrev_b32_e32 v1, 2, v0
	v_cmp_gt_i64_e32 vcc, s[6:7], v[1:2]
	s_and_saveexec_b64 s[0:1], vcc
	s_cbranch_execz .LBB95_33
; %bb.31:
	s_waitcnt lgkmcnt(0)
	v_cmp_eq_f64_e64 s[0:1], s[12:13], 1.0
	v_cmp_eq_f64_e64 s[2:3], s[14:15], 0
	s_load_dword s8, s[4:5], 0xe34
	v_mov_b32_e32 v1, v2
	s_mov_b64 s[4:5], 0
	v_lshlrev_b32_e32 v2, 6, v0
	s_waitcnt lgkmcnt(0)
	s_and_b32 s8, s8, 0xffff
	s_lshl_b32 s9, s8, 6
	s_and_b64 vcc, s[0:1], s[2:3]
.LBB95_32:                              ; =>This Inner Loop Header: Depth=1
	v_mov_b32_e32 v4, s31
	s_waitcnt vmcnt(0)
	v_add_co_u32_e64 v35, s[0:1], s30, v2
	v_mov_b32_e32 v3, s29
	v_add_co_u32_e64 v37, s[2:3], s28, v2
	v_addc_co_u32_e64 v36, s[0:1], 0, v4, s[0:1]
	v_addc_co_u32_e64 v38, s[2:3], 0, v3, s[2:3]
	global_load_dwordx4 v[3:6], v[35:36], off
	global_load_dwordx4 v[7:10], v[37:38], off
	global_load_dwordx4 v[11:14], v[37:38], off offset:16
	global_load_dwordx4 v[15:18], v[35:36], off offset:16
	;; [unrolled: 1-line block ×6, first 2 shown]
	v_mov_b32_e32 v35, s27
	v_add_co_u32_e64 v52, s[2:3], s26, v2
	v_addc_co_u32_e64 v53, s[2:3], 0, v35, s[2:3]
	global_load_dwordx4 v[35:38], v[52:53], off
	global_load_dwordx4 v[39:42], v[52:53], off offset:16
	global_load_dwordx4 v[43:46], v[52:53], off offset:32
	;; [unrolled: 1-line block ×3, first 2 shown]
	v_add_co_u32_e64 v0, s[2:3], s8, v0
	v_mov_b32_e32 v54, s34
	v_add_co_u32_e64 v51, s[0:1], s33, v2
	v_addc_co_u32_e64 v1, s[2:3], 0, v1, s[2:3]
	v_addc_co_u32_e64 v52, s[0:1], 0, v54, s[0:1]
	v_lshlrev_b64 v[53:54], 2, v[0:1]
	s_add_u32 s33, s33, s9
	v_cmp_le_i64_e64 s[0:1], s[6:7], v[53:54]
	s_addc_u32 s34, s34, 0
	s_add_u32 s26, s26, s9
	s_addc_u32 s27, s27, 0
	s_add_u32 s30, s30, s9
	;; [unrolled: 2-line block ×3, first 2 shown]
	s_addc_u32 s29, s29, 0
	s_or_b64 s[4:5], s[0:1], s[4:5]
	s_waitcnt vmcnt(10)
	v_mul_f64 v[53:54], v[9:10], v[5:6]
	v_mul_f64 v[5:6], v[7:8], v[5:6]
	s_waitcnt vmcnt(8)
	v_mul_f64 v[55:56], v[13:14], v[17:18]
	v_fma_f64 v[7:8], v[7:8], v[3:4], -v[53:54]
	v_fma_f64 v[3:4], v[9:10], v[3:4], v[5:6]
	v_mul_f64 v[5:6], v[11:12], v[17:18]
	s_waitcnt vmcnt(6)
	v_mul_f64 v[9:10], v[25:26], v[21:22]
	v_mul_f64 v[17:18], v[23:24], v[21:22]
	s_waitcnt vmcnt(4)
	v_mul_f64 v[21:22], v[27:28], v[33:34]
	v_fma_f64 v[11:12], v[11:12], v[15:16], -v[55:56]
	v_fma_f64 v[5:6], v[13:14], v[15:16], v[5:6]
	v_mul_f64 v[13:14], v[29:30], v[33:34]
	v_fma_f64 v[15:16], v[25:26], v[19:20], v[17:18]
	v_fma_f64 v[9:10], v[23:24], v[19:20], -v[9:10]
	v_fma_f64 v[17:18], v[29:30], v[31:32], v[21:22]
	v_mul_f64 v[19:20], s[14:15], v[3:4]
	v_mul_f64 v[21:22], s[14:15], v[7:8]
	;; [unrolled: 1-line block ×4, first 2 shown]
	v_fma_f64 v[13:14], v[27:28], v[31:32], -v[13:14]
	v_mul_f64 v[27:28], s[14:15], v[15:16]
	v_mul_f64 v[29:30], s[14:15], v[9:10]
	;; [unrolled: 1-line block ×3, first 2 shown]
	v_fma_f64 v[19:20], s[12:13], v[7:8], -v[19:20]
	v_fma_f64 v[21:22], s[12:13], v[3:4], v[21:22]
	v_fma_f64 v[25:26], s[12:13], v[5:6], v[25:26]
	v_fma_f64 v[23:24], s[12:13], v[11:12], -v[23:24]
	v_mul_f64 v[33:34], s[14:15], v[13:14]
	v_fma_f64 v[27:28], s[12:13], v[9:10], -v[27:28]
	v_fma_f64 v[29:30], s[12:13], v[15:16], v[29:30]
	v_fma_f64 v[31:32], s[12:13], v[13:14], -v[31:32]
	v_cndmask_b32_e32 v8, v20, v8, vcc
	v_cndmask_b32_e32 v7, v19, v7, vcc
	;; [unrolled: 1-line block ×4, first 2 shown]
	v_fma_f64 v[33:34], s[12:13], v[17:18], v[33:34]
	v_cndmask_b32_e32 v12, v24, v12, vcc
	v_cndmask_b32_e32 v11, v23, v11, vcc
	v_cndmask_b32_e32 v20, v26, v6, vcc
	v_cndmask_b32_e32 v19, v25, v5, vcc
	s_waitcnt vmcnt(3)
	v_add_f64 v[5:6], v[37:38], v[3:4]
	v_add_f64 v[3:4], v[35:36], v[7:8]
	v_cndmask_b32_e32 v22, v28, v10, vcc
	v_cndmask_b32_e32 v21, v27, v9, vcc
	v_cndmask_b32_e32 v16, v30, v16, vcc
	v_cndmask_b32_e32 v15, v29, v15, vcc
	s_waitcnt vmcnt(2)
	v_add_f64 v[9:10], v[41:42], v[19:20]
	v_add_f64 v[7:8], v[39:40], v[11:12]
	;; [unrolled: 7-line block ×3, first 2 shown]
	s_waitcnt vmcnt(0)
	v_add_f64 v[17:18], v[49:50], v[17:18]
	v_add_f64 v[15:16], v[47:48], v[23:24]
	global_store_dwordx4 v[51:52], v[3:6], off
	global_store_dwordx4 v[51:52], v[7:10], off offset:16
	global_store_dwordx4 v[51:52], v[11:14], off offset:32
	;; [unrolled: 1-line block ×3, first 2 shown]
	s_andn2_b64 exec, exec, s[4:5]
	s_cbranch_execnz .LBB95_32
.LBB95_33:
	s_endpgm
	.section	.rodata,"a",@progbits
	.p2align	6, 0x0
	.amdhsa_kernel _ZN2at6native12_GLOBAL__N_125multi_tensor_apply_kernelINS1_28TensorListScalarListMetadataIN3c107complexIdEELi4EEENS1_28PointwiseOpScalarListFunctorIS6_Li4ELi3ELi3EEEJSt10multipliesIS6_EEEEvT_T0_DpT1_
		.amdhsa_group_segment_fixed_size 0
		.amdhsa_private_segment_fixed_size 0
		.amdhsa_kernarg_size 3880
		.amdhsa_user_sgpr_count 6
		.amdhsa_user_sgpr_private_segment_buffer 1
		.amdhsa_user_sgpr_dispatch_ptr 0
		.amdhsa_user_sgpr_queue_ptr 0
		.amdhsa_user_sgpr_kernarg_segment_ptr 1
		.amdhsa_user_sgpr_dispatch_id 0
		.amdhsa_user_sgpr_flat_scratch_init 0
		.amdhsa_user_sgpr_private_segment_size 0
		.amdhsa_uses_dynamic_stack 0
		.amdhsa_system_sgpr_private_segment_wavefront_offset 0
		.amdhsa_system_sgpr_workgroup_id_x 1
		.amdhsa_system_sgpr_workgroup_id_y 0
		.amdhsa_system_sgpr_workgroup_id_z 0
		.amdhsa_system_sgpr_workgroup_info 0
		.amdhsa_system_vgpr_workitem_id 0
		.amdhsa_next_free_vgpr 59
		.amdhsa_next_free_sgpr 39
		.amdhsa_reserve_vcc 1
		.amdhsa_reserve_flat_scratch 0
		.amdhsa_float_round_mode_32 0
		.amdhsa_float_round_mode_16_64 0
		.amdhsa_float_denorm_mode_32 3
		.amdhsa_float_denorm_mode_16_64 3
		.amdhsa_dx10_clamp 1
		.amdhsa_ieee_mode 1
		.amdhsa_fp16_overflow 0
		.amdhsa_exception_fp_ieee_invalid_op 0
		.amdhsa_exception_fp_denorm_src 0
		.amdhsa_exception_fp_ieee_div_zero 0
		.amdhsa_exception_fp_ieee_overflow 0
		.amdhsa_exception_fp_ieee_underflow 0
		.amdhsa_exception_fp_ieee_inexact 0
		.amdhsa_exception_int_div_zero 0
	.end_amdhsa_kernel
	.section	.text._ZN2at6native12_GLOBAL__N_125multi_tensor_apply_kernelINS1_28TensorListScalarListMetadataIN3c107complexIdEELi4EEENS1_28PointwiseOpScalarListFunctorIS6_Li4ELi3ELi3EEEJSt10multipliesIS6_EEEEvT_T0_DpT1_,"axG",@progbits,_ZN2at6native12_GLOBAL__N_125multi_tensor_apply_kernelINS1_28TensorListScalarListMetadataIN3c107complexIdEELi4EEENS1_28PointwiseOpScalarListFunctorIS6_Li4ELi3ELi3EEEJSt10multipliesIS6_EEEEvT_T0_DpT1_,comdat
.Lfunc_end95:
	.size	_ZN2at6native12_GLOBAL__N_125multi_tensor_apply_kernelINS1_28TensorListScalarListMetadataIN3c107complexIdEELi4EEENS1_28PointwiseOpScalarListFunctorIS6_Li4ELi3ELi3EEEJSt10multipliesIS6_EEEEvT_T0_DpT1_, .Lfunc_end95-_ZN2at6native12_GLOBAL__N_125multi_tensor_apply_kernelINS1_28TensorListScalarListMetadataIN3c107complexIdEELi4EEENS1_28PointwiseOpScalarListFunctorIS6_Li4ELi3ELi3EEEJSt10multipliesIS6_EEEEvT_T0_DpT1_
                                        ; -- End function
	.set _ZN2at6native12_GLOBAL__N_125multi_tensor_apply_kernelINS1_28TensorListScalarListMetadataIN3c107complexIdEELi4EEENS1_28PointwiseOpScalarListFunctorIS6_Li4ELi3ELi3EEEJSt10multipliesIS6_EEEEvT_T0_DpT1_.num_vgpr, 59
	.set _ZN2at6native12_GLOBAL__N_125multi_tensor_apply_kernelINS1_28TensorListScalarListMetadataIN3c107complexIdEELi4EEENS1_28PointwiseOpScalarListFunctorIS6_Li4ELi3ELi3EEEJSt10multipliesIS6_EEEEvT_T0_DpT1_.num_agpr, 0
	.set _ZN2at6native12_GLOBAL__N_125multi_tensor_apply_kernelINS1_28TensorListScalarListMetadataIN3c107complexIdEELi4EEENS1_28PointwiseOpScalarListFunctorIS6_Li4ELi3ELi3EEEJSt10multipliesIS6_EEEEvT_T0_DpT1_.numbered_sgpr, 39
	.set _ZN2at6native12_GLOBAL__N_125multi_tensor_apply_kernelINS1_28TensorListScalarListMetadataIN3c107complexIdEELi4EEENS1_28PointwiseOpScalarListFunctorIS6_Li4ELi3ELi3EEEJSt10multipliesIS6_EEEEvT_T0_DpT1_.num_named_barrier, 0
	.set _ZN2at6native12_GLOBAL__N_125multi_tensor_apply_kernelINS1_28TensorListScalarListMetadataIN3c107complexIdEELi4EEENS1_28PointwiseOpScalarListFunctorIS6_Li4ELi3ELi3EEEJSt10multipliesIS6_EEEEvT_T0_DpT1_.private_seg_size, 0
	.set _ZN2at6native12_GLOBAL__N_125multi_tensor_apply_kernelINS1_28TensorListScalarListMetadataIN3c107complexIdEELi4EEENS1_28PointwiseOpScalarListFunctorIS6_Li4ELi3ELi3EEEJSt10multipliesIS6_EEEEvT_T0_DpT1_.uses_vcc, 1
	.set _ZN2at6native12_GLOBAL__N_125multi_tensor_apply_kernelINS1_28TensorListScalarListMetadataIN3c107complexIdEELi4EEENS1_28PointwiseOpScalarListFunctorIS6_Li4ELi3ELi3EEEJSt10multipliesIS6_EEEEvT_T0_DpT1_.uses_flat_scratch, 0
	.set _ZN2at6native12_GLOBAL__N_125multi_tensor_apply_kernelINS1_28TensorListScalarListMetadataIN3c107complexIdEELi4EEENS1_28PointwiseOpScalarListFunctorIS6_Li4ELi3ELi3EEEJSt10multipliesIS6_EEEEvT_T0_DpT1_.has_dyn_sized_stack, 0
	.set _ZN2at6native12_GLOBAL__N_125multi_tensor_apply_kernelINS1_28TensorListScalarListMetadataIN3c107complexIdEELi4EEENS1_28PointwiseOpScalarListFunctorIS6_Li4ELi3ELi3EEEJSt10multipliesIS6_EEEEvT_T0_DpT1_.has_recursion, 0
	.set _ZN2at6native12_GLOBAL__N_125multi_tensor_apply_kernelINS1_28TensorListScalarListMetadataIN3c107complexIdEELi4EEENS1_28PointwiseOpScalarListFunctorIS6_Li4ELi3ELi3EEEJSt10multipliesIS6_EEEEvT_T0_DpT1_.has_indirect_call, 0
	.section	.AMDGPU.csdata,"",@progbits
; Kernel info:
; codeLenInByte = 2700
; TotalNumSgprs: 43
; NumVgprs: 59
; ScratchSize: 0
; MemoryBound: 1
; FloatMode: 240
; IeeeMode: 1
; LDSByteSize: 0 bytes/workgroup (compile time only)
; SGPRBlocks: 5
; VGPRBlocks: 14
; NumSGPRsForWavesPerEU: 43
; NumVGPRsForWavesPerEU: 59
; Occupancy: 4
; WaveLimiterHint : 0
; COMPUTE_PGM_RSRC2:SCRATCH_EN: 0
; COMPUTE_PGM_RSRC2:USER_SGPR: 6
; COMPUTE_PGM_RSRC2:TRAP_HANDLER: 0
; COMPUTE_PGM_RSRC2:TGID_X_EN: 1
; COMPUTE_PGM_RSRC2:TGID_Y_EN: 0
; COMPUTE_PGM_RSRC2:TGID_Z_EN: 0
; COMPUTE_PGM_RSRC2:TIDIG_COMP_CNT: 0
	.section	.text._ZN2at6native12_GLOBAL__N_125multi_tensor_apply_kernelINS1_28TensorListScalarListMetadataIN3c107complexIfEELi4EEENS1_28PointwiseOpScalarListFunctorIS6_Li4ELi3ELi3EEEJSt10multipliesIS6_EEEEvT_T0_DpT1_,"axG",@progbits,_ZN2at6native12_GLOBAL__N_125multi_tensor_apply_kernelINS1_28TensorListScalarListMetadataIN3c107complexIfEELi4EEENS1_28PointwiseOpScalarListFunctorIS6_Li4ELi3ELi3EEEJSt10multipliesIS6_EEEEvT_T0_DpT1_,comdat
	.globl	_ZN2at6native12_GLOBAL__N_125multi_tensor_apply_kernelINS1_28TensorListScalarListMetadataIN3c107complexIfEELi4EEENS1_28PointwiseOpScalarListFunctorIS6_Li4ELi3ELi3EEEJSt10multipliesIS6_EEEEvT_T0_DpT1_ ; -- Begin function _ZN2at6native12_GLOBAL__N_125multi_tensor_apply_kernelINS1_28TensorListScalarListMetadataIN3c107complexIfEELi4EEENS1_28PointwiseOpScalarListFunctorIS6_Li4ELi3ELi3EEEJSt10multipliesIS6_EEEEvT_T0_DpT1_
	.p2align	8
	.type	_ZN2at6native12_GLOBAL__N_125multi_tensor_apply_kernelINS1_28TensorListScalarListMetadataIN3c107complexIfEELi4EEENS1_28PointwiseOpScalarListFunctorIS6_Li4ELi3ELi3EEEJSt10multipliesIS6_EEEEvT_T0_DpT1_,@function
_ZN2at6native12_GLOBAL__N_125multi_tensor_apply_kernelINS1_28TensorListScalarListMetadataIN3c107complexIfEELi4EEENS1_28PointwiseOpScalarListFunctorIS6_Li4ELi3ELi3EEEJSt10multipliesIS6_EEEEvT_T0_DpT1_: ; @_ZN2at6native12_GLOBAL__N_125multi_tensor_apply_kernelINS1_28TensorListScalarListMetadataIN3c107complexIfEELi4EEENS1_28PointwiseOpScalarListFunctorIS6_Li4ELi3ELi3EEEJSt10multipliesIS6_EEEEvT_T0_DpT1_
; %bb.0:
	v_mov_b32_e32 v1, s6
	global_load_ubyte v1, v1, s[4:5] offset:1728
	s_add_u32 s0, s4, s6
	s_mul_hi_u32 s2, s6, 3
	s_mul_i32 s6, s6, 3
	s_addc_u32 s7, s5, 0
	s_add_u32 s6, s0, s6
	s_addc_u32 s7, s7, s2
	s_load_dword s6, s[6:7], 0x800
	s_mov_b32 s1, 0
	s_mov_b32 s3, s1
	s_waitcnt lgkmcnt(0)
	s_ashr_i32 s7, s6, 31
	s_lshl_b64 s[20:21], s[6:7], 19
	s_waitcnt vmcnt(0)
	v_readfirstlane_b32 s0, v1
	s_lshl_b32 s0, s0, 3
	s_load_dwordx2 s[8:9], s[4:5], s0 offset:0x480
	s_load_dwordx2 s[12:13], s[4:5], s0 offset:0x5a0
	;; [unrolled: 1-line block ×6, first 2 shown]
	s_waitcnt lgkmcnt(0)
	s_add_u32 s24, s10, s20
	s_addc_u32 s25, s11, s21
	s_add_u32 s26, s14, s20
	s_addc_u32 s27, s15, s21
	s_and_b32 s0, s26, 31
	s_add_u32 s28, s16, s20
	s_addc_u32 s29, s17, s21
	s_add_u32 s30, s18, s20
	s_addc_u32 s31, s19, s21
	s_or_b32 s2, s30, s28
	s_and_b32 s2, s2, 31
	s_cmp_eq_u32 s2, 0
	s_cselect_b64 s[10:11], -1, 0
	s_and_b32 s2, s24, 31
	s_cmp_eq_u64 s[0:1], 0
	s_cselect_b64 s[14:15], -1, 0
	s_lshl_b64 s[6:7], s[6:7], 16
	s_and_b64 s[10:11], s[10:11], s[14:15]
	s_sub_u32 s14, s8, s6
	s_subb_u32 s15, s9, s7
	s_and_b32 s0, s8, 3
	s_or_b64 s[0:1], s[2:3], s[0:1]
	s_cmp_eq_u64 s[0:1], 0
	s_cselect_b64 s[0:1], -1, 0
	s_and_b64 s[2:3], s[10:11], s[0:1]
	s_mov_b64 s[0:1], -1
	s_and_b64 vcc, exec, s[2:3]
	s_cbranch_vccnz .LBB96_29
; %bb.1:
	v_cmp_lt_i64_e64 s[0:1], s[14:15], 1
	s_and_b64 vcc, exec, s[0:1]
	s_cbranch_vccnz .LBB96_28
; %bb.2:
	v_mov_b32_e32 v1, 0x10000
	s_load_dword s2, s[4:5], 0xd14
	v_mov_b32_e32 v2, 0
	v_cmp_lt_i64_e32 vcc, s[14:15], v[1:2]
	s_mov_b64 s[20:21], 0
	s_and_b64 s[0:1], vcc, exec
	v_cmp_lt_u64_e32 vcc, s[14:15], v[1:2]
	s_cselect_b32 s17, s15, 0
	s_cselect_b32 s16, s14, 0x10000
	s_waitcnt lgkmcnt(0)
	s_and_b32 s33, s2, 0xffff
	s_and_b64 s[0:1], vcc, exec
	s_cselect_b32 s19, s15, 0
	s_cselect_b32 s18, s14, 0x10000
	s_lshl_b32 s34, s33, 1
	s_and_b32 s2, s13, 0x7fffffff
	s_cmp_eq_u32 s2, 0
	v_cmp_eq_f32_e64 s[0:1], s12, 1.0
	s_cselect_b64 s[2:3], -1, 0
	s_mul_i32 s35, s33, 3
	s_and_b64 s[0:1], s[0:1], s[2:3]
	s_lshl_b32 s36, s33, 2
	s_branch .LBB96_4
.LBB96_3:                               ;   in Loop: Header=BB96_4 Depth=1
	s_or_b64 exec, exec, s[2:3]
	s_add_u32 s20, s20, s36
	v_mov_b32_e32 v1, s16
	s_addc_u32 s21, s21, 0
	v_mov_b32_e32 v2, s17
	v_cmp_lt_i64_e32 vcc, s[20:21], v[1:2]
	s_cbranch_vccz .LBB96_28
.LBB96_4:                               ; =>This Inner Loop Header: Depth=1
	v_mov_b32_e32 v2, s21
	v_add_co_u32_e32 v1, vcc, s20, v0
	v_addc_co_u32_e32 v2, vcc, 0, v2, vcc
	v_cmp_gt_u64_e32 vcc, s[18:19], v[1:2]
	s_waitcnt vmcnt(0)
	v_mov_b32_e32 v6, 0
	v_mov_b32_e32 v5, 0
	;; [unrolled: 1-line block ×4, first 2 shown]
	s_and_saveexec_b64 s[6:7], vcc
	s_cbranch_execz .LBB96_6
; %bb.5:                                ;   in Loop: Header=BB96_4 Depth=1
	v_lshlrev_b64 v[5:6], 3, v[1:2]
	v_mov_b32_e32 v4, s25
	v_add_co_u32_e64 v3, s[2:3], s24, v5
	v_addc_co_u32_e64 v4, s[2:3], v4, v6, s[2:3]
	v_mov_b32_e32 v7, s27
	v_add_co_u32_e64 v5, s[2:3], s26, v5
	v_addc_co_u32_e64 v6, s[2:3], v7, v6, s[2:3]
	global_load_dwordx2 v[3:4], v[3:4], off
	s_nop 0
	global_load_dwordx2 v[5:6], v[5:6], off
.LBB96_6:                               ;   in Loop: Header=BB96_4 Depth=1
	s_or_b64 exec, exec, s[6:7]
	v_mov_b32_e32 v10, 0
	v_mov_b32_e32 v14, 0
	;; [unrolled: 1-line block ×3, first 2 shown]
	s_and_saveexec_b64 s[6:7], vcc
	s_cbranch_execz .LBB96_8
; %bb.7:                                ;   in Loop: Header=BB96_4 Depth=1
	v_lshlrev_b64 v[7:8], 3, v[1:2]
	v_mov_b32_e32 v9, s29
	v_add_co_u32_e64 v7, s[2:3], s28, v7
	v_addc_co_u32_e64 v8, s[2:3], v9, v8, s[2:3]
	global_load_dwordx2 v[13:14], v[7:8], off
.LBB96_8:                               ;   in Loop: Header=BB96_4 Depth=1
	s_or_b64 exec, exec, s[6:7]
	v_add_co_u32_e64 v7, s[2:3], s33, v1
	v_addc_co_u32_e64 v8, s[2:3], 0, v2, s[2:3]
	v_cmp_gt_u64_e64 s[2:3], s[18:19], v[7:8]
	v_mov_b32_e32 v9, 0
	v_mov_b32_e32 v12, 0
	;; [unrolled: 1-line block ×3, first 2 shown]
	s_and_saveexec_b64 s[8:9], s[2:3]
	s_cbranch_execz .LBB96_10
; %bb.9:                                ;   in Loop: Header=BB96_4 Depth=1
	v_lshlrev_b64 v[9:10], 3, v[7:8]
	v_mov_b32_e32 v12, s25
	v_add_co_u32_e64 v11, s[6:7], s24, v9
	v_addc_co_u32_e64 v12, s[6:7], v12, v10, s[6:7]
	v_mov_b32_e32 v15, s27
	v_add_co_u32_e64 v9, s[6:7], s26, v9
	v_addc_co_u32_e64 v10, s[6:7], v15, v10, s[6:7]
	global_load_dwordx2 v[11:12], v[11:12], off
	s_nop 0
	global_load_dwordx2 v[9:10], v[9:10], off
.LBB96_10:                              ;   in Loop: Header=BB96_4 Depth=1
	s_or_b64 exec, exec, s[8:9]
	v_mov_b32_e32 v18, 0
	v_mov_b32_e32 v22, 0
	;; [unrolled: 1-line block ×3, first 2 shown]
	s_and_saveexec_b64 s[8:9], s[2:3]
	s_cbranch_execz .LBB96_12
; %bb.11:                               ;   in Loop: Header=BB96_4 Depth=1
	v_lshlrev_b64 v[15:16], 3, v[7:8]
	v_mov_b32_e32 v17, s29
	v_add_co_u32_e64 v15, s[6:7], s28, v15
	v_addc_co_u32_e64 v16, s[6:7], v17, v16, s[6:7]
	global_load_dwordx2 v[21:22], v[15:16], off
.LBB96_12:                              ;   in Loop: Header=BB96_4 Depth=1
	s_or_b64 exec, exec, s[8:9]
	v_add_co_u32_e64 v15, s[6:7], s34, v1
	v_addc_co_u32_e64 v16, s[6:7], 0, v2, s[6:7]
	v_cmp_gt_u64_e64 s[6:7], s[18:19], v[15:16]
	v_mov_b32_e32 v17, 0
	v_mov_b32_e32 v20, 0
	;; [unrolled: 1-line block ×3, first 2 shown]
	s_and_saveexec_b64 s[10:11], s[6:7]
	s_cbranch_execz .LBB96_14
; %bb.13:                               ;   in Loop: Header=BB96_4 Depth=1
	v_lshlrev_b64 v[17:18], 3, v[15:16]
	v_mov_b32_e32 v20, s25
	v_add_co_u32_e64 v19, s[8:9], s24, v17
	v_addc_co_u32_e64 v20, s[8:9], v20, v18, s[8:9]
	v_mov_b32_e32 v23, s27
	v_add_co_u32_e64 v17, s[8:9], s26, v17
	v_addc_co_u32_e64 v18, s[8:9], v23, v18, s[8:9]
	global_load_dwordx2 v[19:20], v[19:20], off
	s_nop 0
	global_load_dwordx2 v[17:18], v[17:18], off
.LBB96_14:                              ;   in Loop: Header=BB96_4 Depth=1
	s_or_b64 exec, exec, s[10:11]
	v_mov_b32_e32 v26, 0
	v_mov_b32_e32 v30, 0
	;; [unrolled: 1-line block ×3, first 2 shown]
	s_and_saveexec_b64 s[10:11], s[6:7]
	s_cbranch_execz .LBB96_16
; %bb.15:                               ;   in Loop: Header=BB96_4 Depth=1
	v_lshlrev_b64 v[23:24], 3, v[15:16]
	v_mov_b32_e32 v25, s29
	v_add_co_u32_e64 v23, s[8:9], s28, v23
	v_addc_co_u32_e64 v24, s[8:9], v25, v24, s[8:9]
	global_load_dwordx2 v[29:30], v[23:24], off
.LBB96_16:                              ;   in Loop: Header=BB96_4 Depth=1
	s_or_b64 exec, exec, s[10:11]
	v_add_co_u32_e64 v23, s[8:9], s35, v1
	v_addc_co_u32_e64 v24, s[8:9], 0, v2, s[8:9]
	v_cmp_gt_u64_e64 s[8:9], s[18:19], v[23:24]
	v_mov_b32_e32 v25, 0
	v_mov_b32_e32 v28, 0
	;; [unrolled: 1-line block ×3, first 2 shown]
	s_and_saveexec_b64 s[22:23], s[8:9]
	s_cbranch_execz .LBB96_18
; %bb.17:                               ;   in Loop: Header=BB96_4 Depth=1
	v_lshlrev_b64 v[25:26], 3, v[23:24]
	v_mov_b32_e32 v28, s25
	v_add_co_u32_e64 v27, s[10:11], s24, v25
	v_addc_co_u32_e64 v28, s[10:11], v28, v26, s[10:11]
	v_mov_b32_e32 v31, s27
	v_add_co_u32_e64 v25, s[10:11], s26, v25
	v_addc_co_u32_e64 v26, s[10:11], v31, v26, s[10:11]
	global_load_dwordx2 v[27:28], v[27:28], off
	s_nop 0
	global_load_dwordx2 v[25:26], v[25:26], off
.LBB96_18:                              ;   in Loop: Header=BB96_4 Depth=1
	s_or_b64 exec, exec, s[22:23]
	v_mov_b32_e32 v32, 0
	v_mov_b32_e32 v31, 0
	s_and_saveexec_b64 s[22:23], s[8:9]
	s_cbranch_execnz .LBB96_23
; %bb.19:                               ;   in Loop: Header=BB96_4 Depth=1
	s_or_b64 exec, exec, s[22:23]
	s_and_saveexec_b64 s[10:11], vcc
	s_cbranch_execnz .LBB96_24
.LBB96_20:                              ;   in Loop: Header=BB96_4 Depth=1
	s_or_b64 exec, exec, s[10:11]
	s_and_saveexec_b64 s[10:11], s[2:3]
	s_cbranch_execnz .LBB96_25
.LBB96_21:                              ;   in Loop: Header=BB96_4 Depth=1
	s_or_b64 exec, exec, s[10:11]
	s_and_saveexec_b64 s[2:3], s[6:7]
	s_cbranch_execnz .LBB96_26
.LBB96_22:                              ;   in Loop: Header=BB96_4 Depth=1
	s_or_b64 exec, exec, s[2:3]
	s_and_saveexec_b64 s[2:3], s[8:9]
	s_cbranch_execz .LBB96_3
	s_branch .LBB96_27
.LBB96_23:                              ;   in Loop: Header=BB96_4 Depth=1
	v_lshlrev_b64 v[31:32], 3, v[23:24]
	v_mov_b32_e32 v33, s29
	v_add_co_u32_e64 v31, s[10:11], s28, v31
	v_addc_co_u32_e64 v32, s[10:11], v33, v32, s[10:11]
	global_load_dwordx2 v[31:32], v[31:32], off
	s_or_b64 exec, exec, s[22:23]
	s_and_saveexec_b64 s[10:11], vcc
	s_cbranch_execz .LBB96_20
.LBB96_24:                              ;   in Loop: Header=BB96_4 Depth=1
	s_waitcnt vmcnt(0)
	v_mul_f32_e32 v33, v6, v13
	v_mul_f32_e32 v6, v6, v14
	v_fmac_f32_e32 v33, v5, v14
	v_fma_f32 v5, v5, v13, -v6
	v_mul_f32_e32 v6, s13, v5
	v_fmac_f32_e32 v6, s12, v33
	v_cndmask_b32_e64 v6, v6, v33, s[0:1]
	v_add_f32_e32 v4, v4, v6
	v_mul_f32_e32 v6, s13, v33
	v_fma_f32 v6, v5, s12, -v6
	v_lshlrev_b64 v[1:2], 3, v[1:2]
	v_cndmask_b32_e64 v5, v6, v5, s[0:1]
	v_add_f32_e32 v3, v3, v5
	v_mov_b32_e32 v5, s31
	v_add_co_u32_e32 v1, vcc, s30, v1
	v_addc_co_u32_e32 v2, vcc, v5, v2, vcc
	global_store_dwordx2 v[1:2], v[3:4], off
	s_or_b64 exec, exec, s[10:11]
	s_and_saveexec_b64 s[10:11], s[2:3]
	s_cbranch_execz .LBB96_21
.LBB96_25:                              ;   in Loop: Header=BB96_4 Depth=1
	s_waitcnt vmcnt(0)
	v_mul_f32_e32 v1, v10, v22
	v_mul_f32_e32 v2, v10, v21
	v_fma_f32 v1, v9, v21, -v1
	v_fmac_f32_e32 v2, v9, v22
	v_mul_f32_e32 v3, s13, v2
	v_mul_f32_e32 v4, s13, v1
	v_fma_f32 v3, v1, s12, -v3
	v_fmac_f32_e32 v4, s12, v2
	v_cndmask_b32_e64 v1, v3, v1, s[0:1]
	v_cndmask_b32_e64 v2, v4, v2, s[0:1]
	v_lshlrev_b64 v[3:4], 3, v[7:8]
	v_mov_b32_e32 v5, s31
	v_add_co_u32_e32 v3, vcc, s30, v3
	v_add_f32_e32 v1, v11, v1
	v_add_f32_e32 v2, v12, v2
	v_addc_co_u32_e32 v4, vcc, v5, v4, vcc
	global_store_dwordx2 v[3:4], v[1:2], off
	s_or_b64 exec, exec, s[10:11]
	s_and_saveexec_b64 s[2:3], s[6:7]
	s_cbranch_execz .LBB96_22
.LBB96_26:                              ;   in Loop: Header=BB96_4 Depth=1
	s_waitcnt vmcnt(0)
	v_mul_f32_e32 v1, v18, v30
	v_mul_f32_e32 v2, v18, v29
	v_fma_f32 v1, v17, v29, -v1
	v_fmac_f32_e32 v2, v17, v30
	v_mul_f32_e32 v3, s13, v2
	v_mul_f32_e32 v4, s13, v1
	v_fma_f32 v3, v1, s12, -v3
	v_fmac_f32_e32 v4, s12, v2
	v_cndmask_b32_e64 v1, v3, v1, s[0:1]
	v_cndmask_b32_e64 v2, v4, v2, s[0:1]
	v_lshlrev_b64 v[3:4], 3, v[15:16]
	v_mov_b32_e32 v5, s31
	v_add_co_u32_e32 v3, vcc, s30, v3
	v_add_f32_e32 v1, v19, v1
	v_add_f32_e32 v2, v20, v2
	v_addc_co_u32_e32 v4, vcc, v5, v4, vcc
	global_store_dwordx2 v[3:4], v[1:2], off
	s_or_b64 exec, exec, s[2:3]
	s_and_saveexec_b64 s[2:3], s[8:9]
	s_cbranch_execz .LBB96_3
.LBB96_27:                              ;   in Loop: Header=BB96_4 Depth=1
	s_waitcnt vmcnt(0)
	v_mul_f32_e32 v1, v26, v32
	v_mul_f32_e32 v2, v26, v31
	v_fma_f32 v1, v25, v31, -v1
	v_fmac_f32_e32 v2, v25, v32
	v_mul_f32_e32 v3, s13, v2
	v_mul_f32_e32 v4, s13, v1
	v_fma_f32 v3, v1, s12, -v3
	v_fmac_f32_e32 v4, s12, v2
	v_cndmask_b32_e64 v1, v3, v1, s[0:1]
	v_cndmask_b32_e64 v2, v4, v2, s[0:1]
	v_lshlrev_b64 v[3:4], 3, v[23:24]
	v_mov_b32_e32 v5, s31
	v_add_co_u32_e32 v3, vcc, s30, v3
	v_add_f32_e32 v1, v27, v1
	v_add_f32_e32 v2, v28, v2
	v_addc_co_u32_e32 v4, vcc, v5, v4, vcc
	global_store_dwordx2 v[3:4], v[1:2], off
	s_branch .LBB96_3
.LBB96_28:
	s_mov_b64 s[0:1], 0
.LBB96_29:
	s_andn2_b64 vcc, exec, s[0:1]
	s_cbranch_vccnz .LBB96_33
; %bb.30:
	v_mov_b32_e32 v1, 0x10000
	v_mov_b32_e32 v2, 0
	v_cmp_lt_i64_e32 vcc, s[14:15], v[1:2]
	v_mov_b32_e32 v2, 0
	s_and_b64 s[0:1], vcc, exec
	s_cselect_b32 s7, s15, 0
	s_cselect_b32 s6, s14, 0x10000
	v_lshlrev_b32_e32 v1, 2, v0
	v_cmp_gt_i64_e32 vcc, s[6:7], v[1:2]
	s_and_saveexec_b64 s[0:1], vcc
	s_cbranch_execz .LBB96_33
; %bb.31:
	s_load_dword s4, s[4:5], 0xd14
	s_and_b32 s2, s13, 0x7fffffff
	s_cmp_eq_u32 s2, 0
	v_cmp_eq_f32_e64 s[0:1], s12, 1.0
	s_cselect_b64 s[2:3], -1, 0
	s_waitcnt lgkmcnt(0)
	s_and_b32 s10, s4, 0xffff
	v_mov_b32_e32 v1, v2
	s_and_b64 vcc, s[0:1], s[2:3]
	v_lshlrev_b32_e32 v2, 5, v0
	s_lshl_b32 s11, s10, 5
	s_mov_b64 s[8:9], 0
.LBB96_32:                              ; =>This Inner Loop Header: Depth=1
	s_waitcnt vmcnt(0)
	v_mov_b32_e32 v5, s29
	v_add_co_u32_e64 v27, s[0:1], s28, v2
	v_mov_b32_e32 v3, s25
	v_mov_b32_e32 v4, s27
	v_add_co_u32_e64 v29, s[2:3], s24, v2
	v_add_co_u32_e64 v31, s[4:5], s26, v2
	v_addc_co_u32_e64 v28, s[0:1], 0, v5, s[0:1]
	v_addc_co_u32_e64 v32, s[4:5], 0, v4, s[4:5]
	;; [unrolled: 1-line block ×3, first 2 shown]
	global_load_dwordx4 v[3:6], v[27:28], off
	global_load_dwordx4 v[7:10], v[31:32], off
	global_load_dwordx4 v[11:14], v[31:32], off offset:16
	global_load_dwordx4 v[15:18], v[27:28], off offset:16
	global_load_dwordx4 v[19:22], v[29:30], off
	global_load_dwordx4 v[23:26], v[29:30], off offset:16
	v_add_co_u32_e64 v0, s[2:3], s10, v0
	v_mov_b32_e32 v28, s31
	v_addc_co_u32_e64 v1, s[2:3], 0, v1, s[2:3]
	s_waitcnt vmcnt(4)
	v_mul_f32_e32 v27, v8, v4
	v_mul_f32_e32 v29, v7, v4
	v_fma_f32 v7, v7, v3, -v27
	v_add_co_u32_e64 v27, s[0:1], s30, v2
	s_add_u32 s30, s30, s11
	v_mul_f32_e32 v4, v10, v6
	s_addc_u32 s31, s31, 0
	v_fmac_f32_e32 v29, v8, v3
	v_fma_f32 v8, v9, v5, -v4
	v_lshlrev_b64 v[3:4], 2, v[0:1]
	s_add_u32 s24, s24, s11
	v_mul_f32_e32 v6, v9, v6
	v_addc_co_u32_e64 v28, s[0:1], 0, v28, s[0:1]
	s_addc_u32 s25, s25, 0
	v_fmac_f32_e32 v6, v10, v5
	v_cmp_le_i64_e64 s[0:1], s[6:7], v[3:4]
	s_add_u32 s28, s28, s11
	s_waitcnt vmcnt(2)
	v_mul_f32_e32 v3, v12, v16
	v_mul_f32_e32 v4, v11, v16
	;; [unrolled: 1-line block ×4, first 2 shown]
	s_addc_u32 s29, s29, 0
	v_fma_f32 v3, v11, v15, -v3
	v_fmac_f32_e32 v4, v12, v15
	v_fma_f32 v5, v13, v17, -v5
	v_fmac_f32_e32 v9, v14, v17
	v_mul_f32_e32 v10, s13, v29
	v_mul_f32_e32 v11, s13, v7
	;; [unrolled: 1-line block ×4, first 2 shown]
	s_add_u32 s26, s26, s11
	v_mul_f32_e32 v14, s13, v4
	v_mul_f32_e32 v15, s13, v3
	;; [unrolled: 1-line block ×4, first 2 shown]
	v_fma_f32 v10, v7, s12, -v10
	v_fmac_f32_e32 v11, s12, v29
	v_fma_f32 v12, v8, s12, -v12
	v_fmac_f32_e32 v13, s12, v6
	s_addc_u32 s27, s27, 0
	v_fma_f32 v14, v3, s12, -v14
	v_fmac_f32_e32 v15, s12, v4
	v_fma_f32 v16, v5, s12, -v16
	v_fmac_f32_e32 v17, s12, v9
	v_cndmask_b32_e32 v7, v10, v7, vcc
	v_cndmask_b32_e32 v10, v11, v29, vcc
	;; [unrolled: 1-line block ×4, first 2 shown]
	s_or_b64 s[8:9], s[0:1], s[8:9]
	v_cndmask_b32_e32 v11, v14, v3, vcc
	v_cndmask_b32_e32 v12, v15, v4, vcc
	v_cndmask_b32_e32 v13, v16, v5, vcc
	v_cndmask_b32_e32 v14, v17, v9, vcc
	s_waitcnt vmcnt(1)
	v_add_f32_e32 v3, v19, v7
	v_add_f32_e32 v4, v20, v10
	;; [unrolled: 1-line block ×4, first 2 shown]
	s_waitcnt vmcnt(0)
	v_add_f32_e32 v7, v23, v11
	v_add_f32_e32 v8, v24, v12
	;; [unrolled: 1-line block ×4, first 2 shown]
	global_store_dwordx4 v[27:28], v[3:6], off
	global_store_dwordx4 v[27:28], v[7:10], off offset:16
	s_andn2_b64 exec, exec, s[8:9]
	s_cbranch_execnz .LBB96_32
.LBB96_33:
	s_endpgm
	.section	.rodata,"a",@progbits
	.p2align	6, 0x0
	.amdhsa_kernel _ZN2at6native12_GLOBAL__N_125multi_tensor_apply_kernelINS1_28TensorListScalarListMetadataIN3c107complexIfEELi4EEENS1_28PointwiseOpScalarListFunctorIS6_Li4ELi3ELi3EEEJSt10multipliesIS6_EEEEvT_T0_DpT1_
		.amdhsa_group_segment_fixed_size 0
		.amdhsa_private_segment_fixed_size 0
		.amdhsa_kernarg_size 3592
		.amdhsa_user_sgpr_count 6
		.amdhsa_user_sgpr_private_segment_buffer 1
		.amdhsa_user_sgpr_dispatch_ptr 0
		.amdhsa_user_sgpr_queue_ptr 0
		.amdhsa_user_sgpr_kernarg_segment_ptr 1
		.amdhsa_user_sgpr_dispatch_id 0
		.amdhsa_user_sgpr_flat_scratch_init 0
		.amdhsa_user_sgpr_private_segment_size 0
		.amdhsa_uses_dynamic_stack 0
		.amdhsa_system_sgpr_private_segment_wavefront_offset 0
		.amdhsa_system_sgpr_workgroup_id_x 1
		.amdhsa_system_sgpr_workgroup_id_y 0
		.amdhsa_system_sgpr_workgroup_id_z 0
		.amdhsa_system_sgpr_workgroup_info 0
		.amdhsa_system_vgpr_workitem_id 0
		.amdhsa_next_free_vgpr 34
		.amdhsa_next_free_sgpr 37
		.amdhsa_reserve_vcc 1
		.amdhsa_reserve_flat_scratch 0
		.amdhsa_float_round_mode_32 0
		.amdhsa_float_round_mode_16_64 0
		.amdhsa_float_denorm_mode_32 3
		.amdhsa_float_denorm_mode_16_64 3
		.amdhsa_dx10_clamp 1
		.amdhsa_ieee_mode 1
		.amdhsa_fp16_overflow 0
		.amdhsa_exception_fp_ieee_invalid_op 0
		.amdhsa_exception_fp_denorm_src 0
		.amdhsa_exception_fp_ieee_div_zero 0
		.amdhsa_exception_fp_ieee_overflow 0
		.amdhsa_exception_fp_ieee_underflow 0
		.amdhsa_exception_fp_ieee_inexact 0
		.amdhsa_exception_int_div_zero 0
	.end_amdhsa_kernel
	.section	.text._ZN2at6native12_GLOBAL__N_125multi_tensor_apply_kernelINS1_28TensorListScalarListMetadataIN3c107complexIfEELi4EEENS1_28PointwiseOpScalarListFunctorIS6_Li4ELi3ELi3EEEJSt10multipliesIS6_EEEEvT_T0_DpT1_,"axG",@progbits,_ZN2at6native12_GLOBAL__N_125multi_tensor_apply_kernelINS1_28TensorListScalarListMetadataIN3c107complexIfEELi4EEENS1_28PointwiseOpScalarListFunctorIS6_Li4ELi3ELi3EEEJSt10multipliesIS6_EEEEvT_T0_DpT1_,comdat
.Lfunc_end96:
	.size	_ZN2at6native12_GLOBAL__N_125multi_tensor_apply_kernelINS1_28TensorListScalarListMetadataIN3c107complexIfEELi4EEENS1_28PointwiseOpScalarListFunctorIS6_Li4ELi3ELi3EEEJSt10multipliesIS6_EEEEvT_T0_DpT1_, .Lfunc_end96-_ZN2at6native12_GLOBAL__N_125multi_tensor_apply_kernelINS1_28TensorListScalarListMetadataIN3c107complexIfEELi4EEENS1_28PointwiseOpScalarListFunctorIS6_Li4ELi3ELi3EEEJSt10multipliesIS6_EEEEvT_T0_DpT1_
                                        ; -- End function
	.set _ZN2at6native12_GLOBAL__N_125multi_tensor_apply_kernelINS1_28TensorListScalarListMetadataIN3c107complexIfEELi4EEENS1_28PointwiseOpScalarListFunctorIS6_Li4ELi3ELi3EEEJSt10multipliesIS6_EEEEvT_T0_DpT1_.num_vgpr, 34
	.set _ZN2at6native12_GLOBAL__N_125multi_tensor_apply_kernelINS1_28TensorListScalarListMetadataIN3c107complexIfEELi4EEENS1_28PointwiseOpScalarListFunctorIS6_Li4ELi3ELi3EEEJSt10multipliesIS6_EEEEvT_T0_DpT1_.num_agpr, 0
	.set _ZN2at6native12_GLOBAL__N_125multi_tensor_apply_kernelINS1_28TensorListScalarListMetadataIN3c107complexIfEELi4EEENS1_28PointwiseOpScalarListFunctorIS6_Li4ELi3ELi3EEEJSt10multipliesIS6_EEEEvT_T0_DpT1_.numbered_sgpr, 37
	.set _ZN2at6native12_GLOBAL__N_125multi_tensor_apply_kernelINS1_28TensorListScalarListMetadataIN3c107complexIfEELi4EEENS1_28PointwiseOpScalarListFunctorIS6_Li4ELi3ELi3EEEJSt10multipliesIS6_EEEEvT_T0_DpT1_.num_named_barrier, 0
	.set _ZN2at6native12_GLOBAL__N_125multi_tensor_apply_kernelINS1_28TensorListScalarListMetadataIN3c107complexIfEELi4EEENS1_28PointwiseOpScalarListFunctorIS6_Li4ELi3ELi3EEEJSt10multipliesIS6_EEEEvT_T0_DpT1_.private_seg_size, 0
	.set _ZN2at6native12_GLOBAL__N_125multi_tensor_apply_kernelINS1_28TensorListScalarListMetadataIN3c107complexIfEELi4EEENS1_28PointwiseOpScalarListFunctorIS6_Li4ELi3ELi3EEEJSt10multipliesIS6_EEEEvT_T0_DpT1_.uses_vcc, 1
	.set _ZN2at6native12_GLOBAL__N_125multi_tensor_apply_kernelINS1_28TensorListScalarListMetadataIN3c107complexIfEELi4EEENS1_28PointwiseOpScalarListFunctorIS6_Li4ELi3ELi3EEEJSt10multipliesIS6_EEEEvT_T0_DpT1_.uses_flat_scratch, 0
	.set _ZN2at6native12_GLOBAL__N_125multi_tensor_apply_kernelINS1_28TensorListScalarListMetadataIN3c107complexIfEELi4EEENS1_28PointwiseOpScalarListFunctorIS6_Li4ELi3ELi3EEEJSt10multipliesIS6_EEEEvT_T0_DpT1_.has_dyn_sized_stack, 0
	.set _ZN2at6native12_GLOBAL__N_125multi_tensor_apply_kernelINS1_28TensorListScalarListMetadataIN3c107complexIfEELi4EEENS1_28PointwiseOpScalarListFunctorIS6_Li4ELi3ELi3EEEJSt10multipliesIS6_EEEEvT_T0_DpT1_.has_recursion, 0
	.set _ZN2at6native12_GLOBAL__N_125multi_tensor_apply_kernelINS1_28TensorListScalarListMetadataIN3c107complexIfEELi4EEENS1_28PointwiseOpScalarListFunctorIS6_Li4ELi3ELi3EEEJSt10multipliesIS6_EEEEvT_T0_DpT1_.has_indirect_call, 0
	.section	.AMDGPU.csdata,"",@progbits
; Kernel info:
; codeLenInByte = 2184
; TotalNumSgprs: 41
; NumVgprs: 34
; ScratchSize: 0
; MemoryBound: 0
; FloatMode: 240
; IeeeMode: 1
; LDSByteSize: 0 bytes/workgroup (compile time only)
; SGPRBlocks: 5
; VGPRBlocks: 8
; NumSGPRsForWavesPerEU: 41
; NumVGPRsForWavesPerEU: 34
; Occupancy: 7
; WaveLimiterHint : 1
; COMPUTE_PGM_RSRC2:SCRATCH_EN: 0
; COMPUTE_PGM_RSRC2:USER_SGPR: 6
; COMPUTE_PGM_RSRC2:TRAP_HANDLER: 0
; COMPUTE_PGM_RSRC2:TGID_X_EN: 1
; COMPUTE_PGM_RSRC2:TGID_Y_EN: 0
; COMPUTE_PGM_RSRC2:TGID_Z_EN: 0
; COMPUTE_PGM_RSRC2:TIDIG_COMP_CNT: 0
	.section	.text._ZN2at6native12_GLOBAL__N_125multi_tensor_apply_kernelINS1_28TensorListScalarListMetadataIfLi4EEENS1_28PointwiseOpScalarListFunctorIN3c104HalfELi4ELi3ELi3EEEJSt10multipliesIfEEEEvT_T0_DpT1_,"axG",@progbits,_ZN2at6native12_GLOBAL__N_125multi_tensor_apply_kernelINS1_28TensorListScalarListMetadataIfLi4EEENS1_28PointwiseOpScalarListFunctorIN3c104HalfELi4ELi3ELi3EEEJSt10multipliesIfEEEEvT_T0_DpT1_,comdat
	.globl	_ZN2at6native12_GLOBAL__N_125multi_tensor_apply_kernelINS1_28TensorListScalarListMetadataIfLi4EEENS1_28PointwiseOpScalarListFunctorIN3c104HalfELi4ELi3ELi3EEEJSt10multipliesIfEEEEvT_T0_DpT1_ ; -- Begin function _ZN2at6native12_GLOBAL__N_125multi_tensor_apply_kernelINS1_28TensorListScalarListMetadataIfLi4EEENS1_28PointwiseOpScalarListFunctorIN3c104HalfELi4ELi3ELi3EEEJSt10multipliesIfEEEEvT_T0_DpT1_
	.p2align	8
	.type	_ZN2at6native12_GLOBAL__N_125multi_tensor_apply_kernelINS1_28TensorListScalarListMetadataIfLi4EEENS1_28PointwiseOpScalarListFunctorIN3c104HalfELi4ELi3ELi3EEEJSt10multipliesIfEEEEvT_T0_DpT1_,@function
_ZN2at6native12_GLOBAL__N_125multi_tensor_apply_kernelINS1_28TensorListScalarListMetadataIfLi4EEENS1_28PointwiseOpScalarListFunctorIN3c104HalfELi4ELi3ELi3EEEJSt10multipliesIfEEEEvT_T0_DpT1_: ; @_ZN2at6native12_GLOBAL__N_125multi_tensor_apply_kernelINS1_28TensorListScalarListMetadataIfLi4EEENS1_28PointwiseOpScalarListFunctorIN3c104HalfELi4ELi3ELi3EEEJSt10multipliesIfEEEEvT_T0_DpT1_
; %bb.0:
	v_mov_b32_e32 v1, s6
	global_load_ubyte v1, v1, s[4:5] offset:1584
	s_add_u32 s0, s4, s6
	s_mul_i32 s1, s6, 3
	s_addc_u32 s2, s5, 0
	s_mul_hi_u32 s3, s6, 3
	s_add_u32 s0, s0, s1
	s_addc_u32 s1, s2, s3
	s_load_dword s0, s[0:1], 0x770
	s_mov_b32 s3, 0
	s_mov_b32 s7, s3
	;; [unrolled: 1-line block ×3, first 2 shown]
	s_waitcnt vmcnt(0)
	v_readfirstlane_b32 s1, v1
	v_lshlrev_b32_e32 v1, 2, v1
	v_sub_co_u32_e32 v1, vcc, 0, v1
	s_lshl_b32 s2, s1, 3
	v_subb_co_u32_e64 v2, s[10:11], 0, 0, vcc
	s_load_dwordx2 s[10:11], s[4:5], s2 offset:0x480
	s_waitcnt lgkmcnt(0)
	s_ashr_i32 s1, s0, 31
	s_load_dwordx2 s[12:13], s[4:5], s2 offset:0x0
	s_load_dwordx2 s[14:15], s[4:5], s2 offset:0x120
	;; [unrolled: 1-line block ×4, first 2 shown]
	s_add_u32 s2, s4, s2
	s_addc_u32 s6, s5, 0
	s_lshl_b64 s[20:21], s[0:1], 17
	v_mov_b32_e32 v3, s6
	s_waitcnt lgkmcnt(0)
	s_add_u32 s6, s14, s20
	v_add_co_u32_e32 v1, vcc, s2, v1
	s_and_b32 s2, s12, 7
	s_and_b32 s6, s6, 7
	s_cmp_eq_u64 s[6:7], 0
	s_cselect_b64 s[6:7], -1, 0
	s_add_u32 s8, s16, s20
	s_or_b32 s8, s18, s8
	v_addc_co_u32_e32 v2, vcc, v3, v2, vcc
	s_and_b32 s8, s8, 7
	v_readfirstlane_b32 s22, v1
	v_readfirstlane_b32 s23, v2
	s_cmp_eq_u32 s8, 0
	s_load_dword s33, s[22:23], 0x5a0
	s_cselect_b64 s[22:23], -1, 0
	s_lshl_b64 s[0:1], s[0:1], 16
	s_and_b64 s[6:7], s[22:23], s[6:7]
	s_sub_u32 s22, s10, s0
	s_subb_u32 s23, s11, s1
	s_and_b32 s8, s10, 3
	s_or_b64 s[0:1], s[2:3], s[8:9]
	s_cmp_eq_u64 s[0:1], 0
	s_cselect_b64 s[0:1], -1, 0
	s_and_b64 s[2:3], s[6:7], s[0:1]
	s_mov_b64 s[0:1], -1
	s_and_b64 vcc, exec, s[2:3]
	s_cbranch_vccnz .LBB97_29
; %bb.1:
	v_cmp_lt_i64_e64 s[0:1], s[22:23], 1
	s_and_b64 vcc, exec, s[0:1]
	s_cbranch_vccnz .LBB97_28
; %bb.2:
	v_mov_b32_e32 v1, 0x10000
	s_load_dword s2, s[4:5], 0xc84
	v_mov_b32_e32 v2, 0
	v_cmp_lt_i64_e32 vcc, s[22:23], v[1:2]
	v_mov_b32_e32 v24, 0
	s_and_b64 s[0:1], vcc, exec
	s_cselect_b32 s25, s23, 0
	s_cselect_b32 s24, s22, 0x10000
	s_waitcnt lgkmcnt(0)
	s_and_b32 s2, s2, 0xffff
	v_lshlrev_b32_e32 v23, 1, v0
	v_mad_u64_u32 v[7:8], s[0:1], s2, 6, v[23:24]
	v_cmp_lt_u64_e32 vcc, s[22:23], v[1:2]
	v_mov_b32_e32 v2, s13
	s_and_b64 s[0:1], vcc, exec
	v_add_co_u32_e32 v1, vcc, s12, v7
	v_addc_co_u32_e32 v2, vcc, v2, v8, vcc
	v_mov_b32_e32 v4, s15
	v_add_co_u32_e32 v3, vcc, s14, v7
	v_addc_co_u32_e32 v4, vcc, v4, v8, vcc
	v_mov_b32_e32 v6, s17
	;; [unrolled: 3-line block ×3, first 2 shown]
	v_add_co_u32_e32 v7, vcc, s18, v7
	s_cselect_b32 s27, s23, 0
	s_cselect_b32 s26, s22, 0x10000
	s_lshl_b32 s34, s2, 2
	v_addc_co_u32_e32 v8, vcc, v9, v8, vcc
	v_add_co_u32_e32 v15, vcc, s34, v23
	v_addc_co_u32_e64 v16, s[0:1], 0, 0, vcc
	v_mov_b32_e32 v10, s13
	v_add_co_u32_e32 v9, vcc, s12, v15
	v_addc_co_u32_e32 v10, vcc, v10, v16, vcc
	v_mov_b32_e32 v12, s15
	v_add_co_u32_e32 v11, vcc, s14, v15
	v_addc_co_u32_e32 v12, vcc, v12, v16, vcc
	;; [unrolled: 3-line block ×8, first 2 shown]
	v_add_co_u32_e32 v25, vcc, s2, v0
	v_lshlrev_b32_e32 v33, 1, v25
	s_lshl_b32 s6, s2, 1
	s_mul_i32 s7, s2, 3
	s_lshl_b32 s35, s2, 3
	v_addc_co_u32_e64 v26, s[2:3], 0, 0, vcc
	v_mov_b32_e32 v28, s13
	v_add_co_u32_e32 v27, vcc, s12, v33
	v_addc_co_u32_e32 v28, vcc, 0, v28, vcc
	v_mov_b32_e32 v30, s15
	v_add_co_u32_e32 v29, vcc, s14, v33
	v_addc_co_u32_e32 v30, vcc, 0, v30, vcc
	;; [unrolled: 3-line block ×4, first 2 shown]
	v_add_co_u32_e32 v35, vcc, s7, v0
	v_addc_co_u32_e64 v36, s[2:3], 0, 0, vcc
	v_add_co_u32_e32 v37, vcc, s6, v0
	v_cmp_eq_f32_e64 s[0:1], s33, 1.0
	s_mov_b64 s[28:29], 0
	v_addc_co_u32_e64 v38, s[2:3], 0, 0, vcc
	s_branch .LBB97_4
.LBB97_3:                               ;   in Loop: Header=BB97_4 Depth=1
	s_or_b64 exec, exec, s[2:3]
	v_add_co_u32_e32 v17, vcc, s35, v17
	v_addc_co_u32_e32 v18, vcc, 0, v18, vcc
	v_add_co_u32_e32 v19, vcc, s35, v19
	v_addc_co_u32_e32 v20, vcc, 0, v20, vcc
	;; [unrolled: 2-line block ×14, first 2 shown]
	s_add_u32 s28, s28, s34
	v_add_co_u32_e32 v31, vcc, s35, v31
	v_mov_b32_e32 v40, s25
	s_addc_u32 s29, s29, 0
	v_addc_co_u32_e32 v32, vcc, 0, v32, vcc
	v_mov_b32_e32 v39, s24
	v_cmp_lt_i64_e32 vcc, s[28:29], v[39:40]
	v_add_co_u32_e64 v33, s[2:3], s35, v33
	v_addc_co_u32_e64 v34, s[2:3], 0, v34, s[2:3]
	s_cbranch_vccz .LBB97_28
.LBB97_4:                               ; =>This Inner Loop Header: Depth=1
	v_mov_b32_e32 v40, s29
	v_add_co_u32_e32 v39, vcc, s28, v0
	v_addc_co_u32_e32 v40, vcc, 0, v40, vcc
	v_cmp_gt_u64_e32 vcc, s[26:27], v[39:40]
	v_mov_b32_e32 v40, 0
	v_mov_b32_e32 v39, 0
	s_and_saveexec_b64 s[6:7], vcc
	s_cbranch_execz .LBB97_6
; %bb.5:                                ;   in Loop: Header=BB97_4 Depth=1
	v_mov_b32_e32 v42, s21
	v_add_co_u32_e64 v39, s[2:3], s20, v19
	v_addc_co_u32_e64 v40, s[2:3], v20, v42, s[2:3]
	v_add_co_u32_e64 v41, s[2:3], s20, v17
	v_addc_co_u32_e64 v42, s[2:3], v18, v42, s[2:3]
	global_load_ushort v43, v[41:42], off
	global_load_ushort v44, v[39:40], off
	s_waitcnt vmcnt(1)
	v_cvt_f32_f16_e32 v39, v43
	s_waitcnt vmcnt(0)
	v_cvt_f32_f16_e32 v40, v44
.LBB97_6:                               ;   in Loop: Header=BB97_4 Depth=1
	s_or_b64 exec, exec, s[6:7]
	v_mov_b32_e32 v41, 0
	v_mov_b32_e32 v42, 0
	s_and_saveexec_b64 s[6:7], vcc
	s_cbranch_execz .LBB97_8
; %bb.7:                                ;   in Loop: Header=BB97_4 Depth=1
	v_mov_b32_e32 v43, s21
	v_add_co_u32_e64 v42, s[2:3], s20, v21
	v_addc_co_u32_e64 v43, s[2:3], v22, v43, s[2:3]
	global_load_ushort v42, v[42:43], off
	s_waitcnt vmcnt(0)
	v_cvt_f32_f16_e32 v42, v42
.LBB97_8:                               ;   in Loop: Header=BB97_4 Depth=1
	s_or_b64 exec, exec, s[6:7]
	v_mov_b32_e32 v44, s29
	v_add_co_u32_e64 v43, s[2:3], s28, v25
	v_addc_co_u32_e64 v44, s[2:3], v26, v44, s[2:3]
	v_cmp_gt_u64_e64 s[2:3], s[26:27], v[43:44]
	v_mov_b32_e32 v43, 0
	s_and_saveexec_b64 s[8:9], s[2:3]
	s_cbranch_execz .LBB97_10
; %bb.9:                                ;   in Loop: Header=BB97_4 Depth=1
	v_mov_b32_e32 v41, s21
	v_add_co_u32_e64 v43, s[6:7], s20, v29
	v_addc_co_u32_e64 v44, s[6:7], v30, v41, s[6:7]
	v_add_co_u32_e64 v45, s[6:7], s20, v27
	v_addc_co_u32_e64 v46, s[6:7], v28, v41, s[6:7]
	global_load_ushort v41, v[45:46], off
	global_load_ushort v47, v[43:44], off
	s_waitcnt vmcnt(1)
	v_cvt_f32_f16_e32 v43, v41
	s_waitcnt vmcnt(0)
	v_cvt_f32_f16_e32 v41, v47
.LBB97_10:                              ;   in Loop: Header=BB97_4 Depth=1
	s_or_b64 exec, exec, s[8:9]
	v_mov_b32_e32 v44, 0
	v_mov_b32_e32 v45, 0
	s_and_saveexec_b64 s[8:9], s[2:3]
	s_cbranch_execz .LBB97_12
; %bb.11:                               ;   in Loop: Header=BB97_4 Depth=1
	v_mov_b32_e32 v46, s21
	v_add_co_u32_e64 v45, s[6:7], s20, v31
	v_addc_co_u32_e64 v46, s[6:7], v32, v46, s[6:7]
	global_load_ushort v45, v[45:46], off
	s_waitcnt vmcnt(0)
	v_cvt_f32_f16_e32 v45, v45
.LBB97_12:                              ;   in Loop: Header=BB97_4 Depth=1
	s_or_b64 exec, exec, s[8:9]
	v_mov_b32_e32 v47, s29
	v_add_co_u32_e64 v46, s[6:7], s28, v37
	v_addc_co_u32_e64 v47, s[6:7], v38, v47, s[6:7]
	v_cmp_gt_u64_e64 s[6:7], s[26:27], v[46:47]
	v_mov_b32_e32 v46, 0
	s_and_saveexec_b64 s[10:11], s[6:7]
	s_cbranch_execz .LBB97_14
; %bb.13:                               ;   in Loop: Header=BB97_4 Depth=1
	v_mov_b32_e32 v44, s21
	v_add_co_u32_e64 v46, s[8:9], s20, v11
	v_addc_co_u32_e64 v47, s[8:9], v12, v44, s[8:9]
	v_add_co_u32_e64 v48, s[8:9], s20, v9
	v_addc_co_u32_e64 v49, s[8:9], v10, v44, s[8:9]
	global_load_ushort v44, v[48:49], off
	global_load_ushort v50, v[46:47], off
	s_waitcnt vmcnt(1)
	v_cvt_f32_f16_e32 v46, v44
	s_waitcnt vmcnt(0)
	v_cvt_f32_f16_e32 v44, v50
.LBB97_14:                              ;   in Loop: Header=BB97_4 Depth=1
	s_or_b64 exec, exec, s[10:11]
	v_mov_b32_e32 v47, 0
	v_mov_b32_e32 v48, 0
	s_and_saveexec_b64 s[10:11], s[6:7]
	s_cbranch_execz .LBB97_16
; %bb.15:                               ;   in Loop: Header=BB97_4 Depth=1
	v_mov_b32_e32 v49, s21
	v_add_co_u32_e64 v48, s[8:9], s20, v13
	v_addc_co_u32_e64 v49, s[8:9], v14, v49, s[8:9]
	global_load_ushort v48, v[48:49], off
	s_waitcnt vmcnt(0)
	v_cvt_f32_f16_e32 v48, v48
.LBB97_16:                              ;   in Loop: Header=BB97_4 Depth=1
	s_or_b64 exec, exec, s[10:11]
	v_mov_b32_e32 v50, s29
	v_add_co_u32_e64 v49, s[8:9], s28, v35
	v_addc_co_u32_e64 v50, s[8:9], v36, v50, s[8:9]
	v_cmp_gt_u64_e64 s[8:9], s[26:27], v[49:50]
	v_mov_b32_e32 v49, 0
	s_and_saveexec_b64 s[30:31], s[8:9]
	s_cbranch_execnz .LBB97_22
; %bb.17:                               ;   in Loop: Header=BB97_4 Depth=1
	s_or_b64 exec, exec, s[30:31]
	v_mov_b32_e32 v50, 0
	s_and_saveexec_b64 s[30:31], s[8:9]
	s_cbranch_execnz .LBB97_23
.LBB97_18:                              ;   in Loop: Header=BB97_4 Depth=1
	s_or_b64 exec, exec, s[30:31]
	s_and_saveexec_b64 s[10:11], vcc
	s_cbranch_execnz .LBB97_24
.LBB97_19:                              ;   in Loop: Header=BB97_4 Depth=1
	s_or_b64 exec, exec, s[10:11]
	s_and_saveexec_b64 s[10:11], s[2:3]
	s_cbranch_execnz .LBB97_25
.LBB97_20:                              ;   in Loop: Header=BB97_4 Depth=1
	s_or_b64 exec, exec, s[10:11]
	s_and_saveexec_b64 s[2:3], s[6:7]
	s_cbranch_execnz .LBB97_26
.LBB97_21:                              ;   in Loop: Header=BB97_4 Depth=1
	s_or_b64 exec, exec, s[2:3]
	s_and_saveexec_b64 s[2:3], s[8:9]
	s_cbranch_execz .LBB97_3
	s_branch .LBB97_27
.LBB97_22:                              ;   in Loop: Header=BB97_4 Depth=1
	v_mov_b32_e32 v47, s21
	v_add_co_u32_e64 v49, s[10:11], s20, v3
	v_addc_co_u32_e64 v50, s[10:11], v4, v47, s[10:11]
	v_add_co_u32_e64 v51, s[10:11], s20, v1
	v_addc_co_u32_e64 v52, s[10:11], v2, v47, s[10:11]
	global_load_ushort v47, v[51:52], off
	global_load_ushort v53, v[49:50], off
	s_waitcnt vmcnt(1)
	v_cvt_f32_f16_e32 v49, v47
	s_waitcnt vmcnt(0)
	v_cvt_f32_f16_e32 v47, v53
	s_or_b64 exec, exec, s[30:31]
	v_mov_b32_e32 v50, 0
	s_and_saveexec_b64 s[30:31], s[8:9]
	s_cbranch_execz .LBB97_18
.LBB97_23:                              ;   in Loop: Header=BB97_4 Depth=1
	v_mov_b32_e32 v51, s21
	v_add_co_u32_e64 v50, s[10:11], s20, v5
	v_addc_co_u32_e64 v51, s[10:11], v6, v51, s[10:11]
	global_load_ushort v50, v[50:51], off
	s_waitcnt vmcnt(0)
	v_cvt_f32_f16_e32 v50, v50
	s_or_b64 exec, exec, s[30:31]
	s_and_saveexec_b64 s[10:11], vcc
	s_cbranch_execz .LBB97_19
.LBB97_24:                              ;   in Loop: Header=BB97_4 Depth=1
	v_fma_f32 v51, v40, v42, v39
	v_mul_f32_e32 v40, v40, v42
	v_fmac_f32_e32 v39, s33, v40
	v_cndmask_b32_e64 v39, v39, v51, s[0:1]
	v_cvt_f16_f32_e32 v42, v39
	v_mov_b32_e32 v40, s21
	v_add_co_u32_e32 v39, vcc, s20, v23
	v_addc_co_u32_e32 v40, vcc, v24, v40, vcc
	global_store_short v[39:40], v42, off
	s_or_b64 exec, exec, s[10:11]
	s_and_saveexec_b64 s[10:11], s[2:3]
	s_cbranch_execz .LBB97_20
.LBB97_25:                              ;   in Loop: Header=BB97_4 Depth=1
	v_mul_f32_e32 v40, v41, v45
	v_fma_f32 v39, v41, v45, v43
	v_fmac_f32_e32 v43, s33, v40
	v_cndmask_b32_e64 v39, v43, v39, s[0:1]
	v_cvt_f16_f32_e32 v41, v39
	v_mov_b32_e32 v40, s21
	v_add_co_u32_e32 v39, vcc, s20, v33
	v_addc_co_u32_e32 v40, vcc, v34, v40, vcc
	global_store_short v[39:40], v41, off
	s_or_b64 exec, exec, s[10:11]
	s_and_saveexec_b64 s[2:3], s[6:7]
	s_cbranch_execz .LBB97_21
.LBB97_26:                              ;   in Loop: Header=BB97_4 Depth=1
	v_mul_f32_e32 v40, v44, v48
	v_fma_f32 v39, v44, v48, v46
	v_fmac_f32_e32 v46, s33, v40
	v_cndmask_b32_e64 v39, v46, v39, s[0:1]
	v_cvt_f16_f32_e32 v41, v39
	v_mov_b32_e32 v40, s21
	v_add_co_u32_e32 v39, vcc, s20, v15
	v_addc_co_u32_e32 v40, vcc, v16, v40, vcc
	global_store_short v[39:40], v41, off
	s_or_b64 exec, exec, s[2:3]
	s_and_saveexec_b64 s[2:3], s[8:9]
	s_cbranch_execz .LBB97_3
.LBB97_27:                              ;   in Loop: Header=BB97_4 Depth=1
	v_mul_f32_e32 v40, v47, v50
	v_fma_f32 v39, v47, v50, v49
	v_fmac_f32_e32 v49, s33, v40
	v_cndmask_b32_e64 v39, v49, v39, s[0:1]
	v_cvt_f16_f32_e32 v41, v39
	v_mov_b32_e32 v40, s21
	v_add_co_u32_e32 v39, vcc, s20, v7
	v_addc_co_u32_e32 v40, vcc, v8, v40, vcc
	global_store_short v[39:40], v41, off
	s_branch .LBB97_3
.LBB97_28:
	s_mov_b64 s[0:1], 0
.LBB97_29:
	s_andn2_b64 vcc, exec, s[0:1]
	s_cbranch_vccnz .LBB97_33
; %bb.30:
	v_mov_b32_e32 v1, 0x10000
	v_mov_b32_e32 v2, 0
	v_cmp_lt_i64_e32 vcc, s[22:23], v[1:2]
	v_mov_b32_e32 v2, 0
	s_and_b64 s[0:1], vcc, exec
	s_cselect_b32 s3, s23, 0
	s_cselect_b32 s2, s22, 0x10000
	v_lshlrev_b32_e32 v1, 2, v0
	v_cmp_gt_i64_e32 vcc, s[2:3], v[1:2]
	s_and_saveexec_b64 s[0:1], vcc
	s_cbranch_execz .LBB97_33
; %bb.31:
	s_load_dword s0, s[4:5], 0xc84
	v_mov_b32_e32 v1, v2
	v_lshlrev_b32_e32 v2, 3, v0
	v_mov_b32_e32 v3, s21
	s_waitcnt lgkmcnt(0)
	v_cmp_eq_f32_e64 vcc, s33, 1.0
	s_and_b32 s7, s0, 0xffff
	v_add_co_u32_e64 v2, s[0:1], s20, v2
	s_lshl_b32 s8, s7, 3
	v_addc_co_u32_e64 v3, s[0:1], 0, v3, s[0:1]
	s_add_u32 s9, s18, 4
	s_addc_u32 s0, s19, 0
	s_mov_b32 s6, s33
	s_mov_b64 s[4:5], 0
	v_mov_b32_e32 v4, s13
	v_mov_b32_e32 v5, s15
	;; [unrolled: 1-line block ×4, first 2 shown]
.LBB97_32:                              ; =>This Inner Loop Header: Depth=1
	v_add_co_u32_e64 v8, s[0:1], s12, v2
	v_addc_co_u32_e64 v9, s[0:1], v4, v3, s[0:1]
	v_add_co_u32_e64 v10, s[0:1], s14, v2
	v_addc_co_u32_e64 v11, s[0:1], v5, v3, s[0:1]
	;; [unrolled: 2-line block ×3, first 2 shown]
	global_load_dwordx2 v[14:15], v[10:11], off
	global_load_dwordx2 v[16:17], v[12:13], off
	global_load_dwordx2 v[18:19], v[8:9], off
	v_add_co_u32_e64 v8, s[0:1], s9, v2
	v_addc_co_u32_e64 v9, s[0:1], v7, v3, s[0:1]
	v_add_co_u32_e64 v0, s[0:1], s7, v0
	v_addc_co_u32_e64 v1, s[0:1], 0, v1, s[0:1]
	v_add_co_u32_e64 v2, s[0:1], s8, v2
	v_lshlrev_b64 v[10:11], 2, v[0:1]
	v_addc_co_u32_e64 v3, s[0:1], 0, v3, s[0:1]
	v_cmp_le_i64_e64 s[0:1], s[2:3], v[10:11]
	s_or_b64 s[4:5], s[0:1], s[4:5]
	s_waitcnt vmcnt(2)
	v_cvt_f32_f16_e32 v12, v14
	v_cvt_f32_f16_sdwa v13, v14 dst_sel:DWORD dst_unused:UNUSED_PAD src0_sel:WORD_1
	s_waitcnt vmcnt(1)
	v_cvt_f32_f16_e32 v20, v16
	v_cvt_f32_f16_sdwa v21, v16 dst_sel:DWORD dst_unused:UNUSED_PAD src0_sel:WORD_1
	s_waitcnt vmcnt(0)
	v_fma_mix_f32 v22, v14, v16, v18 op_sel_hi:[1,1,1]
	v_fma_mix_f32 v14, v14, v16, v18 op_sel:[1,1,1] op_sel_hi:[1,1,1]
	v_cvt_f32_f16_e32 v16, v15
	v_cvt_f32_f16_sdwa v23, v15 dst_sel:DWORD dst_unused:UNUSED_PAD src0_sel:WORD_1
	v_cvt_f32_f16_e32 v24, v17
	v_cvt_f32_f16_sdwa v25, v17 dst_sel:DWORD dst_unused:UNUSED_PAD src0_sel:WORD_1
	v_fma_mix_f32 v26, v15, v17, v19 op_sel_hi:[1,1,1]
	v_fma_mix_f32 v15, v15, v17, v19 op_sel:[1,1,1] op_sel_hi:[1,1,1]
	v_mul_f32_e32 v13, v13, v21
	v_mul_f32_e32 v12, v12, v20
	;; [unrolled: 1-line block ×4, first 2 shown]
	v_fma_mix_f32 v12, s33, v12, v18 op_sel_hi:[0,0,1]
	v_fma_mix_f32 v13, s6, v13, v18 op_sel:[0,0,1] op_sel_hi:[0,0,1]
	v_fma_mix_f32 v16, s33, v16, v19 op_sel_hi:[0,0,1]
	v_fma_mix_f32 v17, s6, v17, v19 op_sel:[0,0,1] op_sel_hi:[0,0,1]
	v_cndmask_b32_e32 v13, v13, v14, vcc
	v_cndmask_b32_e32 v12, v12, v22, vcc
	v_cndmask_b32_e32 v14, v17, v15, vcc
	v_cndmask_b32_e32 v15, v16, v26, vcc
	v_cvt_f16_f32_e32 v12, v12
	v_cvt_f16_f32_e32 v13, v13
	;; [unrolled: 1-line block ×4, first 2 shown]
	v_pack_b32_f16 v10, v12, v13
	v_pack_b32_f16 v11, v15, v14
	global_store_dwordx2 v[8:9], v[10:11], off offset:-4
	s_andn2_b64 exec, exec, s[4:5]
	s_cbranch_execnz .LBB97_32
.LBB97_33:
	s_endpgm
	.section	.rodata,"a",@progbits
	.p2align	6, 0x0
	.amdhsa_kernel _ZN2at6native12_GLOBAL__N_125multi_tensor_apply_kernelINS1_28TensorListScalarListMetadataIfLi4EEENS1_28PointwiseOpScalarListFunctorIN3c104HalfELi4ELi3ELi3EEEJSt10multipliesIfEEEEvT_T0_DpT1_
		.amdhsa_group_segment_fixed_size 0
		.amdhsa_private_segment_fixed_size 0
		.amdhsa_kernarg_size 3448
		.amdhsa_user_sgpr_count 6
		.amdhsa_user_sgpr_private_segment_buffer 1
		.amdhsa_user_sgpr_dispatch_ptr 0
		.amdhsa_user_sgpr_queue_ptr 0
		.amdhsa_user_sgpr_kernarg_segment_ptr 1
		.amdhsa_user_sgpr_dispatch_id 0
		.amdhsa_user_sgpr_flat_scratch_init 0
		.amdhsa_user_sgpr_private_segment_size 0
		.amdhsa_uses_dynamic_stack 0
		.amdhsa_system_sgpr_private_segment_wavefront_offset 0
		.amdhsa_system_sgpr_workgroup_id_x 1
		.amdhsa_system_sgpr_workgroup_id_y 0
		.amdhsa_system_sgpr_workgroup_id_z 0
		.amdhsa_system_sgpr_workgroup_info 0
		.amdhsa_system_vgpr_workitem_id 0
		.amdhsa_next_free_vgpr 54
		.amdhsa_next_free_sgpr 36
		.amdhsa_reserve_vcc 1
		.amdhsa_reserve_flat_scratch 0
		.amdhsa_float_round_mode_32 0
		.amdhsa_float_round_mode_16_64 0
		.amdhsa_float_denorm_mode_32 3
		.amdhsa_float_denorm_mode_16_64 3
		.amdhsa_dx10_clamp 1
		.amdhsa_ieee_mode 1
		.amdhsa_fp16_overflow 0
		.amdhsa_exception_fp_ieee_invalid_op 0
		.amdhsa_exception_fp_denorm_src 0
		.amdhsa_exception_fp_ieee_div_zero 0
		.amdhsa_exception_fp_ieee_overflow 0
		.amdhsa_exception_fp_ieee_underflow 0
		.amdhsa_exception_fp_ieee_inexact 0
		.amdhsa_exception_int_div_zero 0
	.end_amdhsa_kernel
	.section	.text._ZN2at6native12_GLOBAL__N_125multi_tensor_apply_kernelINS1_28TensorListScalarListMetadataIfLi4EEENS1_28PointwiseOpScalarListFunctorIN3c104HalfELi4ELi3ELi3EEEJSt10multipliesIfEEEEvT_T0_DpT1_,"axG",@progbits,_ZN2at6native12_GLOBAL__N_125multi_tensor_apply_kernelINS1_28TensorListScalarListMetadataIfLi4EEENS1_28PointwiseOpScalarListFunctorIN3c104HalfELi4ELi3ELi3EEEJSt10multipliesIfEEEEvT_T0_DpT1_,comdat
.Lfunc_end97:
	.size	_ZN2at6native12_GLOBAL__N_125multi_tensor_apply_kernelINS1_28TensorListScalarListMetadataIfLi4EEENS1_28PointwiseOpScalarListFunctorIN3c104HalfELi4ELi3ELi3EEEJSt10multipliesIfEEEEvT_T0_DpT1_, .Lfunc_end97-_ZN2at6native12_GLOBAL__N_125multi_tensor_apply_kernelINS1_28TensorListScalarListMetadataIfLi4EEENS1_28PointwiseOpScalarListFunctorIN3c104HalfELi4ELi3ELi3EEEJSt10multipliesIfEEEEvT_T0_DpT1_
                                        ; -- End function
	.set _ZN2at6native12_GLOBAL__N_125multi_tensor_apply_kernelINS1_28TensorListScalarListMetadataIfLi4EEENS1_28PointwiseOpScalarListFunctorIN3c104HalfELi4ELi3ELi3EEEJSt10multipliesIfEEEEvT_T0_DpT1_.num_vgpr, 54
	.set _ZN2at6native12_GLOBAL__N_125multi_tensor_apply_kernelINS1_28TensorListScalarListMetadataIfLi4EEENS1_28PointwiseOpScalarListFunctorIN3c104HalfELi4ELi3ELi3EEEJSt10multipliesIfEEEEvT_T0_DpT1_.num_agpr, 0
	.set _ZN2at6native12_GLOBAL__N_125multi_tensor_apply_kernelINS1_28TensorListScalarListMetadataIfLi4EEENS1_28PointwiseOpScalarListFunctorIN3c104HalfELi4ELi3ELi3EEEJSt10multipliesIfEEEEvT_T0_DpT1_.numbered_sgpr, 36
	.set _ZN2at6native12_GLOBAL__N_125multi_tensor_apply_kernelINS1_28TensorListScalarListMetadataIfLi4EEENS1_28PointwiseOpScalarListFunctorIN3c104HalfELi4ELi3ELi3EEEJSt10multipliesIfEEEEvT_T0_DpT1_.num_named_barrier, 0
	.set _ZN2at6native12_GLOBAL__N_125multi_tensor_apply_kernelINS1_28TensorListScalarListMetadataIfLi4EEENS1_28PointwiseOpScalarListFunctorIN3c104HalfELi4ELi3ELi3EEEJSt10multipliesIfEEEEvT_T0_DpT1_.private_seg_size, 0
	.set _ZN2at6native12_GLOBAL__N_125multi_tensor_apply_kernelINS1_28TensorListScalarListMetadataIfLi4EEENS1_28PointwiseOpScalarListFunctorIN3c104HalfELi4ELi3ELi3EEEJSt10multipliesIfEEEEvT_T0_DpT1_.uses_vcc, 1
	.set _ZN2at6native12_GLOBAL__N_125multi_tensor_apply_kernelINS1_28TensorListScalarListMetadataIfLi4EEENS1_28PointwiseOpScalarListFunctorIN3c104HalfELi4ELi3ELi3EEEJSt10multipliesIfEEEEvT_T0_DpT1_.uses_flat_scratch, 0
	.set _ZN2at6native12_GLOBAL__N_125multi_tensor_apply_kernelINS1_28TensorListScalarListMetadataIfLi4EEENS1_28PointwiseOpScalarListFunctorIN3c104HalfELi4ELi3ELi3EEEJSt10multipliesIfEEEEvT_T0_DpT1_.has_dyn_sized_stack, 0
	.set _ZN2at6native12_GLOBAL__N_125multi_tensor_apply_kernelINS1_28TensorListScalarListMetadataIfLi4EEENS1_28PointwiseOpScalarListFunctorIN3c104HalfELi4ELi3ELi3EEEJSt10multipliesIfEEEEvT_T0_DpT1_.has_recursion, 0
	.set _ZN2at6native12_GLOBAL__N_125multi_tensor_apply_kernelINS1_28TensorListScalarListMetadataIfLi4EEENS1_28PointwiseOpScalarListFunctorIN3c104HalfELi4ELi3ELi3EEEJSt10multipliesIfEEEEvT_T0_DpT1_.has_indirect_call, 0
	.section	.AMDGPU.csdata,"",@progbits
; Kernel info:
; codeLenInByte = 2280
; TotalNumSgprs: 40
; NumVgprs: 54
; ScratchSize: 0
; MemoryBound: 0
; FloatMode: 240
; IeeeMode: 1
; LDSByteSize: 0 bytes/workgroup (compile time only)
; SGPRBlocks: 4
; VGPRBlocks: 13
; NumSGPRsForWavesPerEU: 40
; NumVGPRsForWavesPerEU: 54
; Occupancy: 4
; WaveLimiterHint : 0
; COMPUTE_PGM_RSRC2:SCRATCH_EN: 0
; COMPUTE_PGM_RSRC2:USER_SGPR: 6
; COMPUTE_PGM_RSRC2:TRAP_HANDLER: 0
; COMPUTE_PGM_RSRC2:TGID_X_EN: 1
; COMPUTE_PGM_RSRC2:TGID_Y_EN: 0
; COMPUTE_PGM_RSRC2:TGID_Z_EN: 0
; COMPUTE_PGM_RSRC2:TIDIG_COMP_CNT: 0
	.section	.text._ZN2at6native12_GLOBAL__N_125multi_tensor_apply_kernelINS1_28TensorListScalarListMetadataIfLi4EEENS1_28PointwiseOpScalarListFunctorIN3c108BFloat16ELi4ELi3ELi3EEEJSt10multipliesIfEEEEvT_T0_DpT1_,"axG",@progbits,_ZN2at6native12_GLOBAL__N_125multi_tensor_apply_kernelINS1_28TensorListScalarListMetadataIfLi4EEENS1_28PointwiseOpScalarListFunctorIN3c108BFloat16ELi4ELi3ELi3EEEJSt10multipliesIfEEEEvT_T0_DpT1_,comdat
	.globl	_ZN2at6native12_GLOBAL__N_125multi_tensor_apply_kernelINS1_28TensorListScalarListMetadataIfLi4EEENS1_28PointwiseOpScalarListFunctorIN3c108BFloat16ELi4ELi3ELi3EEEJSt10multipliesIfEEEEvT_T0_DpT1_ ; -- Begin function _ZN2at6native12_GLOBAL__N_125multi_tensor_apply_kernelINS1_28TensorListScalarListMetadataIfLi4EEENS1_28PointwiseOpScalarListFunctorIN3c108BFloat16ELi4ELi3ELi3EEEJSt10multipliesIfEEEEvT_T0_DpT1_
	.p2align	8
	.type	_ZN2at6native12_GLOBAL__N_125multi_tensor_apply_kernelINS1_28TensorListScalarListMetadataIfLi4EEENS1_28PointwiseOpScalarListFunctorIN3c108BFloat16ELi4ELi3ELi3EEEJSt10multipliesIfEEEEvT_T0_DpT1_,@function
_ZN2at6native12_GLOBAL__N_125multi_tensor_apply_kernelINS1_28TensorListScalarListMetadataIfLi4EEENS1_28PointwiseOpScalarListFunctorIN3c108BFloat16ELi4ELi3ELi3EEEJSt10multipliesIfEEEEvT_T0_DpT1_: ; @_ZN2at6native12_GLOBAL__N_125multi_tensor_apply_kernelINS1_28TensorListScalarListMetadataIfLi4EEENS1_28PointwiseOpScalarListFunctorIN3c108BFloat16ELi4ELi3ELi3EEEJSt10multipliesIfEEEEvT_T0_DpT1_
; %bb.0:
	v_mov_b32_e32 v1, s6
	global_load_ubyte v1, v1, s[4:5] offset:1584
	s_add_u32 s0, s4, s6
	s_mul_i32 s1, s6, 3
	s_addc_u32 s2, s5, 0
	s_mul_hi_u32 s3, s6, 3
	s_add_u32 s0, s0, s1
	s_addc_u32 s1, s2, s3
	s_load_dword s0, s[0:1], 0x770
	s_mov_b32 s3, 0
	s_mov_b32 s7, s3
	s_mov_b32 s9, s3
	s_waitcnt vmcnt(0)
	v_readfirstlane_b32 s1, v1
	v_lshlrev_b32_e32 v1, 2, v1
	v_sub_co_u32_e32 v1, vcc, 0, v1
	s_lshl_b32 s2, s1, 3
	v_subb_co_u32_e64 v2, s[10:11], 0, 0, vcc
	s_load_dwordx2 s[10:11], s[4:5], s2 offset:0x480
	s_waitcnt lgkmcnt(0)
	s_ashr_i32 s1, s0, 31
	s_load_dwordx2 s[12:13], s[4:5], s2 offset:0x0
	s_load_dwordx2 s[14:15], s[4:5], s2 offset:0x120
	;; [unrolled: 1-line block ×4, first 2 shown]
	s_add_u32 s2, s4, s2
	s_addc_u32 s6, s5, 0
	s_lshl_b64 s[20:21], s[0:1], 17
	v_mov_b32_e32 v3, s6
	s_waitcnt lgkmcnt(0)
	s_add_u32 s6, s14, s20
	v_add_co_u32_e32 v1, vcc, s2, v1
	s_and_b32 s2, s12, 7
	s_and_b32 s6, s6, 7
	s_cmp_eq_u64 s[6:7], 0
	s_cselect_b64 s[6:7], -1, 0
	s_add_u32 s8, s16, s20
	s_or_b32 s8, s18, s8
	v_addc_co_u32_e32 v2, vcc, v3, v2, vcc
	s_and_b32 s8, s8, 7
	v_readfirstlane_b32 s22, v1
	v_readfirstlane_b32 s23, v2
	s_cmp_eq_u32 s8, 0
	s_load_dword s33, s[22:23], 0x5a0
	s_cselect_b64 s[22:23], -1, 0
	s_lshl_b64 s[0:1], s[0:1], 16
	s_and_b64 s[6:7], s[22:23], s[6:7]
	s_sub_u32 s22, s10, s0
	s_subb_u32 s23, s11, s1
	s_and_b32 s8, s10, 3
	s_or_b64 s[0:1], s[2:3], s[8:9]
	s_cmp_eq_u64 s[0:1], 0
	s_cselect_b64 s[0:1], -1, 0
	s_and_b64 s[2:3], s[6:7], s[0:1]
	s_mov_b64 s[0:1], -1
	s_and_b64 vcc, exec, s[2:3]
	s_cbranch_vccnz .LBB98_29
; %bb.1:
	v_cmp_lt_i64_e64 s[0:1], s[22:23], 1
	s_and_b64 vcc, exec, s[0:1]
	s_cbranch_vccnz .LBB98_28
; %bb.2:
	v_mov_b32_e32 v1, 0x10000
	s_load_dword s2, s[4:5], 0xc84
	v_mov_b32_e32 v2, 0
	v_cmp_lt_i64_e32 vcc, s[22:23], v[1:2]
	v_mov_b32_e32 v24, 0
	s_and_b64 s[0:1], vcc, exec
	s_cselect_b32 s25, s23, 0
	s_cselect_b32 s24, s22, 0x10000
	s_waitcnt lgkmcnt(0)
	s_and_b32 s2, s2, 0xffff
	v_lshlrev_b32_e32 v23, 1, v0
	v_mad_u64_u32 v[7:8], s[0:1], s2, 6, v[23:24]
	v_cmp_lt_u64_e32 vcc, s[22:23], v[1:2]
	v_mov_b32_e32 v2, s13
	s_and_b64 s[0:1], vcc, exec
	v_add_co_u32_e32 v1, vcc, s12, v7
	v_addc_co_u32_e32 v2, vcc, v2, v8, vcc
	v_mov_b32_e32 v4, s15
	v_add_co_u32_e32 v3, vcc, s14, v7
	v_addc_co_u32_e32 v4, vcc, v4, v8, vcc
	v_mov_b32_e32 v6, s17
	v_add_co_u32_e32 v5, vcc, s16, v7
	v_addc_co_u32_e32 v6, vcc, v6, v8, vcc
	v_mov_b32_e32 v9, s19
	v_add_co_u32_e32 v7, vcc, s18, v7
	s_cselect_b32 s27, s23, 0
	s_cselect_b32 s26, s22, 0x10000
	s_lshl_b32 s34, s2, 2
	v_addc_co_u32_e32 v8, vcc, v9, v8, vcc
	v_add_co_u32_e32 v15, vcc, s34, v23
	v_addc_co_u32_e64 v16, s[0:1], 0, 0, vcc
	v_mov_b32_e32 v10, s13
	v_add_co_u32_e32 v9, vcc, s12, v15
	v_addc_co_u32_e32 v10, vcc, v10, v16, vcc
	v_mov_b32_e32 v12, s15
	v_add_co_u32_e32 v11, vcc, s14, v15
	v_addc_co_u32_e32 v12, vcc, v12, v16, vcc
	;; [unrolled: 3-line block ×8, first 2 shown]
	v_add_co_u32_e32 v25, vcc, s2, v0
	v_lshlrev_b32_e32 v33, 1, v25
	s_lshl_b32 s6, s2, 1
	s_mul_i32 s7, s2, 3
	s_lshl_b32 s35, s2, 3
	v_addc_co_u32_e64 v26, s[2:3], 0, 0, vcc
	v_mov_b32_e32 v28, s13
	v_add_co_u32_e32 v27, vcc, s12, v33
	v_addc_co_u32_e32 v28, vcc, 0, v28, vcc
	v_mov_b32_e32 v30, s15
	v_add_co_u32_e32 v29, vcc, s14, v33
	v_addc_co_u32_e32 v30, vcc, 0, v30, vcc
	v_mov_b32_e32 v32, s17
	v_add_co_u32_e32 v31, vcc, s16, v33
	v_addc_co_u32_e32 v32, vcc, 0, v32, vcc
	v_mov_b32_e32 v34, s19
	v_add_co_u32_e32 v33, vcc, s18, v33
	v_addc_co_u32_e32 v34, vcc, 0, v34, vcc
	v_add_co_u32_e32 v35, vcc, s7, v0
	v_addc_co_u32_e64 v36, s[2:3], 0, 0, vcc
	v_add_co_u32_e32 v37, vcc, s6, v0
	v_cmp_eq_f32_e64 s[0:1], s33, 1.0
	s_mov_b64 s[28:29], 0
	s_movk_i32 s36, 0x7fff
	v_addc_co_u32_e64 v38, s[2:3], 0, 0, vcc
	v_mov_b32_e32 v39, 0x7fc0
	s_branch .LBB98_4
.LBB98_3:                               ;   in Loop: Header=BB98_4 Depth=1
	s_or_b64 exec, exec, s[2:3]
	v_add_co_u32_e32 v17, vcc, s35, v17
	v_addc_co_u32_e32 v18, vcc, 0, v18, vcc
	v_add_co_u32_e32 v19, vcc, s35, v19
	v_addc_co_u32_e32 v20, vcc, 0, v20, vcc
	;; [unrolled: 2-line block ×14, first 2 shown]
	s_add_u32 s28, s28, s34
	v_add_co_u32_e32 v31, vcc, s35, v31
	v_mov_b32_e32 v41, s25
	s_addc_u32 s29, s29, 0
	v_addc_co_u32_e32 v32, vcc, 0, v32, vcc
	v_mov_b32_e32 v40, s24
	v_cmp_lt_i64_e32 vcc, s[28:29], v[40:41]
	v_add_co_u32_e64 v33, s[2:3], s35, v33
	v_addc_co_u32_e64 v34, s[2:3], 0, v34, s[2:3]
	s_cbranch_vccz .LBB98_28
.LBB98_4:                               ; =>This Inner Loop Header: Depth=1
	v_mov_b32_e32 v41, s29
	v_add_co_u32_e32 v40, vcc, s28, v0
	v_addc_co_u32_e32 v41, vcc, 0, v41, vcc
	v_cmp_gt_u64_e32 vcc, s[26:27], v[40:41]
	v_mov_b32_e32 v41, 0
	v_mov_b32_e32 v40, 0
	s_and_saveexec_b64 s[6:7], vcc
	s_cbranch_execz .LBB98_6
; %bb.5:                                ;   in Loop: Header=BB98_4 Depth=1
	v_mov_b32_e32 v43, s21
	v_add_co_u32_e64 v40, s[2:3], s20, v17
	v_addc_co_u32_e64 v41, s[2:3], v18, v43, s[2:3]
	v_add_co_u32_e64 v42, s[2:3], s20, v19
	v_addc_co_u32_e64 v43, s[2:3], v20, v43, s[2:3]
	global_load_ushort v44, v[42:43], off
	global_load_ushort v45, v[40:41], off
	s_waitcnt vmcnt(1)
	v_lshlrev_b32_e32 v41, 16, v44
	s_waitcnt vmcnt(0)
	v_lshlrev_b32_e32 v40, 16, v45
.LBB98_6:                               ;   in Loop: Header=BB98_4 Depth=1
	s_or_b64 exec, exec, s[6:7]
	v_mov_b32_e32 v42, 0
	v_mov_b32_e32 v43, 0
	s_and_saveexec_b64 s[6:7], vcc
	s_cbranch_execz .LBB98_8
; %bb.7:                                ;   in Loop: Header=BB98_4 Depth=1
	v_mov_b32_e32 v44, s21
	v_add_co_u32_e64 v43, s[2:3], s20, v21
	v_addc_co_u32_e64 v44, s[2:3], v22, v44, s[2:3]
	global_load_ushort v43, v[43:44], off
	s_waitcnt vmcnt(0)
	v_lshlrev_b32_e32 v43, 16, v43
.LBB98_8:                               ;   in Loop: Header=BB98_4 Depth=1
	s_or_b64 exec, exec, s[6:7]
	v_mov_b32_e32 v45, s29
	v_add_co_u32_e64 v44, s[2:3], s28, v25
	v_addc_co_u32_e64 v45, s[2:3], v26, v45, s[2:3]
	v_cmp_gt_u64_e64 s[2:3], s[26:27], v[44:45]
	v_mov_b32_e32 v44, 0
	s_and_saveexec_b64 s[8:9], s[2:3]
	s_cbranch_execz .LBB98_10
; %bb.9:                                ;   in Loop: Header=BB98_4 Depth=1
	v_mov_b32_e32 v42, s21
	v_add_co_u32_e64 v44, s[6:7], s20, v27
	v_addc_co_u32_e64 v45, s[6:7], v28, v42, s[6:7]
	v_add_co_u32_e64 v46, s[6:7], s20, v29
	v_addc_co_u32_e64 v47, s[6:7], v30, v42, s[6:7]
	global_load_ushort v42, v[46:47], off
	global_load_ushort v48, v[44:45], off
	s_waitcnt vmcnt(1)
	v_lshlrev_b32_e32 v42, 16, v42
	s_waitcnt vmcnt(0)
	v_lshlrev_b32_e32 v44, 16, v48
.LBB98_10:                              ;   in Loop: Header=BB98_4 Depth=1
	s_or_b64 exec, exec, s[8:9]
	v_mov_b32_e32 v45, 0
	v_mov_b32_e32 v46, 0
	s_and_saveexec_b64 s[8:9], s[2:3]
	s_cbranch_execz .LBB98_12
; %bb.11:                               ;   in Loop: Header=BB98_4 Depth=1
	v_mov_b32_e32 v47, s21
	v_add_co_u32_e64 v46, s[6:7], s20, v31
	v_addc_co_u32_e64 v47, s[6:7], v32, v47, s[6:7]
	global_load_ushort v46, v[46:47], off
	s_waitcnt vmcnt(0)
	v_lshlrev_b32_e32 v46, 16, v46
.LBB98_12:                              ;   in Loop: Header=BB98_4 Depth=1
	s_or_b64 exec, exec, s[8:9]
	v_mov_b32_e32 v48, s29
	v_add_co_u32_e64 v47, s[6:7], s28, v37
	v_addc_co_u32_e64 v48, s[6:7], v38, v48, s[6:7]
	v_cmp_gt_u64_e64 s[6:7], s[26:27], v[47:48]
	v_mov_b32_e32 v47, 0
	s_and_saveexec_b64 s[10:11], s[6:7]
	s_cbranch_execz .LBB98_14
; %bb.13:                               ;   in Loop: Header=BB98_4 Depth=1
	v_mov_b32_e32 v45, s21
	v_add_co_u32_e64 v47, s[8:9], s20, v9
	v_addc_co_u32_e64 v48, s[8:9], v10, v45, s[8:9]
	v_add_co_u32_e64 v49, s[8:9], s20, v11
	v_addc_co_u32_e64 v50, s[8:9], v12, v45, s[8:9]
	global_load_ushort v45, v[49:50], off
	global_load_ushort v51, v[47:48], off
	s_waitcnt vmcnt(1)
	v_lshlrev_b32_e32 v45, 16, v45
	s_waitcnt vmcnt(0)
	v_lshlrev_b32_e32 v47, 16, v51
.LBB98_14:                              ;   in Loop: Header=BB98_4 Depth=1
	s_or_b64 exec, exec, s[10:11]
	v_mov_b32_e32 v48, 0
	v_mov_b32_e32 v49, 0
	s_and_saveexec_b64 s[10:11], s[6:7]
	s_cbranch_execz .LBB98_16
; %bb.15:                               ;   in Loop: Header=BB98_4 Depth=1
	v_mov_b32_e32 v50, s21
	v_add_co_u32_e64 v49, s[8:9], s20, v13
	v_addc_co_u32_e64 v50, s[8:9], v14, v50, s[8:9]
	global_load_ushort v49, v[49:50], off
	s_waitcnt vmcnt(0)
	v_lshlrev_b32_e32 v49, 16, v49
.LBB98_16:                              ;   in Loop: Header=BB98_4 Depth=1
	s_or_b64 exec, exec, s[10:11]
	v_mov_b32_e32 v51, s29
	v_add_co_u32_e64 v50, s[8:9], s28, v35
	v_addc_co_u32_e64 v51, s[8:9], v36, v51, s[8:9]
	v_cmp_gt_u64_e64 s[8:9], s[26:27], v[50:51]
	v_mov_b32_e32 v50, 0
	s_and_saveexec_b64 s[30:31], s[8:9]
	s_cbranch_execnz .LBB98_22
; %bb.17:                               ;   in Loop: Header=BB98_4 Depth=1
	s_or_b64 exec, exec, s[30:31]
	v_mov_b32_e32 v51, 0
	s_and_saveexec_b64 s[30:31], s[8:9]
	s_cbranch_execnz .LBB98_23
.LBB98_18:                              ;   in Loop: Header=BB98_4 Depth=1
	s_or_b64 exec, exec, s[30:31]
	s_and_saveexec_b64 s[10:11], vcc
	s_cbranch_execnz .LBB98_24
.LBB98_19:                              ;   in Loop: Header=BB98_4 Depth=1
	s_or_b64 exec, exec, s[10:11]
	s_and_saveexec_b64 s[10:11], s[2:3]
	s_cbranch_execnz .LBB98_25
.LBB98_20:                              ;   in Loop: Header=BB98_4 Depth=1
	s_or_b64 exec, exec, s[10:11]
	s_and_saveexec_b64 s[2:3], s[6:7]
	s_cbranch_execnz .LBB98_26
.LBB98_21:                              ;   in Loop: Header=BB98_4 Depth=1
	s_or_b64 exec, exec, s[2:3]
	s_and_saveexec_b64 s[2:3], s[8:9]
	s_cbranch_execz .LBB98_3
	s_branch .LBB98_27
.LBB98_22:                              ;   in Loop: Header=BB98_4 Depth=1
	v_mov_b32_e32 v48, s21
	v_add_co_u32_e64 v50, s[10:11], s20, v1
	v_addc_co_u32_e64 v51, s[10:11], v2, v48, s[10:11]
	v_add_co_u32_e64 v52, s[10:11], s20, v3
	v_addc_co_u32_e64 v53, s[10:11], v4, v48, s[10:11]
	global_load_ushort v48, v[52:53], off
	global_load_ushort v54, v[50:51], off
	s_waitcnt vmcnt(1)
	v_lshlrev_b32_e32 v48, 16, v48
	s_waitcnt vmcnt(0)
	v_lshlrev_b32_e32 v50, 16, v54
	s_or_b64 exec, exec, s[30:31]
	v_mov_b32_e32 v51, 0
	s_and_saveexec_b64 s[30:31], s[8:9]
	s_cbranch_execz .LBB98_18
.LBB98_23:                              ;   in Loop: Header=BB98_4 Depth=1
	v_mov_b32_e32 v52, s21
	v_add_co_u32_e64 v51, s[10:11], s20, v5
	v_addc_co_u32_e64 v52, s[10:11], v6, v52, s[10:11]
	global_load_ushort v51, v[51:52], off
	s_waitcnt vmcnt(0)
	v_lshlrev_b32_e32 v51, 16, v51
	s_or_b64 exec, exec, s[30:31]
	s_and_saveexec_b64 s[10:11], vcc
	s_cbranch_execz .LBB98_19
.LBB98_24:                              ;   in Loop: Header=BB98_4 Depth=1
	v_fma_f32 v52, v41, v43, v40
	v_mul_f32_e32 v41, v41, v43
	v_fmac_f32_e32 v40, s33, v41
	v_cndmask_b32_e64 v40, v40, v52, s[0:1]
	v_bfe_u32 v41, v40, 16, 1
	v_add3_u32 v41, v40, v41, s36
	v_cmp_o_f32_e32 vcc, v40, v40
	v_cndmask_b32_sdwa v43, v39, v41, vcc dst_sel:DWORD dst_unused:UNUSED_PAD src0_sel:DWORD src1_sel:WORD_1
	v_mov_b32_e32 v41, s21
	v_add_co_u32_e32 v40, vcc, s20, v23
	v_addc_co_u32_e32 v41, vcc, v24, v41, vcc
	global_store_short v[40:41], v43, off
	s_or_b64 exec, exec, s[10:11]
	s_and_saveexec_b64 s[10:11], s[2:3]
	s_cbranch_execz .LBB98_20
.LBB98_25:                              ;   in Loop: Header=BB98_4 Depth=1
	v_mul_f32_e32 v41, v42, v46
	v_fma_f32 v40, v42, v46, v44
	v_fmac_f32_e32 v44, s33, v41
	v_cndmask_b32_e64 v42, v44, v40, s[0:1]
	v_bfe_u32 v40, v42, 16, 1
	v_add3_u32 v43, v42, v40, s36
	v_mov_b32_e32 v41, s21
	v_add_co_u32_e32 v40, vcc, s20, v33
	v_addc_co_u32_e32 v41, vcc, v34, v41, vcc
	v_cmp_o_f32_e32 vcc, v42, v42
	v_cndmask_b32_sdwa v42, v39, v43, vcc dst_sel:DWORD dst_unused:UNUSED_PAD src0_sel:DWORD src1_sel:WORD_1
	global_store_short v[40:41], v42, off
	s_or_b64 exec, exec, s[10:11]
	s_and_saveexec_b64 s[2:3], s[6:7]
	s_cbranch_execz .LBB98_21
.LBB98_26:                              ;   in Loop: Header=BB98_4 Depth=1
	v_mul_f32_e32 v41, v45, v49
	v_fma_f32 v40, v45, v49, v47
	v_fmac_f32_e32 v47, s33, v41
	v_cndmask_b32_e64 v42, v47, v40, s[0:1]
	v_bfe_u32 v40, v42, 16, 1
	v_add3_u32 v43, v42, v40, s36
	v_mov_b32_e32 v41, s21
	v_add_co_u32_e32 v40, vcc, s20, v15
	v_addc_co_u32_e32 v41, vcc, v16, v41, vcc
	v_cmp_o_f32_e32 vcc, v42, v42
	v_cndmask_b32_sdwa v42, v39, v43, vcc dst_sel:DWORD dst_unused:UNUSED_PAD src0_sel:DWORD src1_sel:WORD_1
	global_store_short v[40:41], v42, off
	s_or_b64 exec, exec, s[2:3]
	s_and_saveexec_b64 s[2:3], s[8:9]
	s_cbranch_execz .LBB98_3
.LBB98_27:                              ;   in Loop: Header=BB98_4 Depth=1
	v_mul_f32_e32 v41, v48, v51
	v_fma_f32 v40, v48, v51, v50
	v_fmac_f32_e32 v50, s33, v41
	v_cndmask_b32_e64 v42, v50, v40, s[0:1]
	v_bfe_u32 v40, v42, 16, 1
	v_add3_u32 v43, v42, v40, s36
	v_mov_b32_e32 v41, s21
	v_add_co_u32_e32 v40, vcc, s20, v7
	v_addc_co_u32_e32 v41, vcc, v8, v41, vcc
	v_cmp_o_f32_e32 vcc, v42, v42
	v_cndmask_b32_sdwa v42, v39, v43, vcc dst_sel:DWORD dst_unused:UNUSED_PAD src0_sel:DWORD src1_sel:WORD_1
	global_store_short v[40:41], v42, off
	s_branch .LBB98_3
.LBB98_28:
	s_mov_b64 s[0:1], 0
.LBB98_29:
	s_andn2_b64 vcc, exec, s[0:1]
	s_cbranch_vccnz .LBB98_33
; %bb.30:
	v_mov_b32_e32 v1, 0x10000
	v_mov_b32_e32 v2, 0
	v_cmp_lt_i64_e32 vcc, s[22:23], v[1:2]
	v_mov_b32_e32 v2, 0
	s_and_b64 s[0:1], vcc, exec
	s_cselect_b32 s7, s23, 0
	s_cselect_b32 s6, s22, 0x10000
	v_lshlrev_b32_e32 v1, 2, v0
	v_cmp_gt_i64_e32 vcc, s[6:7], v[1:2]
	s_and_saveexec_b64 s[0:1], vcc
	s_cbranch_execz .LBB98_33
; %bb.31:
	s_load_dword s0, s[4:5], 0xc84
	v_mov_b32_e32 v1, v2
	v_lshlrev_b32_e32 v2, 3, v0
	v_mov_b32_e32 v3, s21
	s_waitcnt lgkmcnt(0)
	v_cmp_eq_f32_e64 vcc, s33, 1.0
	s_and_b32 s10, s0, 0xffff
	v_add_co_u32_e64 v2, s[0:1], s20, v2
	v_addc_co_u32_e64 v3, s[0:1], 0, v3, s[0:1]
	s_lshl_b32 s11, s10, 3
	s_mov_b64 s[8:9], 0
	v_mov_b32_e32 v4, s13
	v_mov_b32_e32 v5, s15
	;; [unrolled: 1-line block ×3, first 2 shown]
	s_movk_i32 s13, 0x7fff
	v_mov_b32_e32 v7, 0x7fc0
	v_mov_b32_e32 v8, 0x7fc00000
	;; [unrolled: 1-line block ×3, first 2 shown]
.LBB98_32:                              ; =>This Inner Loop Header: Depth=1
	v_add_co_u32_e64 v10, s[0:1], s12, v2
	v_addc_co_u32_e64 v11, s[0:1], v4, v3, s[0:1]
	v_add_co_u32_e64 v12, s[0:1], s14, v2
	v_addc_co_u32_e64 v13, s[0:1], v5, v3, s[0:1]
	;; [unrolled: 2-line block ×3, first 2 shown]
	global_load_dwordx2 v[16:17], v[12:13], off
	global_load_dwordx2 v[18:19], v[14:15], off
	;; [unrolled: 1-line block ×3, first 2 shown]
	v_add_co_u32_e64 v10, s[0:1], s18, v2
	v_addc_co_u32_e64 v11, s[0:1], v9, v3, s[0:1]
	v_add_co_u32_e64 v0, s[0:1], s10, v0
	v_addc_co_u32_e64 v1, s[0:1], 0, v1, s[0:1]
	v_add_co_u32_e64 v2, s[0:1], s11, v2
	v_lshlrev_b64 v[12:13], 2, v[0:1]
	v_addc_co_u32_e64 v3, s[0:1], 0, v3, s[0:1]
	v_cmp_le_i64_e64 s[0:1], s[6:7], v[12:13]
	s_or_b64 s[8:9], s[0:1], s[8:9]
	s_waitcnt vmcnt(2)
	v_lshlrev_b32_e32 v13, 16, v16
	s_waitcnt vmcnt(1)
	v_lshlrev_b32_e32 v14, 16, v18
	;; [unrolled: 2-line block ×3, first 2 shown]
	v_and_b32_e32 v15, 0xffff0000, v20
	v_and_b32_e32 v22, 0xffff0000, v16
	;; [unrolled: 1-line block ×3, first 2 shown]
	v_alignbit_b32 v20, v21, v20, 16
	v_alignbit_b32 v16, v17, v16, 16
	;; [unrolled: 1-line block ×3, first 2 shown]
	v_and_b32_e32 v21, 0xffff0000, v21
	v_and_b32_e32 v17, 0xffff0000, v17
	;; [unrolled: 1-line block ×3, first 2 shown]
	v_fma_f32 v24, v13, v14, v12
	v_mul_f32_e32 v13, v13, v14
	v_fma_f32 v14, v22, v23, v15
	v_mul_f32_e32 v22, v22, v23
	v_and_b32_e32 v20, 0xffff0000, v20
	v_and_b32_e32 v16, 0xffff0000, v16
	;; [unrolled: 1-line block ×3, first 2 shown]
	v_fma_f32 v23, v17, v19, v21
	v_mul_f32_e32 v17, v17, v19
	v_fmac_f32_e32 v12, s33, v13
	v_fmac_f32_e32 v15, s33, v22
	v_fma_f32 v13, v16, v18, v20
	v_mul_f32_e32 v16, v16, v18
	v_fmac_f32_e32 v21, s33, v17
	v_cndmask_b32_e32 v12, v12, v24, vcc
	v_cndmask_b32_e32 v14, v15, v14, vcc
	v_fmac_f32_e32 v20, s33, v16
	v_cndmask_b32_e32 v15, v21, v23, vcc
	v_bfe_u32 v16, v12, 16, 1
	v_bfe_u32 v17, v14, 16, 1
	v_cndmask_b32_e32 v13, v20, v13, vcc
	v_bfe_u32 v18, v15, 16, 1
	v_add3_u32 v16, v12, v16, s13
	v_add3_u32 v17, v14, v17, s13
	v_bfe_u32 v19, v13, 16, 1
	v_add3_u32 v18, v15, v18, s13
	v_lshrrev_b32_e32 v16, 16, v16
	v_and_b32_e32 v17, 0xffff0000, v17
	v_cmp_o_f32_e64 s[0:1], v14, v14
	v_add3_u32 v14, v13, v19, s13
	v_cmp_o_f32_e64 s[4:5], v12, v12
	v_and_b32_e32 v18, 0xffff0000, v18
	v_cmp_o_f32_e64 s[2:3], v15, v15
	v_cndmask_b32_e64 v12, v7, v16, s[4:5]
	v_cndmask_b32_e64 v15, v8, v17, s[0:1]
	v_lshrrev_b32_e32 v14, 16, v14
	v_cmp_o_f32_e64 s[0:1], v13, v13
	v_cndmask_b32_e64 v16, v8, v18, s[2:3]
	v_cndmask_b32_e64 v13, v7, v14, s[0:1]
	v_or_b32_e32 v12, v12, v15
	v_or3_b32 v13, 0, v13, v16
	v_or3_b32 v12, v12, 0, 0
	global_store_dwordx2 v[10:11], v[12:13], off
	s_andn2_b64 exec, exec, s[8:9]
	s_cbranch_execnz .LBB98_32
.LBB98_33:
	s_endpgm
	.section	.rodata,"a",@progbits
	.p2align	6, 0x0
	.amdhsa_kernel _ZN2at6native12_GLOBAL__N_125multi_tensor_apply_kernelINS1_28TensorListScalarListMetadataIfLi4EEENS1_28PointwiseOpScalarListFunctorIN3c108BFloat16ELi4ELi3ELi3EEEJSt10multipliesIfEEEEvT_T0_DpT1_
		.amdhsa_group_segment_fixed_size 0
		.amdhsa_private_segment_fixed_size 0
		.amdhsa_kernarg_size 3448
		.amdhsa_user_sgpr_count 6
		.amdhsa_user_sgpr_private_segment_buffer 1
		.amdhsa_user_sgpr_dispatch_ptr 0
		.amdhsa_user_sgpr_queue_ptr 0
		.amdhsa_user_sgpr_kernarg_segment_ptr 1
		.amdhsa_user_sgpr_dispatch_id 0
		.amdhsa_user_sgpr_flat_scratch_init 0
		.amdhsa_user_sgpr_private_segment_size 0
		.amdhsa_uses_dynamic_stack 0
		.amdhsa_system_sgpr_private_segment_wavefront_offset 0
		.amdhsa_system_sgpr_workgroup_id_x 1
		.amdhsa_system_sgpr_workgroup_id_y 0
		.amdhsa_system_sgpr_workgroup_id_z 0
		.amdhsa_system_sgpr_workgroup_info 0
		.amdhsa_system_vgpr_workitem_id 0
		.amdhsa_next_free_vgpr 55
		.amdhsa_next_free_sgpr 37
		.amdhsa_reserve_vcc 1
		.amdhsa_reserve_flat_scratch 0
		.amdhsa_float_round_mode_32 0
		.amdhsa_float_round_mode_16_64 0
		.amdhsa_float_denorm_mode_32 3
		.amdhsa_float_denorm_mode_16_64 3
		.amdhsa_dx10_clamp 1
		.amdhsa_ieee_mode 1
		.amdhsa_fp16_overflow 0
		.amdhsa_exception_fp_ieee_invalid_op 0
		.amdhsa_exception_fp_denorm_src 0
		.amdhsa_exception_fp_ieee_div_zero 0
		.amdhsa_exception_fp_ieee_overflow 0
		.amdhsa_exception_fp_ieee_underflow 0
		.amdhsa_exception_fp_ieee_inexact 0
		.amdhsa_exception_int_div_zero 0
	.end_amdhsa_kernel
	.section	.text._ZN2at6native12_GLOBAL__N_125multi_tensor_apply_kernelINS1_28TensorListScalarListMetadataIfLi4EEENS1_28PointwiseOpScalarListFunctorIN3c108BFloat16ELi4ELi3ELi3EEEJSt10multipliesIfEEEEvT_T0_DpT1_,"axG",@progbits,_ZN2at6native12_GLOBAL__N_125multi_tensor_apply_kernelINS1_28TensorListScalarListMetadataIfLi4EEENS1_28PointwiseOpScalarListFunctorIN3c108BFloat16ELi4ELi3ELi3EEEJSt10multipliesIfEEEEvT_T0_DpT1_,comdat
.Lfunc_end98:
	.size	_ZN2at6native12_GLOBAL__N_125multi_tensor_apply_kernelINS1_28TensorListScalarListMetadataIfLi4EEENS1_28PointwiseOpScalarListFunctorIN3c108BFloat16ELi4ELi3ELi3EEEJSt10multipliesIfEEEEvT_T0_DpT1_, .Lfunc_end98-_ZN2at6native12_GLOBAL__N_125multi_tensor_apply_kernelINS1_28TensorListScalarListMetadataIfLi4EEENS1_28PointwiseOpScalarListFunctorIN3c108BFloat16ELi4ELi3ELi3EEEJSt10multipliesIfEEEEvT_T0_DpT1_
                                        ; -- End function
	.set _ZN2at6native12_GLOBAL__N_125multi_tensor_apply_kernelINS1_28TensorListScalarListMetadataIfLi4EEENS1_28PointwiseOpScalarListFunctorIN3c108BFloat16ELi4ELi3ELi3EEEJSt10multipliesIfEEEEvT_T0_DpT1_.num_vgpr, 55
	.set _ZN2at6native12_GLOBAL__N_125multi_tensor_apply_kernelINS1_28TensorListScalarListMetadataIfLi4EEENS1_28PointwiseOpScalarListFunctorIN3c108BFloat16ELi4ELi3ELi3EEEJSt10multipliesIfEEEEvT_T0_DpT1_.num_agpr, 0
	.set _ZN2at6native12_GLOBAL__N_125multi_tensor_apply_kernelINS1_28TensorListScalarListMetadataIfLi4EEENS1_28PointwiseOpScalarListFunctorIN3c108BFloat16ELi4ELi3ELi3EEEJSt10multipliesIfEEEEvT_T0_DpT1_.numbered_sgpr, 37
	.set _ZN2at6native12_GLOBAL__N_125multi_tensor_apply_kernelINS1_28TensorListScalarListMetadataIfLi4EEENS1_28PointwiseOpScalarListFunctorIN3c108BFloat16ELi4ELi3ELi3EEEJSt10multipliesIfEEEEvT_T0_DpT1_.num_named_barrier, 0
	.set _ZN2at6native12_GLOBAL__N_125multi_tensor_apply_kernelINS1_28TensorListScalarListMetadataIfLi4EEENS1_28PointwiseOpScalarListFunctorIN3c108BFloat16ELi4ELi3ELi3EEEJSt10multipliesIfEEEEvT_T0_DpT1_.private_seg_size, 0
	.set _ZN2at6native12_GLOBAL__N_125multi_tensor_apply_kernelINS1_28TensorListScalarListMetadataIfLi4EEENS1_28PointwiseOpScalarListFunctorIN3c108BFloat16ELi4ELi3ELi3EEEJSt10multipliesIfEEEEvT_T0_DpT1_.uses_vcc, 1
	.set _ZN2at6native12_GLOBAL__N_125multi_tensor_apply_kernelINS1_28TensorListScalarListMetadataIfLi4EEENS1_28PointwiseOpScalarListFunctorIN3c108BFloat16ELi4ELi3ELi3EEEJSt10multipliesIfEEEEvT_T0_DpT1_.uses_flat_scratch, 0
	.set _ZN2at6native12_GLOBAL__N_125multi_tensor_apply_kernelINS1_28TensorListScalarListMetadataIfLi4EEENS1_28PointwiseOpScalarListFunctorIN3c108BFloat16ELi4ELi3ELi3EEEJSt10multipliesIfEEEEvT_T0_DpT1_.has_dyn_sized_stack, 0
	.set _ZN2at6native12_GLOBAL__N_125multi_tensor_apply_kernelINS1_28TensorListScalarListMetadataIfLi4EEENS1_28PointwiseOpScalarListFunctorIN3c108BFloat16ELi4ELi3ELi3EEEJSt10multipliesIfEEEEvT_T0_DpT1_.has_recursion, 0
	.set _ZN2at6native12_GLOBAL__N_125multi_tensor_apply_kernelINS1_28TensorListScalarListMetadataIfLi4EEENS1_28PointwiseOpScalarListFunctorIN3c108BFloat16ELi4ELi3ELi3EEEJSt10multipliesIfEEEEvT_T0_DpT1_.has_indirect_call, 0
	.section	.AMDGPU.csdata,"",@progbits
; Kernel info:
; codeLenInByte = 2580
; TotalNumSgprs: 41
; NumVgprs: 55
; ScratchSize: 0
; MemoryBound: 0
; FloatMode: 240
; IeeeMode: 1
; LDSByteSize: 0 bytes/workgroup (compile time only)
; SGPRBlocks: 5
; VGPRBlocks: 13
; NumSGPRsForWavesPerEU: 41
; NumVGPRsForWavesPerEU: 55
; Occupancy: 4
; WaveLimiterHint : 0
; COMPUTE_PGM_RSRC2:SCRATCH_EN: 0
; COMPUTE_PGM_RSRC2:USER_SGPR: 6
; COMPUTE_PGM_RSRC2:TRAP_HANDLER: 0
; COMPUTE_PGM_RSRC2:TGID_X_EN: 1
; COMPUTE_PGM_RSRC2:TGID_Y_EN: 0
; COMPUTE_PGM_RSRC2:TGID_Z_EN: 0
; COMPUTE_PGM_RSRC2:TIDIG_COMP_CNT: 0
	.section	.text._ZN2at6native12_GLOBAL__N_125multi_tensor_apply_kernelINS1_28TensorListScalarListMetadataIhLi3EEENS1_28PointwiseOpScalarListFunctorIhLi3ELi3ELi0EEEJSt10multipliesIhEEEEvT_T0_DpT1_,"axG",@progbits,_ZN2at6native12_GLOBAL__N_125multi_tensor_apply_kernelINS1_28TensorListScalarListMetadataIhLi3EEENS1_28PointwiseOpScalarListFunctorIhLi3ELi3ELi0EEEJSt10multipliesIhEEEEvT_T0_DpT1_,comdat
	.globl	_ZN2at6native12_GLOBAL__N_125multi_tensor_apply_kernelINS1_28TensorListScalarListMetadataIhLi3EEENS1_28PointwiseOpScalarListFunctorIhLi3ELi3ELi0EEEJSt10multipliesIhEEEEvT_T0_DpT1_ ; -- Begin function _ZN2at6native12_GLOBAL__N_125multi_tensor_apply_kernelINS1_28TensorListScalarListMetadataIhLi3EEENS1_28PointwiseOpScalarListFunctorIhLi3ELi3ELi0EEEJSt10multipliesIhEEEEvT_T0_DpT1_
	.p2align	8
	.type	_ZN2at6native12_GLOBAL__N_125multi_tensor_apply_kernelINS1_28TensorListScalarListMetadataIhLi3EEENS1_28PointwiseOpScalarListFunctorIhLi3ELi3ELi0EEEJSt10multipliesIhEEEEvT_T0_DpT1_,@function
_ZN2at6native12_GLOBAL__N_125multi_tensor_apply_kernelINS1_28TensorListScalarListMetadataIhLi3EEENS1_28PointwiseOpScalarListFunctorIhLi3ELi3ELi0EEEJSt10multipliesIhEEEEvT_T0_DpT1_: ; @_ZN2at6native12_GLOBAL__N_125multi_tensor_apply_kernelINS1_28TensorListScalarListMetadataIhLi3EEENS1_28PointwiseOpScalarListFunctorIhLi3ELi3ELi0EEEJSt10multipliesIhEEEEvT_T0_DpT1_
; %bb.0:
	v_mov_b32_e32 v1, s6
	global_load_ubyte v3, v1, s[4:5] offset:1584
	s_add_u32 s0, s4, s6
	s_addc_u32 s1, s5, 0
	s_mul_hi_u32 s2, s6, 3
	s_mul_i32 s6, s6, 3
	s_add_u32 s0, s0, s6
	s_addc_u32 s1, s1, s2
	v_mov_b32_e32 v2, s5
	s_load_dword s0, s[0:1], 0x770
	s_mov_b32 s3, 0
	s_waitcnt lgkmcnt(0)
	s_ashr_i32 s1, s0, 31
	s_lshl_b64 s[16:17], s[0:1], 16
	s_waitcnt vmcnt(0)
	v_add_co_u32_e32 v1, vcc, s4, v3
	v_addc_co_u32_e32 v2, vcc, 0, v2, vcc
	global_load_ubyte v4, v[1:2], off offset:1536
	v_readfirstlane_b32 s2, v3
	s_lshl_b32 s2, s2, 3
	s_load_dwordx2 s[10:11], s[4:5], s2 offset:0x0
	s_load_dwordx2 s[6:7], s[4:5], s2 offset:0x480
	s_load_dwordx2 s[12:13], s[4:5], s2 offset:0x180
	s_load_dwordx2 s[14:15], s[4:5], s2 offset:0x300
	s_waitcnt lgkmcnt(0)
	s_add_u32 s0, s10, s16
	s_addc_u32 s1, s11, s17
	s_add_u32 s2, s12, s16
	s_or_b32 s2, s14, s2
	s_and_b32 s2, s2, 3
	s_cmp_eq_u32 s2, 0
	s_cselect_b64 s[8:9], -1, 0
	s_sub_u32 s18, s6, s16
	s_subb_u32 s19, s7, s17
	s_or_b64 s[0:1], s[6:7], s[0:1]
	s_and_b32 s2, s0, 3
	s_cmp_eq_u64 s[2:3], 0
	s_cselect_b64 s[0:1], -1, 0
	s_and_b64 s[2:3], s[8:9], s[0:1]
	s_mov_b64 s[0:1], -1
	s_and_b64 vcc, exec, s[2:3]
	s_cbranch_vccnz .LBB99_29
; %bb.1:
	v_cmp_lt_i64_e64 s[0:1], s[18:19], 1
	s_and_b64 vcc, exec, s[0:1]
	s_cbranch_vccnz .LBB99_28
; %bb.2:
	v_mov_b32_e32 v1, 0x10000
	s_load_dword s2, s[4:5], 0xc84
	v_mov_b32_e32 v2, 0
	v_cmp_lt_i64_e32 vcc, s[18:19], v[1:2]
	v_mov_b32_e32 v5, s11
	s_and_b64 s[0:1], vcc, exec
	v_cmp_lt_u64_e32 vcc, s[18:19], v[1:2]
	s_cselect_b32 s21, s19, 0
	s_cselect_b32 s20, s18, 0x10000
	s_waitcnt lgkmcnt(0)
	s_and_b32 s2, s2, 0xffff
	s_and_b64 s[0:1], vcc, exec
	v_mov_b32_e32 v1, s17
	v_add_co_u32_e32 v20, vcc, s16, v0
	s_cselect_b32 s23, s19, 0
	s_cselect_b32 s22, s18, 0x10000
	s_lshl_b32 s3, s2, 1
	s_mul_i32 s0, s2, 3
	s_lshl_b32 s28, s2, 2
	v_addc_co_u32_e32 v21, vcc, 0, v1, vcc
	v_mov_b32_e32 v2, s11
	v_add_co_u32_e32 v1, vcc, s10, v20
	s_add_u32 s1, s16, s0
	v_addc_co_u32_e32 v2, vcc, v2, v21, vcc
	s_addc_u32 s6, s17, 0
	v_mov_b32_e32 v3, s6
	v_add_co_u32_e32 v8, vcc, s1, v0
	v_addc_co_u32_e32 v9, vcc, 0, v3, vcc
	v_add_co_u32_e32 v3, vcc, s10, v8
	v_addc_co_u32_e32 v5, vcc, v5, v9, vcc
	v_mov_b32_e32 v7, s13
	v_add_co_u32_e32 v6, vcc, s12, v8
	v_addc_co_u32_e32 v7, vcc, v7, v9, vcc
	v_mov_b32_e32 v10, s15
	v_add_co_u32_e32 v8, vcc, s14, v8
	s_add_u32 s1, s16, s3
	v_addc_co_u32_e32 v9, vcc, v10, v9, vcc
	s_addc_u32 s6, s17, 0
	v_mov_b32_e32 v10, s6
	v_add_co_u32_e32 v14, vcc, s1, v0
	v_addc_co_u32_e32 v15, vcc, 0, v10, vcc
	v_mov_b32_e32 v11, s11
	v_add_co_u32_e32 v10, vcc, s10, v14
	v_addc_co_u32_e32 v11, vcc, v11, v15, vcc
	;; [unrolled: 3-line block ×6, first 2 shown]
	v_add_co_u32_e32 v24, vcc, s2, v20
	v_addc_co_u32_e32 v25, vcc, 0, v21, vcc
	v_mov_b32_e32 v21, s11
	v_add_co_u32_e32 v20, vcc, s10, v24
	v_addc_co_u32_e32 v21, vcc, v21, v25, vcc
	v_mov_b32_e32 v23, s13
	;; [unrolled: 3-line block ×3, first 2 shown]
	v_add_co_u32_e32 v24, vcc, s14, v24
	v_addc_co_u32_e32 v25, vcc, v26, v25, vcc
	v_add_co_u32_e32 v26, vcc, s0, v0
	v_addc_co_u32_e64 v27, s[0:1], 0, 0, vcc
	v_add_co_u32_e32 v28, vcc, s3, v0
	v_addc_co_u32_e64 v29, s[0:1], 0, 0, vcc
	v_add_co_u32_e32 v30, vcc, s2, v0
	s_mov_b64 s[24:25], 0
	v_addc_co_u32_e64 v31, s[0:1], 0, 0, vcc
	s_branch .LBB99_4
.LBB99_3:                               ;   in Loop: Header=BB99_4 Depth=1
	s_or_b64 exec, exec, s[0:1]
	s_add_u32 s24, s24, s28
	s_waitcnt vmcnt(0)
	v_mov_b32_e32 v33, s21
	s_addc_u32 s25, s25, 0
	v_mov_b32_e32 v32, s20
	v_cmp_lt_i64_e32 vcc, s[24:25], v[32:33]
	s_cbranch_vccz .LBB99_28
.LBB99_4:                               ; =>This Inner Loop Header: Depth=1
	v_mov_b32_e32 v33, s25
	v_add_co_u32_e32 v32, vcc, s24, v0
	v_addc_co_u32_e32 v33, vcc, 0, v33, vcc
	v_cmp_gt_u64_e32 vcc, s[22:23], v[32:33]
	v_mov_b32_e32 v33, 0
	v_mov_b32_e32 v32, 0
	s_and_saveexec_b64 s[2:3], vcc
	s_cbranch_execz .LBB99_6
; %bb.5:                                ;   in Loop: Header=BB99_4 Depth=1
	v_mov_b32_e32 v32, s25
	v_add_co_u32_e64 v34, s[0:1], s24, v1
	v_addc_co_u32_e64 v35, s[0:1], v2, v32, s[0:1]
	v_add_co_u32_e64 v36, s[0:1], s24, v16
	v_addc_co_u32_e64 v37, s[0:1], v17, v32, s[0:1]
	global_load_ubyte v32, v[34:35], off
	global_load_ubyte v33, v[36:37], off
.LBB99_6:                               ;   in Loop: Header=BB99_4 Depth=1
	s_or_b64 exec, exec, s[2:3]
	v_mov_b32_e32 v34, 0
	v_mov_b32_e32 v35, 0
	s_and_saveexec_b64 s[2:3], vcc
	s_cbranch_execz .LBB99_8
; %bb.7:                                ;   in Loop: Header=BB99_4 Depth=1
	v_mov_b32_e32 v36, s25
	v_add_co_u32_e64 v35, s[0:1], s24, v18
	v_addc_co_u32_e64 v36, s[0:1], v19, v36, s[0:1]
	global_load_ubyte v35, v[35:36], off
.LBB99_8:                               ;   in Loop: Header=BB99_4 Depth=1
	s_or_b64 exec, exec, s[2:3]
	v_mov_b32_e32 v37, s25
	v_add_co_u32_e64 v36, s[0:1], s24, v30
	v_addc_co_u32_e64 v37, s[0:1], v31, v37, s[0:1]
	v_cmp_gt_u64_e64 s[0:1], s[22:23], v[36:37]
	v_mov_b32_e32 v36, 0
	s_and_saveexec_b64 s[6:7], s[0:1]
	s_cbranch_execz .LBB99_10
; %bb.9:                                ;   in Loop: Header=BB99_4 Depth=1
	v_mov_b32_e32 v34, s25
	v_add_co_u32_e64 v37, s[2:3], s24, v22
	v_addc_co_u32_e64 v38, s[2:3], v23, v34, s[2:3]
	v_add_co_u32_e64 v39, s[2:3], s24, v20
	v_addc_co_u32_e64 v40, s[2:3], v21, v34, s[2:3]
	global_load_ubyte v36, v[39:40], off
	global_load_ubyte v34, v[37:38], off
.LBB99_10:                              ;   in Loop: Header=BB99_4 Depth=1
	s_or_b64 exec, exec, s[6:7]
	v_mov_b32_e32 v37, 0
	v_mov_b32_e32 v38, 0
	s_and_saveexec_b64 s[6:7], s[0:1]
	s_cbranch_execz .LBB99_12
; %bb.11:                               ;   in Loop: Header=BB99_4 Depth=1
	v_mov_b32_e32 v39, s25
	v_add_co_u32_e64 v38, s[2:3], s24, v24
	v_addc_co_u32_e64 v39, s[2:3], v25, v39, s[2:3]
	global_load_ubyte v38, v[38:39], off
.LBB99_12:                              ;   in Loop: Header=BB99_4 Depth=1
	s_or_b64 exec, exec, s[6:7]
	v_mov_b32_e32 v40, s25
	v_add_co_u32_e64 v39, s[2:3], s24, v28
	v_addc_co_u32_e64 v40, s[2:3], v29, v40, s[2:3]
	v_cmp_gt_u64_e64 s[2:3], s[22:23], v[39:40]
	v_mov_b32_e32 v39, 0
	s_and_saveexec_b64 s[8:9], s[2:3]
	s_cbranch_execz .LBB99_14
; %bb.13:                               ;   in Loop: Header=BB99_4 Depth=1
	v_mov_b32_e32 v37, s25
	v_add_co_u32_e64 v40, s[6:7], s24, v12
	v_addc_co_u32_e64 v41, s[6:7], v13, v37, s[6:7]
	v_add_co_u32_e64 v42, s[6:7], s24, v10
	v_addc_co_u32_e64 v43, s[6:7], v11, v37, s[6:7]
	global_load_ubyte v39, v[42:43], off
	global_load_ubyte v37, v[40:41], off
.LBB99_14:                              ;   in Loop: Header=BB99_4 Depth=1
	s_or_b64 exec, exec, s[8:9]
	v_mov_b32_e32 v40, 0
	v_mov_b32_e32 v41, 0
	s_and_saveexec_b64 s[8:9], s[2:3]
	s_cbranch_execz .LBB99_16
; %bb.15:                               ;   in Loop: Header=BB99_4 Depth=1
	v_mov_b32_e32 v42, s25
	v_add_co_u32_e64 v41, s[6:7], s24, v14
	v_addc_co_u32_e64 v42, s[6:7], v15, v42, s[6:7]
	global_load_ubyte v41, v[41:42], off
.LBB99_16:                              ;   in Loop: Header=BB99_4 Depth=1
	s_or_b64 exec, exec, s[8:9]
	v_mov_b32_e32 v43, s25
	v_add_co_u32_e64 v42, s[6:7], s24, v26
	v_addc_co_u32_e64 v43, s[6:7], v27, v43, s[6:7]
	v_cmp_gt_u64_e64 s[6:7], s[22:23], v[42:43]
	v_mov_b32_e32 v42, 0
	s_and_saveexec_b64 s[26:27], s[6:7]
	s_cbranch_execnz .LBB99_22
; %bb.17:                               ;   in Loop: Header=BB99_4 Depth=1
	s_or_b64 exec, exec, s[26:27]
	v_mov_b32_e32 v43, 0
	s_and_saveexec_b64 s[26:27], s[6:7]
	s_cbranch_execnz .LBB99_23
.LBB99_18:                              ;   in Loop: Header=BB99_4 Depth=1
	s_or_b64 exec, exec, s[26:27]
	s_and_saveexec_b64 s[8:9], vcc
	s_cbranch_execnz .LBB99_24
.LBB99_19:                              ;   in Loop: Header=BB99_4 Depth=1
	s_or_b64 exec, exec, s[8:9]
	s_and_saveexec_b64 s[8:9], s[0:1]
	s_cbranch_execnz .LBB99_25
.LBB99_20:                              ;   in Loop: Header=BB99_4 Depth=1
	s_or_b64 exec, exec, s[8:9]
	s_and_saveexec_b64 s[0:1], s[2:3]
	s_cbranch_execnz .LBB99_26
.LBB99_21:                              ;   in Loop: Header=BB99_4 Depth=1
	s_or_b64 exec, exec, s[0:1]
	s_and_saveexec_b64 s[0:1], s[6:7]
	s_cbranch_execz .LBB99_3
	s_branch .LBB99_27
.LBB99_22:                              ;   in Loop: Header=BB99_4 Depth=1
	v_mov_b32_e32 v40, s25
	v_add_co_u32_e64 v43, s[8:9], s24, v6
	v_addc_co_u32_e64 v44, s[8:9], v7, v40, s[8:9]
	v_add_co_u32_e64 v45, s[8:9], s24, v3
	v_addc_co_u32_e64 v46, s[8:9], v5, v40, s[8:9]
	global_load_ubyte v42, v[45:46], off
	global_load_ubyte v40, v[43:44], off
	s_or_b64 exec, exec, s[26:27]
	v_mov_b32_e32 v43, 0
	s_and_saveexec_b64 s[26:27], s[6:7]
	s_cbranch_execz .LBB99_18
.LBB99_23:                              ;   in Loop: Header=BB99_4 Depth=1
	v_mov_b32_e32 v44, s25
	v_add_co_u32_e64 v43, s[8:9], s24, v8
	v_addc_co_u32_e64 v44, s[8:9], v9, v44, s[8:9]
	global_load_ubyte v43, v[43:44], off
	s_or_b64 exec, exec, s[26:27]
	s_and_saveexec_b64 s[8:9], vcc
	s_cbranch_execz .LBB99_19
.LBB99_24:                              ;   in Loop: Header=BB99_4 Depth=1
	s_waitcnt vmcnt(0)
	v_mul_lo_u16_e32 v33, v33, v4
	v_mad_legacy_u16 v35, v33, v35, v32
	v_mov_b32_e32 v33, s25
	v_add_co_u32_e32 v32, vcc, s24, v1
	v_addc_co_u32_e32 v33, vcc, v2, v33, vcc
	global_store_byte v[32:33], v35, off
	s_or_b64 exec, exec, s[8:9]
	s_and_saveexec_b64 s[8:9], s[0:1]
	s_cbranch_execz .LBB99_20
.LBB99_25:                              ;   in Loop: Header=BB99_4 Depth=1
	s_waitcnt vmcnt(0)
	v_mul_lo_u16_e32 v32, v34, v4
	v_mad_legacy_u16 v34, v32, v38, v36
	v_mov_b32_e32 v33, s25
	v_add_co_u32_e32 v32, vcc, s24, v20
	v_addc_co_u32_e32 v33, vcc, v21, v33, vcc
	global_store_byte v[32:33], v34, off
	s_or_b64 exec, exec, s[8:9]
	s_and_saveexec_b64 s[0:1], s[2:3]
	s_cbranch_execz .LBB99_21
.LBB99_26:                              ;   in Loop: Header=BB99_4 Depth=1
	s_waitcnt vmcnt(0)
	v_mul_lo_u16_e32 v32, v37, v4
	v_mad_legacy_u16 v34, v32, v41, v39
	v_mov_b32_e32 v33, s25
	v_add_co_u32_e32 v32, vcc, s24, v10
	v_addc_co_u32_e32 v33, vcc, v11, v33, vcc
	global_store_byte v[32:33], v34, off
	s_or_b64 exec, exec, s[0:1]
	s_and_saveexec_b64 s[0:1], s[6:7]
	s_cbranch_execz .LBB99_3
.LBB99_27:                              ;   in Loop: Header=BB99_4 Depth=1
	s_waitcnt vmcnt(0)
	v_mul_lo_u16_e32 v32, v40, v4
	v_mad_legacy_u16 v34, v32, v43, v42
	v_mov_b32_e32 v33, s25
	v_add_co_u32_e32 v32, vcc, s24, v3
	v_addc_co_u32_e32 v33, vcc, v5, v33, vcc
	global_store_byte v[32:33], v34, off
	s_branch .LBB99_3
.LBB99_28:
	s_mov_b64 s[0:1], 0
.LBB99_29:
	s_andn2_b64 vcc, exec, s[0:1]
	s_cbranch_vccnz .LBB99_33
; %bb.30:
	v_mov_b32_e32 v1, 0x10000
	v_mov_b32_e32 v2, 0
	v_cmp_lt_i64_e32 vcc, s[18:19], v[1:2]
	v_mov_b32_e32 v3, 0
	s_and_b64 s[0:1], vcc, exec
	s_cselect_b32 s1, s19, 0
	s_cselect_b32 s0, s18, 0x10000
	v_lshlrev_b32_e32 v2, 2, v0
	v_cmp_gt_i64_e32 vcc, s[0:1], v[2:3]
	s_and_saveexec_b64 s[2:3], vcc
	s_cbranch_execz .LBB99_33
; %bb.31:
	s_load_dword s2, s[4:5], 0xc84
	v_mov_b32_e32 v1, v3
	v_mov_b32_e32 v3, s17
	v_add_co_u32_e32 v2, vcc, s16, v2
	s_waitcnt lgkmcnt(0)
	s_and_b32 s4, s2, 0xffff
	v_addc_co_u32_e32 v3, vcc, 0, v3, vcc
	s_lshl_b32 s5, s4, 2
	s_mov_b64 s[2:3], 0
	v_mov_b32_e32 v5, s11
	v_mov_b32_e32 v6, s13
	;; [unrolled: 1-line block ×3, first 2 shown]
	s_mov_b32 s6, 0x6050400
.LBB99_32:                              ; =>This Inner Loop Header: Depth=1
	v_add_co_u32_e32 v8, vcc, s10, v2
	v_addc_co_u32_e32 v9, vcc, v5, v3, vcc
	v_add_co_u32_e32 v10, vcc, s12, v2
	v_addc_co_u32_e32 v11, vcc, v6, v3, vcc
	;; [unrolled: 2-line block ×3, first 2 shown]
	global_load_dword v14, v[10:11], off
	global_load_dword v15, v[8:9], off
	;; [unrolled: 1-line block ×3, first 2 shown]
	v_add_co_u32_e32 v0, vcc, s4, v0
	v_addc_co_u32_e32 v1, vcc, 0, v1, vcc
	v_add_co_u32_e32 v2, vcc, s5, v2
	v_lshlrev_b64 v[10:11], 2, v[0:1]
	v_addc_co_u32_e32 v3, vcc, 0, v3, vcc
	v_cmp_le_i64_e32 vcc, s[0:1], v[10:11]
	s_or_b64 s[2:3], vcc, s[2:3]
	s_waitcnt vmcnt(2)
	v_lshrrev_b32_e32 v12, 8, v14
	v_mul_lo_u16_e32 v10, v4, v14
	s_waitcnt vmcnt(1)
	v_lshrrev_b32_e32 v11, 8, v15
	s_waitcnt vmcnt(0)
	v_lshrrev_b32_e32 v13, 8, v16
	v_lshrrev_b32_e32 v17, 16, v15
	v_lshrrev_b32_e32 v18, 16, v16
	v_mul_lo_u16_sdwa v19, v4, v14 dst_sel:DWORD dst_unused:UNUSED_PAD src0_sel:DWORD src1_sel:WORD_1
	v_mul_lo_u16_e32 v12, v4, v12
	v_lshrrev_b32_e32 v20, 24, v15
	v_lshrrev_b32_e32 v21, 24, v16
	v_mul_lo_u16_sdwa v14, v4, v14 dst_sel:DWORD dst_unused:UNUSED_PAD src0_sel:DWORD src1_sel:BYTE_3
	v_mad_legacy_u16 v10, v10, v16, v15
	v_mad_legacy_u16 v15, v19, v18, v17
	;; [unrolled: 1-line block ×4, first 2 shown]
	v_and_b32_e32 v12, 0xff, v15
	v_and_b32_e32 v11, 0xff, v11
	v_lshlrev_b32_e32 v13, 24, v14
	v_lshlrev_b32_e32 v12, 16, v12
	v_perm_b32 v10, v11, v10, s6
	v_or3_b32 v10, v10, v12, v13
	global_store_dword v[8:9], v10, off
	s_andn2_b64 exec, exec, s[2:3]
	s_cbranch_execnz .LBB99_32
.LBB99_33:
	s_endpgm
	.section	.rodata,"a",@progbits
	.p2align	6, 0x0
	.amdhsa_kernel _ZN2at6native12_GLOBAL__N_125multi_tensor_apply_kernelINS1_28TensorListScalarListMetadataIhLi3EEENS1_28PointwiseOpScalarListFunctorIhLi3ELi3ELi0EEEJSt10multipliesIhEEEEvT_T0_DpT1_
		.amdhsa_group_segment_fixed_size 0
		.amdhsa_private_segment_fixed_size 0
		.amdhsa_kernarg_size 3448
		.amdhsa_user_sgpr_count 6
		.amdhsa_user_sgpr_private_segment_buffer 1
		.amdhsa_user_sgpr_dispatch_ptr 0
		.amdhsa_user_sgpr_queue_ptr 0
		.amdhsa_user_sgpr_kernarg_segment_ptr 1
		.amdhsa_user_sgpr_dispatch_id 0
		.amdhsa_user_sgpr_flat_scratch_init 0
		.amdhsa_user_sgpr_private_segment_size 0
		.amdhsa_uses_dynamic_stack 0
		.amdhsa_system_sgpr_private_segment_wavefront_offset 0
		.amdhsa_system_sgpr_workgroup_id_x 1
		.amdhsa_system_sgpr_workgroup_id_y 0
		.amdhsa_system_sgpr_workgroup_id_z 0
		.amdhsa_system_sgpr_workgroup_info 0
		.amdhsa_system_vgpr_workitem_id 0
		.amdhsa_next_free_vgpr 47
		.amdhsa_next_free_sgpr 29
		.amdhsa_reserve_vcc 1
		.amdhsa_reserve_flat_scratch 0
		.amdhsa_float_round_mode_32 0
		.amdhsa_float_round_mode_16_64 0
		.amdhsa_float_denorm_mode_32 3
		.amdhsa_float_denorm_mode_16_64 3
		.amdhsa_dx10_clamp 1
		.amdhsa_ieee_mode 1
		.amdhsa_fp16_overflow 0
		.amdhsa_exception_fp_ieee_invalid_op 0
		.amdhsa_exception_fp_denorm_src 0
		.amdhsa_exception_fp_ieee_div_zero 0
		.amdhsa_exception_fp_ieee_overflow 0
		.amdhsa_exception_fp_ieee_underflow 0
		.amdhsa_exception_fp_ieee_inexact 0
		.amdhsa_exception_int_div_zero 0
	.end_amdhsa_kernel
	.section	.text._ZN2at6native12_GLOBAL__N_125multi_tensor_apply_kernelINS1_28TensorListScalarListMetadataIhLi3EEENS1_28PointwiseOpScalarListFunctorIhLi3ELi3ELi0EEEJSt10multipliesIhEEEEvT_T0_DpT1_,"axG",@progbits,_ZN2at6native12_GLOBAL__N_125multi_tensor_apply_kernelINS1_28TensorListScalarListMetadataIhLi3EEENS1_28PointwiseOpScalarListFunctorIhLi3ELi3ELi0EEEJSt10multipliesIhEEEEvT_T0_DpT1_,comdat
.Lfunc_end99:
	.size	_ZN2at6native12_GLOBAL__N_125multi_tensor_apply_kernelINS1_28TensorListScalarListMetadataIhLi3EEENS1_28PointwiseOpScalarListFunctorIhLi3ELi3ELi0EEEJSt10multipliesIhEEEEvT_T0_DpT1_, .Lfunc_end99-_ZN2at6native12_GLOBAL__N_125multi_tensor_apply_kernelINS1_28TensorListScalarListMetadataIhLi3EEENS1_28PointwiseOpScalarListFunctorIhLi3ELi3ELi0EEEJSt10multipliesIhEEEEvT_T0_DpT1_
                                        ; -- End function
	.set _ZN2at6native12_GLOBAL__N_125multi_tensor_apply_kernelINS1_28TensorListScalarListMetadataIhLi3EEENS1_28PointwiseOpScalarListFunctorIhLi3ELi3ELi0EEEJSt10multipliesIhEEEEvT_T0_DpT1_.num_vgpr, 47
	.set _ZN2at6native12_GLOBAL__N_125multi_tensor_apply_kernelINS1_28TensorListScalarListMetadataIhLi3EEENS1_28PointwiseOpScalarListFunctorIhLi3ELi3ELi0EEEJSt10multipliesIhEEEEvT_T0_DpT1_.num_agpr, 0
	.set _ZN2at6native12_GLOBAL__N_125multi_tensor_apply_kernelINS1_28TensorListScalarListMetadataIhLi3EEENS1_28PointwiseOpScalarListFunctorIhLi3ELi3ELi0EEEJSt10multipliesIhEEEEvT_T0_DpT1_.numbered_sgpr, 29
	.set _ZN2at6native12_GLOBAL__N_125multi_tensor_apply_kernelINS1_28TensorListScalarListMetadataIhLi3EEENS1_28PointwiseOpScalarListFunctorIhLi3ELi3ELi0EEEJSt10multipliesIhEEEEvT_T0_DpT1_.num_named_barrier, 0
	.set _ZN2at6native12_GLOBAL__N_125multi_tensor_apply_kernelINS1_28TensorListScalarListMetadataIhLi3EEENS1_28PointwiseOpScalarListFunctorIhLi3ELi3ELi0EEEJSt10multipliesIhEEEEvT_T0_DpT1_.private_seg_size, 0
	.set _ZN2at6native12_GLOBAL__N_125multi_tensor_apply_kernelINS1_28TensorListScalarListMetadataIhLi3EEENS1_28PointwiseOpScalarListFunctorIhLi3ELi3ELi0EEEJSt10multipliesIhEEEEvT_T0_DpT1_.uses_vcc, 1
	.set _ZN2at6native12_GLOBAL__N_125multi_tensor_apply_kernelINS1_28TensorListScalarListMetadataIhLi3EEENS1_28PointwiseOpScalarListFunctorIhLi3ELi3ELi0EEEJSt10multipliesIhEEEEvT_T0_DpT1_.uses_flat_scratch, 0
	.set _ZN2at6native12_GLOBAL__N_125multi_tensor_apply_kernelINS1_28TensorListScalarListMetadataIhLi3EEENS1_28PointwiseOpScalarListFunctorIhLi3ELi3ELi0EEEJSt10multipliesIhEEEEvT_T0_DpT1_.has_dyn_sized_stack, 0
	.set _ZN2at6native12_GLOBAL__N_125multi_tensor_apply_kernelINS1_28TensorListScalarListMetadataIhLi3EEENS1_28PointwiseOpScalarListFunctorIhLi3ELi3ELi0EEEJSt10multipliesIhEEEEvT_T0_DpT1_.has_recursion, 0
	.set _ZN2at6native12_GLOBAL__N_125multi_tensor_apply_kernelINS1_28TensorListScalarListMetadataIhLi3EEENS1_28PointwiseOpScalarListFunctorIhLi3ELi3ELi0EEEJSt10multipliesIhEEEEvT_T0_DpT1_.has_indirect_call, 0
	.section	.AMDGPU.csdata,"",@progbits
; Kernel info:
; codeLenInByte = 1764
; TotalNumSgprs: 33
; NumVgprs: 47
; ScratchSize: 0
; MemoryBound: 0
; FloatMode: 240
; IeeeMode: 1
; LDSByteSize: 0 bytes/workgroup (compile time only)
; SGPRBlocks: 4
; VGPRBlocks: 11
; NumSGPRsForWavesPerEU: 33
; NumVGPRsForWavesPerEU: 47
; Occupancy: 5
; WaveLimiterHint : 0
; COMPUTE_PGM_RSRC2:SCRATCH_EN: 0
; COMPUTE_PGM_RSRC2:USER_SGPR: 6
; COMPUTE_PGM_RSRC2:TRAP_HANDLER: 0
; COMPUTE_PGM_RSRC2:TGID_X_EN: 1
; COMPUTE_PGM_RSRC2:TGID_Y_EN: 0
; COMPUTE_PGM_RSRC2:TGID_Z_EN: 0
; COMPUTE_PGM_RSRC2:TIDIG_COMP_CNT: 0
	.section	.text._ZN2at6native12_GLOBAL__N_125multi_tensor_apply_kernelINS1_28TensorListScalarListMetadataIaLi3EEENS1_28PointwiseOpScalarListFunctorIaLi3ELi3ELi0EEEJSt10multipliesIaEEEEvT_T0_DpT1_,"axG",@progbits,_ZN2at6native12_GLOBAL__N_125multi_tensor_apply_kernelINS1_28TensorListScalarListMetadataIaLi3EEENS1_28PointwiseOpScalarListFunctorIaLi3ELi3ELi0EEEJSt10multipliesIaEEEEvT_T0_DpT1_,comdat
	.globl	_ZN2at6native12_GLOBAL__N_125multi_tensor_apply_kernelINS1_28TensorListScalarListMetadataIaLi3EEENS1_28PointwiseOpScalarListFunctorIaLi3ELi3ELi0EEEJSt10multipliesIaEEEEvT_T0_DpT1_ ; -- Begin function _ZN2at6native12_GLOBAL__N_125multi_tensor_apply_kernelINS1_28TensorListScalarListMetadataIaLi3EEENS1_28PointwiseOpScalarListFunctorIaLi3ELi3ELi0EEEJSt10multipliesIaEEEEvT_T0_DpT1_
	.p2align	8
	.type	_ZN2at6native12_GLOBAL__N_125multi_tensor_apply_kernelINS1_28TensorListScalarListMetadataIaLi3EEENS1_28PointwiseOpScalarListFunctorIaLi3ELi3ELi0EEEJSt10multipliesIaEEEEvT_T0_DpT1_,@function
_ZN2at6native12_GLOBAL__N_125multi_tensor_apply_kernelINS1_28TensorListScalarListMetadataIaLi3EEENS1_28PointwiseOpScalarListFunctorIaLi3ELi3ELi0EEEJSt10multipliesIaEEEEvT_T0_DpT1_: ; @_ZN2at6native12_GLOBAL__N_125multi_tensor_apply_kernelINS1_28TensorListScalarListMetadataIaLi3EEENS1_28PointwiseOpScalarListFunctorIaLi3ELi3ELi0EEEJSt10multipliesIaEEEEvT_T0_DpT1_
; %bb.0:
	v_mov_b32_e32 v1, s6
	global_load_ubyte v3, v1, s[4:5] offset:1584
	s_add_u32 s0, s4, s6
	s_addc_u32 s1, s5, 0
	s_mul_hi_u32 s2, s6, 3
	s_mul_i32 s6, s6, 3
	s_add_u32 s0, s0, s6
	s_addc_u32 s1, s1, s2
	v_mov_b32_e32 v2, s5
	s_load_dword s0, s[0:1], 0x770
	s_mov_b32 s3, 0
	s_waitcnt lgkmcnt(0)
	s_ashr_i32 s1, s0, 31
	s_lshl_b64 s[16:17], s[0:1], 16
	s_waitcnt vmcnt(0)
	v_add_co_u32_e32 v1, vcc, s4, v3
	v_addc_co_u32_e32 v2, vcc, 0, v2, vcc
	global_load_ubyte v4, v[1:2], off offset:1536
	v_readfirstlane_b32 s2, v3
	s_lshl_b32 s2, s2, 3
	s_load_dwordx2 s[10:11], s[4:5], s2 offset:0x0
	s_load_dwordx2 s[6:7], s[4:5], s2 offset:0x480
	;; [unrolled: 1-line block ×4, first 2 shown]
	s_waitcnt lgkmcnt(0)
	s_add_u32 s0, s10, s16
	s_addc_u32 s1, s11, s17
	s_add_u32 s2, s12, s16
	s_or_b32 s2, s14, s2
	s_and_b32 s2, s2, 3
	s_cmp_eq_u32 s2, 0
	s_cselect_b64 s[8:9], -1, 0
	s_sub_u32 s18, s6, s16
	s_subb_u32 s19, s7, s17
	s_or_b64 s[0:1], s[6:7], s[0:1]
	s_and_b32 s2, s0, 3
	s_cmp_eq_u64 s[2:3], 0
	s_cselect_b64 s[0:1], -1, 0
	s_and_b64 s[2:3], s[8:9], s[0:1]
	s_mov_b64 s[0:1], -1
	s_and_b64 vcc, exec, s[2:3]
	s_cbranch_vccnz .LBB100_29
; %bb.1:
	v_cmp_lt_i64_e64 s[0:1], s[18:19], 1
	s_and_b64 vcc, exec, s[0:1]
	s_cbranch_vccnz .LBB100_28
; %bb.2:
	v_mov_b32_e32 v1, 0x10000
	s_load_dword s2, s[4:5], 0xc84
	v_mov_b32_e32 v2, 0
	v_cmp_lt_i64_e32 vcc, s[18:19], v[1:2]
	v_mov_b32_e32 v5, s11
	s_and_b64 s[0:1], vcc, exec
	v_cmp_lt_u64_e32 vcc, s[18:19], v[1:2]
	s_cselect_b32 s21, s19, 0
	s_cselect_b32 s20, s18, 0x10000
	s_waitcnt lgkmcnt(0)
	s_and_b32 s2, s2, 0xffff
	s_and_b64 s[0:1], vcc, exec
	v_mov_b32_e32 v1, s17
	v_add_co_u32_e32 v20, vcc, s16, v0
	s_cselect_b32 s23, s19, 0
	s_cselect_b32 s22, s18, 0x10000
	s_lshl_b32 s3, s2, 1
	s_mul_i32 s0, s2, 3
	s_lshl_b32 s28, s2, 2
	v_addc_co_u32_e32 v21, vcc, 0, v1, vcc
	v_mov_b32_e32 v2, s11
	v_add_co_u32_e32 v1, vcc, s10, v20
	s_add_u32 s1, s16, s0
	v_addc_co_u32_e32 v2, vcc, v2, v21, vcc
	s_addc_u32 s6, s17, 0
	v_mov_b32_e32 v3, s6
	v_add_co_u32_e32 v8, vcc, s1, v0
	v_addc_co_u32_e32 v9, vcc, 0, v3, vcc
	v_add_co_u32_e32 v3, vcc, s10, v8
	v_addc_co_u32_e32 v5, vcc, v5, v9, vcc
	v_mov_b32_e32 v7, s13
	v_add_co_u32_e32 v6, vcc, s12, v8
	v_addc_co_u32_e32 v7, vcc, v7, v9, vcc
	v_mov_b32_e32 v10, s15
	v_add_co_u32_e32 v8, vcc, s14, v8
	s_add_u32 s1, s16, s3
	v_addc_co_u32_e32 v9, vcc, v10, v9, vcc
	s_addc_u32 s6, s17, 0
	v_mov_b32_e32 v10, s6
	v_add_co_u32_e32 v14, vcc, s1, v0
	v_addc_co_u32_e32 v15, vcc, 0, v10, vcc
	v_mov_b32_e32 v11, s11
	v_add_co_u32_e32 v10, vcc, s10, v14
	v_addc_co_u32_e32 v11, vcc, v11, v15, vcc
	;; [unrolled: 3-line block ×6, first 2 shown]
	v_add_co_u32_e32 v24, vcc, s2, v20
	v_addc_co_u32_e32 v25, vcc, 0, v21, vcc
	v_mov_b32_e32 v21, s11
	v_add_co_u32_e32 v20, vcc, s10, v24
	v_addc_co_u32_e32 v21, vcc, v21, v25, vcc
	v_mov_b32_e32 v23, s13
	;; [unrolled: 3-line block ×3, first 2 shown]
	v_add_co_u32_e32 v24, vcc, s14, v24
	v_addc_co_u32_e32 v25, vcc, v26, v25, vcc
	v_add_co_u32_e32 v26, vcc, s0, v0
	v_addc_co_u32_e64 v27, s[0:1], 0, 0, vcc
	v_add_co_u32_e32 v28, vcc, s3, v0
	v_addc_co_u32_e64 v29, s[0:1], 0, 0, vcc
	v_add_co_u32_e32 v30, vcc, s2, v0
	s_mov_b64 s[24:25], 0
	v_addc_co_u32_e64 v31, s[0:1], 0, 0, vcc
	s_branch .LBB100_4
.LBB100_3:                              ;   in Loop: Header=BB100_4 Depth=1
	s_or_b64 exec, exec, s[0:1]
	s_add_u32 s24, s24, s28
	s_waitcnt vmcnt(0)
	v_mov_b32_e32 v33, s21
	s_addc_u32 s25, s25, 0
	v_mov_b32_e32 v32, s20
	v_cmp_lt_i64_e32 vcc, s[24:25], v[32:33]
	s_cbranch_vccz .LBB100_28
.LBB100_4:                              ; =>This Inner Loop Header: Depth=1
	v_mov_b32_e32 v33, s25
	v_add_co_u32_e32 v32, vcc, s24, v0
	v_addc_co_u32_e32 v33, vcc, 0, v33, vcc
	v_cmp_gt_u64_e32 vcc, s[22:23], v[32:33]
	v_mov_b32_e32 v33, 0
	v_mov_b32_e32 v32, 0
	s_and_saveexec_b64 s[2:3], vcc
	s_cbranch_execz .LBB100_6
; %bb.5:                                ;   in Loop: Header=BB100_4 Depth=1
	v_mov_b32_e32 v32, s25
	v_add_co_u32_e64 v34, s[0:1], s24, v1
	v_addc_co_u32_e64 v35, s[0:1], v2, v32, s[0:1]
	v_add_co_u32_e64 v36, s[0:1], s24, v16
	v_addc_co_u32_e64 v37, s[0:1], v17, v32, s[0:1]
	global_load_ubyte v32, v[34:35], off
	global_load_ubyte v33, v[36:37], off
.LBB100_6:                              ;   in Loop: Header=BB100_4 Depth=1
	s_or_b64 exec, exec, s[2:3]
	v_mov_b32_e32 v34, 0
	v_mov_b32_e32 v35, 0
	s_and_saveexec_b64 s[2:3], vcc
	s_cbranch_execz .LBB100_8
; %bb.7:                                ;   in Loop: Header=BB100_4 Depth=1
	v_mov_b32_e32 v36, s25
	v_add_co_u32_e64 v35, s[0:1], s24, v18
	v_addc_co_u32_e64 v36, s[0:1], v19, v36, s[0:1]
	global_load_ubyte v35, v[35:36], off
.LBB100_8:                              ;   in Loop: Header=BB100_4 Depth=1
	s_or_b64 exec, exec, s[2:3]
	v_mov_b32_e32 v37, s25
	v_add_co_u32_e64 v36, s[0:1], s24, v30
	v_addc_co_u32_e64 v37, s[0:1], v31, v37, s[0:1]
	v_cmp_gt_u64_e64 s[0:1], s[22:23], v[36:37]
	v_mov_b32_e32 v36, 0
	s_and_saveexec_b64 s[6:7], s[0:1]
	s_cbranch_execz .LBB100_10
; %bb.9:                                ;   in Loop: Header=BB100_4 Depth=1
	v_mov_b32_e32 v34, s25
	v_add_co_u32_e64 v37, s[2:3], s24, v22
	v_addc_co_u32_e64 v38, s[2:3], v23, v34, s[2:3]
	v_add_co_u32_e64 v39, s[2:3], s24, v20
	v_addc_co_u32_e64 v40, s[2:3], v21, v34, s[2:3]
	global_load_ubyte v36, v[39:40], off
	global_load_ubyte v34, v[37:38], off
.LBB100_10:                             ;   in Loop: Header=BB100_4 Depth=1
	s_or_b64 exec, exec, s[6:7]
	v_mov_b32_e32 v37, 0
	v_mov_b32_e32 v38, 0
	s_and_saveexec_b64 s[6:7], s[0:1]
	s_cbranch_execz .LBB100_12
; %bb.11:                               ;   in Loop: Header=BB100_4 Depth=1
	v_mov_b32_e32 v39, s25
	v_add_co_u32_e64 v38, s[2:3], s24, v24
	v_addc_co_u32_e64 v39, s[2:3], v25, v39, s[2:3]
	global_load_ubyte v38, v[38:39], off
.LBB100_12:                             ;   in Loop: Header=BB100_4 Depth=1
	s_or_b64 exec, exec, s[6:7]
	v_mov_b32_e32 v40, s25
	v_add_co_u32_e64 v39, s[2:3], s24, v28
	v_addc_co_u32_e64 v40, s[2:3], v29, v40, s[2:3]
	v_cmp_gt_u64_e64 s[2:3], s[22:23], v[39:40]
	v_mov_b32_e32 v39, 0
	s_and_saveexec_b64 s[8:9], s[2:3]
	s_cbranch_execz .LBB100_14
; %bb.13:                               ;   in Loop: Header=BB100_4 Depth=1
	v_mov_b32_e32 v37, s25
	v_add_co_u32_e64 v40, s[6:7], s24, v12
	v_addc_co_u32_e64 v41, s[6:7], v13, v37, s[6:7]
	v_add_co_u32_e64 v42, s[6:7], s24, v10
	v_addc_co_u32_e64 v43, s[6:7], v11, v37, s[6:7]
	global_load_ubyte v39, v[42:43], off
	global_load_ubyte v37, v[40:41], off
.LBB100_14:                             ;   in Loop: Header=BB100_4 Depth=1
	s_or_b64 exec, exec, s[8:9]
	v_mov_b32_e32 v40, 0
	v_mov_b32_e32 v41, 0
	s_and_saveexec_b64 s[8:9], s[2:3]
	s_cbranch_execz .LBB100_16
; %bb.15:                               ;   in Loop: Header=BB100_4 Depth=1
	v_mov_b32_e32 v42, s25
	v_add_co_u32_e64 v41, s[6:7], s24, v14
	v_addc_co_u32_e64 v42, s[6:7], v15, v42, s[6:7]
	global_load_ubyte v41, v[41:42], off
.LBB100_16:                             ;   in Loop: Header=BB100_4 Depth=1
	s_or_b64 exec, exec, s[8:9]
	v_mov_b32_e32 v43, s25
	v_add_co_u32_e64 v42, s[6:7], s24, v26
	v_addc_co_u32_e64 v43, s[6:7], v27, v43, s[6:7]
	v_cmp_gt_u64_e64 s[6:7], s[22:23], v[42:43]
	v_mov_b32_e32 v42, 0
	s_and_saveexec_b64 s[26:27], s[6:7]
	s_cbranch_execnz .LBB100_22
; %bb.17:                               ;   in Loop: Header=BB100_4 Depth=1
	s_or_b64 exec, exec, s[26:27]
	v_mov_b32_e32 v43, 0
	s_and_saveexec_b64 s[26:27], s[6:7]
	s_cbranch_execnz .LBB100_23
.LBB100_18:                             ;   in Loop: Header=BB100_4 Depth=1
	s_or_b64 exec, exec, s[26:27]
	s_and_saveexec_b64 s[8:9], vcc
	s_cbranch_execnz .LBB100_24
.LBB100_19:                             ;   in Loop: Header=BB100_4 Depth=1
	s_or_b64 exec, exec, s[8:9]
	s_and_saveexec_b64 s[8:9], s[0:1]
	s_cbranch_execnz .LBB100_25
.LBB100_20:                             ;   in Loop: Header=BB100_4 Depth=1
	s_or_b64 exec, exec, s[8:9]
	s_and_saveexec_b64 s[0:1], s[2:3]
	s_cbranch_execnz .LBB100_26
.LBB100_21:                             ;   in Loop: Header=BB100_4 Depth=1
	s_or_b64 exec, exec, s[0:1]
	s_and_saveexec_b64 s[0:1], s[6:7]
	s_cbranch_execz .LBB100_3
	s_branch .LBB100_27
.LBB100_22:                             ;   in Loop: Header=BB100_4 Depth=1
	v_mov_b32_e32 v40, s25
	v_add_co_u32_e64 v43, s[8:9], s24, v6
	v_addc_co_u32_e64 v44, s[8:9], v7, v40, s[8:9]
	v_add_co_u32_e64 v45, s[8:9], s24, v3
	v_addc_co_u32_e64 v46, s[8:9], v5, v40, s[8:9]
	global_load_ubyte v42, v[45:46], off
	global_load_ubyte v40, v[43:44], off
	s_or_b64 exec, exec, s[26:27]
	v_mov_b32_e32 v43, 0
	s_and_saveexec_b64 s[26:27], s[6:7]
	s_cbranch_execz .LBB100_18
.LBB100_23:                             ;   in Loop: Header=BB100_4 Depth=1
	v_mov_b32_e32 v44, s25
	v_add_co_u32_e64 v43, s[8:9], s24, v8
	v_addc_co_u32_e64 v44, s[8:9], v9, v44, s[8:9]
	global_load_ubyte v43, v[43:44], off
	s_or_b64 exec, exec, s[26:27]
	s_and_saveexec_b64 s[8:9], vcc
	s_cbranch_execz .LBB100_19
.LBB100_24:                             ;   in Loop: Header=BB100_4 Depth=1
	s_waitcnt vmcnt(0)
	v_mul_lo_u16_e32 v33, v33, v4
	v_mad_legacy_u16 v35, v33, v35, v32
	v_mov_b32_e32 v33, s25
	v_add_co_u32_e32 v32, vcc, s24, v1
	v_addc_co_u32_e32 v33, vcc, v2, v33, vcc
	global_store_byte v[32:33], v35, off
	s_or_b64 exec, exec, s[8:9]
	s_and_saveexec_b64 s[8:9], s[0:1]
	s_cbranch_execz .LBB100_20
.LBB100_25:                             ;   in Loop: Header=BB100_4 Depth=1
	s_waitcnt vmcnt(0)
	v_mul_lo_u16_e32 v32, v34, v4
	v_mad_legacy_u16 v34, v32, v38, v36
	v_mov_b32_e32 v33, s25
	v_add_co_u32_e32 v32, vcc, s24, v20
	v_addc_co_u32_e32 v33, vcc, v21, v33, vcc
	global_store_byte v[32:33], v34, off
	s_or_b64 exec, exec, s[8:9]
	s_and_saveexec_b64 s[0:1], s[2:3]
	s_cbranch_execz .LBB100_21
.LBB100_26:                             ;   in Loop: Header=BB100_4 Depth=1
	s_waitcnt vmcnt(0)
	v_mul_lo_u16_e32 v32, v37, v4
	v_mad_legacy_u16 v34, v32, v41, v39
	v_mov_b32_e32 v33, s25
	v_add_co_u32_e32 v32, vcc, s24, v10
	v_addc_co_u32_e32 v33, vcc, v11, v33, vcc
	global_store_byte v[32:33], v34, off
	s_or_b64 exec, exec, s[0:1]
	s_and_saveexec_b64 s[0:1], s[6:7]
	s_cbranch_execz .LBB100_3
.LBB100_27:                             ;   in Loop: Header=BB100_4 Depth=1
	s_waitcnt vmcnt(0)
	v_mul_lo_u16_e32 v32, v40, v4
	v_mad_legacy_u16 v34, v32, v43, v42
	v_mov_b32_e32 v33, s25
	v_add_co_u32_e32 v32, vcc, s24, v3
	v_addc_co_u32_e32 v33, vcc, v5, v33, vcc
	global_store_byte v[32:33], v34, off
	s_branch .LBB100_3
.LBB100_28:
	s_mov_b64 s[0:1], 0
.LBB100_29:
	s_andn2_b64 vcc, exec, s[0:1]
	s_cbranch_vccnz .LBB100_33
; %bb.30:
	v_mov_b32_e32 v1, 0x10000
	v_mov_b32_e32 v2, 0
	v_cmp_lt_i64_e32 vcc, s[18:19], v[1:2]
	v_mov_b32_e32 v3, 0
	s_and_b64 s[0:1], vcc, exec
	s_cselect_b32 s1, s19, 0
	s_cselect_b32 s0, s18, 0x10000
	v_lshlrev_b32_e32 v2, 2, v0
	v_cmp_gt_i64_e32 vcc, s[0:1], v[2:3]
	s_and_saveexec_b64 s[2:3], vcc
	s_cbranch_execz .LBB100_33
; %bb.31:
	s_load_dword s2, s[4:5], 0xc84
	v_mov_b32_e32 v1, v3
	v_mov_b32_e32 v3, s17
	v_add_co_u32_e32 v2, vcc, s16, v2
	s_waitcnt lgkmcnt(0)
	s_and_b32 s4, s2, 0xffff
	v_addc_co_u32_e32 v3, vcc, 0, v3, vcc
	s_lshl_b32 s5, s4, 2
	s_mov_b64 s[2:3], 0
	v_mov_b32_e32 v5, s11
	v_mov_b32_e32 v6, s13
	;; [unrolled: 1-line block ×3, first 2 shown]
	s_mov_b32 s6, 0x6050400
.LBB100_32:                             ; =>This Inner Loop Header: Depth=1
	v_add_co_u32_e32 v8, vcc, s10, v2
	v_addc_co_u32_e32 v9, vcc, v5, v3, vcc
	v_add_co_u32_e32 v10, vcc, s12, v2
	v_addc_co_u32_e32 v11, vcc, v6, v3, vcc
	;; [unrolled: 2-line block ×3, first 2 shown]
	global_load_dword v14, v[10:11], off
	global_load_dword v15, v[8:9], off
	;; [unrolled: 1-line block ×3, first 2 shown]
	v_add_co_u32_e32 v0, vcc, s4, v0
	v_addc_co_u32_e32 v1, vcc, 0, v1, vcc
	v_add_co_u32_e32 v2, vcc, s5, v2
	v_lshlrev_b64 v[10:11], 2, v[0:1]
	v_addc_co_u32_e32 v3, vcc, 0, v3, vcc
	v_cmp_le_i64_e32 vcc, s[0:1], v[10:11]
	s_or_b64 s[2:3], vcc, s[2:3]
	s_waitcnt vmcnt(2)
	v_lshrrev_b32_e32 v12, 8, v14
	v_mul_lo_u16_e32 v10, v4, v14
	s_waitcnt vmcnt(1)
	v_lshrrev_b32_e32 v11, 8, v15
	s_waitcnt vmcnt(0)
	v_lshrrev_b32_e32 v13, 8, v16
	v_lshrrev_b32_e32 v17, 16, v15
	;; [unrolled: 1-line block ×3, first 2 shown]
	v_mul_lo_u16_sdwa v19, v4, v14 dst_sel:DWORD dst_unused:UNUSED_PAD src0_sel:DWORD src1_sel:WORD_1
	v_mul_lo_u16_e32 v12, v4, v12
	v_lshrrev_b32_e32 v20, 24, v15
	v_lshrrev_b32_e32 v21, 24, v16
	v_mul_lo_u16_sdwa v14, v4, v14 dst_sel:DWORD dst_unused:UNUSED_PAD src0_sel:DWORD src1_sel:BYTE_3
	v_mad_legacy_u16 v10, v10, v16, v15
	v_mad_legacy_u16 v15, v19, v18, v17
	;; [unrolled: 1-line block ×4, first 2 shown]
	v_and_b32_e32 v12, 0xff, v15
	v_and_b32_e32 v11, 0xff, v11
	v_lshlrev_b32_e32 v13, 24, v14
	v_lshlrev_b32_e32 v12, 16, v12
	v_perm_b32 v10, v11, v10, s6
	v_or3_b32 v10, v10, v12, v13
	global_store_dword v[8:9], v10, off
	s_andn2_b64 exec, exec, s[2:3]
	s_cbranch_execnz .LBB100_32
.LBB100_33:
	s_endpgm
	.section	.rodata,"a",@progbits
	.p2align	6, 0x0
	.amdhsa_kernel _ZN2at6native12_GLOBAL__N_125multi_tensor_apply_kernelINS1_28TensorListScalarListMetadataIaLi3EEENS1_28PointwiseOpScalarListFunctorIaLi3ELi3ELi0EEEJSt10multipliesIaEEEEvT_T0_DpT1_
		.amdhsa_group_segment_fixed_size 0
		.amdhsa_private_segment_fixed_size 0
		.amdhsa_kernarg_size 3448
		.amdhsa_user_sgpr_count 6
		.amdhsa_user_sgpr_private_segment_buffer 1
		.amdhsa_user_sgpr_dispatch_ptr 0
		.amdhsa_user_sgpr_queue_ptr 0
		.amdhsa_user_sgpr_kernarg_segment_ptr 1
		.amdhsa_user_sgpr_dispatch_id 0
		.amdhsa_user_sgpr_flat_scratch_init 0
		.amdhsa_user_sgpr_private_segment_size 0
		.amdhsa_uses_dynamic_stack 0
		.amdhsa_system_sgpr_private_segment_wavefront_offset 0
		.amdhsa_system_sgpr_workgroup_id_x 1
		.amdhsa_system_sgpr_workgroup_id_y 0
		.amdhsa_system_sgpr_workgroup_id_z 0
		.amdhsa_system_sgpr_workgroup_info 0
		.amdhsa_system_vgpr_workitem_id 0
		.amdhsa_next_free_vgpr 47
		.amdhsa_next_free_sgpr 29
		.amdhsa_reserve_vcc 1
		.amdhsa_reserve_flat_scratch 0
		.amdhsa_float_round_mode_32 0
		.amdhsa_float_round_mode_16_64 0
		.amdhsa_float_denorm_mode_32 3
		.amdhsa_float_denorm_mode_16_64 3
		.amdhsa_dx10_clamp 1
		.amdhsa_ieee_mode 1
		.amdhsa_fp16_overflow 0
		.amdhsa_exception_fp_ieee_invalid_op 0
		.amdhsa_exception_fp_denorm_src 0
		.amdhsa_exception_fp_ieee_div_zero 0
		.amdhsa_exception_fp_ieee_overflow 0
		.amdhsa_exception_fp_ieee_underflow 0
		.amdhsa_exception_fp_ieee_inexact 0
		.amdhsa_exception_int_div_zero 0
	.end_amdhsa_kernel
	.section	.text._ZN2at6native12_GLOBAL__N_125multi_tensor_apply_kernelINS1_28TensorListScalarListMetadataIaLi3EEENS1_28PointwiseOpScalarListFunctorIaLi3ELi3ELi0EEEJSt10multipliesIaEEEEvT_T0_DpT1_,"axG",@progbits,_ZN2at6native12_GLOBAL__N_125multi_tensor_apply_kernelINS1_28TensorListScalarListMetadataIaLi3EEENS1_28PointwiseOpScalarListFunctorIaLi3ELi3ELi0EEEJSt10multipliesIaEEEEvT_T0_DpT1_,comdat
.Lfunc_end100:
	.size	_ZN2at6native12_GLOBAL__N_125multi_tensor_apply_kernelINS1_28TensorListScalarListMetadataIaLi3EEENS1_28PointwiseOpScalarListFunctorIaLi3ELi3ELi0EEEJSt10multipliesIaEEEEvT_T0_DpT1_, .Lfunc_end100-_ZN2at6native12_GLOBAL__N_125multi_tensor_apply_kernelINS1_28TensorListScalarListMetadataIaLi3EEENS1_28PointwiseOpScalarListFunctorIaLi3ELi3ELi0EEEJSt10multipliesIaEEEEvT_T0_DpT1_
                                        ; -- End function
	.set _ZN2at6native12_GLOBAL__N_125multi_tensor_apply_kernelINS1_28TensorListScalarListMetadataIaLi3EEENS1_28PointwiseOpScalarListFunctorIaLi3ELi3ELi0EEEJSt10multipliesIaEEEEvT_T0_DpT1_.num_vgpr, 47
	.set _ZN2at6native12_GLOBAL__N_125multi_tensor_apply_kernelINS1_28TensorListScalarListMetadataIaLi3EEENS1_28PointwiseOpScalarListFunctorIaLi3ELi3ELi0EEEJSt10multipliesIaEEEEvT_T0_DpT1_.num_agpr, 0
	.set _ZN2at6native12_GLOBAL__N_125multi_tensor_apply_kernelINS1_28TensorListScalarListMetadataIaLi3EEENS1_28PointwiseOpScalarListFunctorIaLi3ELi3ELi0EEEJSt10multipliesIaEEEEvT_T0_DpT1_.numbered_sgpr, 29
	.set _ZN2at6native12_GLOBAL__N_125multi_tensor_apply_kernelINS1_28TensorListScalarListMetadataIaLi3EEENS1_28PointwiseOpScalarListFunctorIaLi3ELi3ELi0EEEJSt10multipliesIaEEEEvT_T0_DpT1_.num_named_barrier, 0
	.set _ZN2at6native12_GLOBAL__N_125multi_tensor_apply_kernelINS1_28TensorListScalarListMetadataIaLi3EEENS1_28PointwiseOpScalarListFunctorIaLi3ELi3ELi0EEEJSt10multipliesIaEEEEvT_T0_DpT1_.private_seg_size, 0
	.set _ZN2at6native12_GLOBAL__N_125multi_tensor_apply_kernelINS1_28TensorListScalarListMetadataIaLi3EEENS1_28PointwiseOpScalarListFunctorIaLi3ELi3ELi0EEEJSt10multipliesIaEEEEvT_T0_DpT1_.uses_vcc, 1
	.set _ZN2at6native12_GLOBAL__N_125multi_tensor_apply_kernelINS1_28TensorListScalarListMetadataIaLi3EEENS1_28PointwiseOpScalarListFunctorIaLi3ELi3ELi0EEEJSt10multipliesIaEEEEvT_T0_DpT1_.uses_flat_scratch, 0
	.set _ZN2at6native12_GLOBAL__N_125multi_tensor_apply_kernelINS1_28TensorListScalarListMetadataIaLi3EEENS1_28PointwiseOpScalarListFunctorIaLi3ELi3ELi0EEEJSt10multipliesIaEEEEvT_T0_DpT1_.has_dyn_sized_stack, 0
	.set _ZN2at6native12_GLOBAL__N_125multi_tensor_apply_kernelINS1_28TensorListScalarListMetadataIaLi3EEENS1_28PointwiseOpScalarListFunctorIaLi3ELi3ELi0EEEJSt10multipliesIaEEEEvT_T0_DpT1_.has_recursion, 0
	.set _ZN2at6native12_GLOBAL__N_125multi_tensor_apply_kernelINS1_28TensorListScalarListMetadataIaLi3EEENS1_28PointwiseOpScalarListFunctorIaLi3ELi3ELi0EEEJSt10multipliesIaEEEEvT_T0_DpT1_.has_indirect_call, 0
	.section	.AMDGPU.csdata,"",@progbits
; Kernel info:
; codeLenInByte = 1764
; TotalNumSgprs: 33
; NumVgprs: 47
; ScratchSize: 0
; MemoryBound: 0
; FloatMode: 240
; IeeeMode: 1
; LDSByteSize: 0 bytes/workgroup (compile time only)
; SGPRBlocks: 4
; VGPRBlocks: 11
; NumSGPRsForWavesPerEU: 33
; NumVGPRsForWavesPerEU: 47
; Occupancy: 5
; WaveLimiterHint : 0
; COMPUTE_PGM_RSRC2:SCRATCH_EN: 0
; COMPUTE_PGM_RSRC2:USER_SGPR: 6
; COMPUTE_PGM_RSRC2:TRAP_HANDLER: 0
; COMPUTE_PGM_RSRC2:TGID_X_EN: 1
; COMPUTE_PGM_RSRC2:TGID_Y_EN: 0
; COMPUTE_PGM_RSRC2:TGID_Z_EN: 0
; COMPUTE_PGM_RSRC2:TIDIG_COMP_CNT: 0
	.section	.text._ZN2at6native12_GLOBAL__N_125multi_tensor_apply_kernelINS1_28TensorListScalarListMetadataIiLi3EEENS1_28PointwiseOpScalarListFunctorIiLi3ELi3ELi0EEEJSt10multipliesIiEEEEvT_T0_DpT1_,"axG",@progbits,_ZN2at6native12_GLOBAL__N_125multi_tensor_apply_kernelINS1_28TensorListScalarListMetadataIiLi3EEENS1_28PointwiseOpScalarListFunctorIiLi3ELi3ELi0EEEJSt10multipliesIiEEEEvT_T0_DpT1_,comdat
	.globl	_ZN2at6native12_GLOBAL__N_125multi_tensor_apply_kernelINS1_28TensorListScalarListMetadataIiLi3EEENS1_28PointwiseOpScalarListFunctorIiLi3ELi3ELi0EEEJSt10multipliesIiEEEEvT_T0_DpT1_ ; -- Begin function _ZN2at6native12_GLOBAL__N_125multi_tensor_apply_kernelINS1_28TensorListScalarListMetadataIiLi3EEENS1_28PointwiseOpScalarListFunctorIiLi3ELi3ELi0EEEJSt10multipliesIiEEEEvT_T0_DpT1_
	.p2align	8
	.type	_ZN2at6native12_GLOBAL__N_125multi_tensor_apply_kernelINS1_28TensorListScalarListMetadataIiLi3EEENS1_28PointwiseOpScalarListFunctorIiLi3ELi3ELi0EEEJSt10multipliesIiEEEEvT_T0_DpT1_,@function
_ZN2at6native12_GLOBAL__N_125multi_tensor_apply_kernelINS1_28TensorListScalarListMetadataIiLi3EEENS1_28PointwiseOpScalarListFunctorIiLi3ELi3ELi0EEEJSt10multipliesIiEEEEvT_T0_DpT1_: ; @_ZN2at6native12_GLOBAL__N_125multi_tensor_apply_kernelINS1_28TensorListScalarListMetadataIiLi3EEENS1_28PointwiseOpScalarListFunctorIiLi3ELi3ELi0EEEJSt10multipliesIiEEEEvT_T0_DpT1_
; %bb.0:
	v_mov_b32_e32 v1, s6
	global_load_ubyte v1, v1, s[4:5] offset:1728
	s_add_u32 s0, s4, s6
	s_mul_i32 s1, s6, 3
	s_addc_u32 s2, s5, 0
	s_mul_hi_u32 s3, s6, 3
	s_add_u32 s0, s0, s1
	s_addc_u32 s1, s2, s3
	s_load_dword s8, s[0:1], 0x800
	s_mov_b32 s15, 0
	s_mov_b32 s17, s15
	s_waitcnt lgkmcnt(0)
	s_ashr_i32 s9, s8, 31
	s_waitcnt vmcnt(0)
	v_readfirstlane_b32 s0, v1
	v_lshlrev_b32_e32 v1, 2, v1
	v_sub_co_u32_e32 v1, vcc, 0, v1
	s_lshl_b32 s10, s0, 3
	v_subb_co_u32_e64 v2, s[0:1], 0, 0, vcc
	s_load_dwordx2 s[18:19], s[4:5], s10 offset:0x480
	s_load_dwordx2 s[6:7], s[4:5], s10 offset:0x0
	;; [unrolled: 1-line block ×4, first 2 shown]
	s_add_u32 s12, s4, s10
	s_addc_u32 s13, s5, 0
	s_lshl_b64 s[10:11], s[8:9], 18
	s_waitcnt lgkmcnt(0)
	s_add_u32 s22, s6, s10
	s_addc_u32 s24, s7, s11
	s_and_b32 s14, s22, 15
	v_mov_b32_e32 v3, s13
	v_add_co_u32_e32 v1, vcc, s12, v1
	s_add_u32 s25, s2, s10
	v_addc_co_u32_e32 v2, vcc, v3, v2, vcc
	s_addc_u32 s26, s3, s11
	v_readfirstlane_b32 s12, v1
	v_readfirstlane_b32 s13, v2
	s_add_u32 s27, s0, s10
	s_load_dword s23, s[12:13], 0x600
	s_addc_u32 s28, s1, s11
	s_or_b32 s12, s27, s25
	s_and_b32 s12, s12, 15
	s_cmp_eq_u32 s12, 0
	s_cselect_b64 s[20:21], -1, 0
	s_lshl_b64 s[8:9], s[8:9], 16
	s_sub_u32 s12, s18, s8
	s_subb_u32 s13, s19, s9
	s_and_b32 s16, s18, 3
	s_or_b64 s[8:9], s[14:15], s[16:17]
	s_cmp_eq_u64 s[8:9], 0
	s_cselect_b64 s[8:9], -1, 0
	s_and_b64 s[14:15], s[20:21], s[8:9]
	s_mov_b64 s[8:9], -1
	s_and_b64 vcc, exec, s[14:15]
	s_cbranch_vccnz .LBB101_29
; %bb.1:
	v_cmp_lt_i64_e64 s[8:9], s[12:13], 1
	s_and_b64 vcc, exec, s[8:9]
	s_cbranch_vccnz .LBB101_28
; %bb.2:
	v_mov_b32_e32 v1, 0x10000
	s_load_dword s16, s[4:5], 0xd14
	v_mov_b32_e32 v2, 0
	v_cmp_lt_i64_e32 vcc, s[12:13], v[1:2]
	v_mov_b32_e32 v3, 0
	s_and_b64 s[8:9], vcc, exec
	s_cselect_b32 s15, s13, 0
	s_cselect_b32 s14, s12, 0x10000
	v_cmp_lt_u64_e32 vcc, s[12:13], v[1:2]
	s_waitcnt lgkmcnt(0)
	s_and_b32 s18, s16, 0xffff
	v_lshlrev_b32_e32 v2, 2, v0
	v_mad_u64_u32 v[3:4], s[8:9], s18, 12, v[2:3]
	s_and_b64 s[8:9], vcc, exec
	v_mov_b32_e32 v6, s7
	v_add_co_u32_e32 v5, vcc, s6, v3
	v_addc_co_u32_e32 v6, vcc, v6, v4, vcc
	v_mov_b32_e32 v8, s3
	v_add_co_u32_e32 v7, vcc, s2, v3
	v_addc_co_u32_e32 v8, vcc, v8, v4, vcc
	v_mov_b32_e32 v10, s1
	v_add_co_u32_e32 v9, vcc, s0, v3
	s_cselect_b32 s17, s13, 0
	s_cselect_b32 s16, s12, 0x10000
	v_addc_co_u32_e32 v10, vcc, v10, v4, vcc
	s_lshl_b32 s8, s18, 3
	v_add_co_u32_e32 v3, vcc, s8, v2
	v_addc_co_u32_e64 v4, s[8:9], 0, 0, vcc
	v_mov_b32_e32 v12, s7
	v_add_co_u32_e32 v11, vcc, s6, v3
	v_addc_co_u32_e32 v12, vcc, v12, v4, vcc
	v_mov_b32_e32 v14, s3
	v_add_co_u32_e32 v13, vcc, s2, v3
	v_addc_co_u32_e32 v14, vcc, v14, v4, vcc
	;; [unrolled: 3-line block ×6, first 2 shown]
	v_add_co_u32_e32 v23, vcc, s18, v0
	v_lshlrev_b32_e32 v1, 2, v23
	v_addc_co_u32_e64 v24, s[8:9], 0, 0, vcc
	v_mov_b32_e32 v2, s7
	v_add_co_u32_e32 v25, vcc, s6, v1
	v_addc_co_u32_e32 v26, vcc, 0, v2, vcc
	v_mov_b32_e32 v2, s3
	v_add_co_u32_e32 v27, vcc, s2, v1
	v_addc_co_u32_e32 v28, vcc, 0, v2, vcc
	v_mov_b32_e32 v2, s1
	v_add_co_u32_e32 v29, vcc, s0, v1
	s_mul_i32 s21, s18, 3
	v_addc_co_u32_e32 v30, vcc, 0, v2, vcc
	s_lshl_b32 s20, s18, 1
	v_add_co_u32_e32 v31, vcc, s21, v0
	v_addc_co_u32_e64 v32, s[0:1], 0, 0, vcc
	v_add_co_u32_e32 v33, vcc, s20, v0
	s_lshl_b32 s29, s18, 2
	s_lshl_b32 s30, s18, 4
	s_mov_b64 s[18:19], 0
	v_addc_co_u32_e64 v34, s[0:1], 0, 0, vcc
	s_branch .LBB101_4
.LBB101_3:                              ;   in Loop: Header=BB101_4 Depth=1
	s_or_b64 exec, exec, s[0:1]
	v_add_co_u32_e32 v17, vcc, s30, v17
	v_addc_co_u32_e32 v18, vcc, 0, v18, vcc
	v_add_co_u32_e32 v19, vcc, s30, v19
	v_addc_co_u32_e32 v20, vcc, 0, v20, vcc
	;; [unrolled: 2-line block ×10, first 2 shown]
	s_add_u32 s18, s18, s29
	v_add_co_u32_e32 v27, vcc, s30, v27
	s_waitcnt vmcnt(1)
	v_mov_b32_e32 v1, s14
	s_addc_u32 s19, s19, 0
	v_addc_co_u32_e32 v28, vcc, 0, v28, vcc
	v_mov_b32_e32 v2, s15
	v_cmp_lt_i64_e32 vcc, s[18:19], v[1:2]
	v_add_co_u32_e64 v29, s[0:1], s30, v29
	v_addc_co_u32_e64 v30, s[0:1], 0, v30, s[0:1]
	s_cbranch_vccz .LBB101_28
.LBB101_4:                              ; =>This Inner Loop Header: Depth=1
	v_mov_b32_e32 v2, s19
	v_add_co_u32_e32 v1, vcc, s18, v0
	v_addc_co_u32_e32 v2, vcc, 0, v2, vcc
	v_cmp_gt_u64_e32 vcc, s[16:17], v[1:2]
	s_waitcnt vmcnt(0)
	v_mov_b32_e32 v35, 0
	v_mov_b32_e32 v1, 0
	s_and_saveexec_b64 s[2:3], vcc
	s_cbranch_execz .LBB101_6
; %bb.5:                                ;   in Loop: Header=BB101_4 Depth=1
	v_mov_b32_e32 v1, s11
	v_add_co_u32_e64 v2, s[0:1], s10, v17
	v_addc_co_u32_e64 v3, s[0:1], v18, v1, s[0:1]
	v_add_co_u32_e64 v36, s[0:1], s10, v19
	v_addc_co_u32_e64 v37, s[0:1], v20, v1, s[0:1]
	global_load_dword v1, v[2:3], off
	global_load_dword v35, v[36:37], off
.LBB101_6:                              ;   in Loop: Header=BB101_4 Depth=1
	s_or_b64 exec, exec, s[2:3]
	v_mov_b32_e32 v36, 0
	v_mov_b32_e32 v37, 0
	s_and_saveexec_b64 s[2:3], vcc
	s_cbranch_execz .LBB101_8
; %bb.7:                                ;   in Loop: Header=BB101_4 Depth=1
	v_mov_b32_e32 v3, s11
	v_add_co_u32_e64 v2, s[0:1], s10, v21
	v_addc_co_u32_e64 v3, s[0:1], v22, v3, s[0:1]
	global_load_dword v37, v[2:3], off
.LBB101_8:                              ;   in Loop: Header=BB101_4 Depth=1
	s_or_b64 exec, exec, s[2:3]
	v_mov_b32_e32 v3, s19
	v_add_co_u32_e64 v2, s[0:1], s18, v23
	v_addc_co_u32_e64 v3, s[0:1], v24, v3, s[0:1]
	v_cmp_gt_u64_e64 s[0:1], s[16:17], v[2:3]
	v_mov_b32_e32 v2, 0
	s_and_saveexec_b64 s[6:7], s[0:1]
	s_cbranch_execz .LBB101_10
; %bb.9:                                ;   in Loop: Header=BB101_4 Depth=1
	v_mov_b32_e32 v2, s11
	v_add_co_u32_e64 v3, s[2:3], s10, v25
	v_addc_co_u32_e64 v4, s[2:3], v26, v2, s[2:3]
	v_add_co_u32_e64 v38, s[2:3], s10, v27
	v_addc_co_u32_e64 v39, s[2:3], v28, v2, s[2:3]
	global_load_dword v2, v[3:4], off
	global_load_dword v36, v[38:39], off
.LBB101_10:                             ;   in Loop: Header=BB101_4 Depth=1
	s_or_b64 exec, exec, s[6:7]
	v_mov_b32_e32 v38, 0
	v_mov_b32_e32 v39, 0
	s_and_saveexec_b64 s[6:7], s[0:1]
	s_cbranch_execz .LBB101_12
; %bb.11:                               ;   in Loop: Header=BB101_4 Depth=1
	v_mov_b32_e32 v4, s11
	v_add_co_u32_e64 v3, s[2:3], s10, v29
	v_addc_co_u32_e64 v4, s[2:3], v30, v4, s[2:3]
	global_load_dword v39, v[3:4], off
.LBB101_12:                             ;   in Loop: Header=BB101_4 Depth=1
	s_or_b64 exec, exec, s[6:7]
	v_mov_b32_e32 v4, s19
	v_add_co_u32_e64 v3, s[2:3], s18, v33
	v_addc_co_u32_e64 v4, s[2:3], v34, v4, s[2:3]
	v_cmp_gt_u64_e64 s[2:3], s[16:17], v[3:4]
	v_mov_b32_e32 v3, 0
	s_and_saveexec_b64 s[8:9], s[2:3]
	s_cbranch_execz .LBB101_14
; %bb.13:                               ;   in Loop: Header=BB101_4 Depth=1
	v_mov_b32_e32 v3, s11
	v_add_co_u32_e64 v40, s[6:7], s10, v11
	v_addc_co_u32_e64 v41, s[6:7], v12, v3, s[6:7]
	v_add_co_u32_e64 v42, s[6:7], s10, v13
	v_addc_co_u32_e64 v43, s[6:7], v14, v3, s[6:7]
	global_load_dword v3, v[40:41], off
	global_load_dword v38, v[42:43], off
.LBB101_14:                             ;   in Loop: Header=BB101_4 Depth=1
	s_or_b64 exec, exec, s[8:9]
	v_mov_b32_e32 v40, 0
	v_mov_b32_e32 v41, 0
	s_and_saveexec_b64 s[8:9], s[2:3]
	s_cbranch_execz .LBB101_16
; %bb.15:                               ;   in Loop: Header=BB101_4 Depth=1
	v_mov_b32_e32 v4, s11
	v_add_co_u32_e64 v41, s[6:7], s10, v15
	v_addc_co_u32_e64 v42, s[6:7], v16, v4, s[6:7]
	global_load_dword v41, v[41:42], off
.LBB101_16:                             ;   in Loop: Header=BB101_4 Depth=1
	s_or_b64 exec, exec, s[8:9]
	v_mov_b32_e32 v4, s19
	v_add_co_u32_e64 v42, s[6:7], s18, v31
	v_addc_co_u32_e64 v43, s[6:7], v32, v4, s[6:7]
	v_cmp_gt_u64_e64 s[6:7], s[16:17], v[42:43]
	v_mov_b32_e32 v4, 0
	s_and_saveexec_b64 s[20:21], s[6:7]
	s_cbranch_execnz .LBB101_22
; %bb.17:                               ;   in Loop: Header=BB101_4 Depth=1
	s_or_b64 exec, exec, s[20:21]
	v_mov_b32_e32 v42, 0
	s_and_saveexec_b64 s[20:21], s[6:7]
	s_cbranch_execnz .LBB101_23
.LBB101_18:                             ;   in Loop: Header=BB101_4 Depth=1
	s_or_b64 exec, exec, s[20:21]
	s_and_saveexec_b64 s[8:9], vcc
	s_cbranch_execnz .LBB101_24
.LBB101_19:                             ;   in Loop: Header=BB101_4 Depth=1
	s_or_b64 exec, exec, s[8:9]
	s_and_saveexec_b64 s[8:9], s[0:1]
	s_cbranch_execnz .LBB101_25
.LBB101_20:                             ;   in Loop: Header=BB101_4 Depth=1
	s_or_b64 exec, exec, s[8:9]
	s_and_saveexec_b64 s[0:1], s[2:3]
	s_cbranch_execnz .LBB101_26
.LBB101_21:                             ;   in Loop: Header=BB101_4 Depth=1
	s_or_b64 exec, exec, s[0:1]
	s_and_saveexec_b64 s[0:1], s[6:7]
	s_cbranch_execz .LBB101_3
	s_branch .LBB101_27
.LBB101_22:                             ;   in Loop: Header=BB101_4 Depth=1
	v_mov_b32_e32 v4, s11
	v_add_co_u32_e64 v42, s[8:9], s10, v5
	v_addc_co_u32_e64 v43, s[8:9], v6, v4, s[8:9]
	v_add_co_u32_e64 v44, s[8:9], s10, v7
	v_addc_co_u32_e64 v45, s[8:9], v8, v4, s[8:9]
	global_load_dword v4, v[42:43], off
	global_load_dword v40, v[44:45], off
	s_or_b64 exec, exec, s[20:21]
	v_mov_b32_e32 v42, 0
	s_and_saveexec_b64 s[20:21], s[6:7]
	s_cbranch_execz .LBB101_18
.LBB101_23:                             ;   in Loop: Header=BB101_4 Depth=1
	v_mov_b32_e32 v43, s11
	v_add_co_u32_e64 v42, s[8:9], s10, v9
	v_addc_co_u32_e64 v43, s[8:9], v10, v43, s[8:9]
	global_load_dword v42, v[42:43], off
	s_or_b64 exec, exec, s[20:21]
	s_and_saveexec_b64 s[8:9], vcc
	s_cbranch_execz .LBB101_19
.LBB101_24:                             ;   in Loop: Header=BB101_4 Depth=1
	s_waitcnt vmcnt(0)
	v_mul_lo_u32 v35, v35, s23
	v_mov_b32_e32 v45, s11
	v_mad_u64_u32 v[43:44], s[20:21], v35, v37, v[1:2]
	v_add_co_u32_e32 v44, vcc, s10, v17
	v_addc_co_u32_e32 v45, vcc, v18, v45, vcc
	global_store_dword v[44:45], v43, off
	s_or_b64 exec, exec, s[8:9]
	s_and_saveexec_b64 s[8:9], s[0:1]
	s_cbranch_execz .LBB101_20
.LBB101_25:                             ;   in Loop: Header=BB101_4 Depth=1
	s_waitcnt vmcnt(0)
	v_mul_lo_u32 v1, v36, s23
	v_mov_b32_e32 v36, s11
	v_add_co_u32_e32 v35, vcc, s10, v25
	v_mad_u64_u32 v[1:2], s[0:1], v1, v39, v[2:3]
	v_addc_co_u32_e32 v36, vcc, v26, v36, vcc
	global_store_dword v[35:36], v1, off
	s_or_b64 exec, exec, s[8:9]
	s_and_saveexec_b64 s[0:1], s[2:3]
	s_cbranch_execz .LBB101_21
.LBB101_26:                             ;   in Loop: Header=BB101_4 Depth=1
	s_waitcnt vmcnt(0)
	v_mul_lo_u32 v1, v38, s23
	v_mov_b32_e32 v35, s11
	v_mad_u64_u32 v[1:2], s[2:3], v1, v41, v[3:4]
	v_add_co_u32_e32 v2, vcc, s10, v11
	v_addc_co_u32_e32 v3, vcc, v12, v35, vcc
	global_store_dword v[2:3], v1, off
	s_or_b64 exec, exec, s[0:1]
	s_and_saveexec_b64 s[0:1], s[6:7]
	s_cbranch_execz .LBB101_3
.LBB101_27:                             ;   in Loop: Header=BB101_4 Depth=1
	s_waitcnt vmcnt(0)
	v_mul_lo_u32 v1, v40, s23
	v_mov_b32_e32 v3, s11
	v_mad_u64_u32 v[1:2], s[2:3], v1, v42, v[4:5]
	v_add_co_u32_e32 v2, vcc, s10, v5
	v_addc_co_u32_e32 v3, vcc, v6, v3, vcc
	global_store_dword v[2:3], v1, off
	s_branch .LBB101_3
.LBB101_28:
	s_mov_b64 s[8:9], 0
.LBB101_29:
	s_andn2_b64 vcc, exec, s[8:9]
	s_cbranch_vccnz .LBB101_33
; %bb.30:
	v_mov_b32_e32 v1, 0x10000
	v_mov_b32_e32 v2, 0
	v_cmp_lt_i64_e32 vcc, s[12:13], v[1:2]
	v_mov_b32_e32 v2, 0
	s_and_b64 s[0:1], vcc, exec
	s_cselect_b32 s7, s13, 0
	s_cselect_b32 s6, s12, 0x10000
	v_lshlrev_b32_e32 v1, 2, v0
	v_cmp_gt_i64_e32 vcc, s[6:7], v[1:2]
	s_and_saveexec_b64 s[0:1], vcc
	s_cbranch_execz .LBB101_33
; %bb.31:
	s_load_dword s0, s[4:5], 0xd14
	v_mov_b32_e32 v1, v2
	v_lshlrev_b32_e32 v2, 4, v0
	s_mov_b64 s[4:5], 0
	s_waitcnt lgkmcnt(0)
	s_and_b32 s8, s0, 0xffff
	s_lshl_b32 s9, s8, 4
.LBB101_32:                             ; =>This Inner Loop Header: Depth=1
	v_mov_b32_e32 v4, s26
	v_add_co_u32_e32 v15, vcc, s25, v2
	v_mov_b32_e32 v3, s24
	v_mov_b32_e32 v5, s28
	v_add_co_u32_e64 v17, s[0:1], s27, v2
	v_add_co_u32_e64 v19, s[2:3], s22, v2
	v_addc_co_u32_e32 v16, vcc, 0, v4, vcc
	v_addc_co_u32_e64 v20, s[2:3], 0, v3, s[2:3]
	v_addc_co_u32_e64 v18, vcc, 0, v5, s[0:1]
	global_load_dwordx4 v[3:6], v[15:16], off
	global_load_dwordx4 v[7:10], v[19:20], off
	;; [unrolled: 1-line block ×3, first 2 shown]
	v_add_co_u32_e32 v0, vcc, s8, v0
	v_addc_co_u32_e32 v1, vcc, 0, v1, vcc
	v_lshlrev_b64 v[15:16], 2, v[0:1]
	s_add_u32 s27, s27, s9
	v_cmp_le_i64_e32 vcc, s[6:7], v[15:16]
	s_addc_u32 s28, s28, 0
	s_add_u32 s22, s22, s9
	s_addc_u32 s24, s24, 0
	s_add_u32 s25, s25, s9
	s_addc_u32 s26, s26, 0
	s_or_b64 s[4:5], vcc, s[4:5]
	s_waitcnt vmcnt(2)
	v_mul_lo_u32 v3, v3, s23
	v_mul_lo_u32 v16, v4, s23
	;; [unrolled: 1-line block ×4, first 2 shown]
	s_waitcnt vmcnt(1)
	v_mov_b32_e32 v5, v10
	s_waitcnt vmcnt(0)
	v_mad_u64_u32 v[3:4], s[0:1], v3, v11, v[7:8]
	v_mad_u64_u32 v[14:15], s[0:1], v6, v14, v[5:6]
	;; [unrolled: 1-line block ×4, first 2 shown]
	v_mov_b32_e32 v6, v14
	global_store_dwordx4 v[19:20], v[3:6], off
	s_andn2_b64 exec, exec, s[4:5]
	s_cbranch_execnz .LBB101_32
.LBB101_33:
	s_endpgm
	.section	.rodata,"a",@progbits
	.p2align	6, 0x0
	.amdhsa_kernel _ZN2at6native12_GLOBAL__N_125multi_tensor_apply_kernelINS1_28TensorListScalarListMetadataIiLi3EEENS1_28PointwiseOpScalarListFunctorIiLi3ELi3ELi0EEEJSt10multipliesIiEEEEvT_T0_DpT1_
		.amdhsa_group_segment_fixed_size 0
		.amdhsa_private_segment_fixed_size 0
		.amdhsa_kernarg_size 3592
		.amdhsa_user_sgpr_count 6
		.amdhsa_user_sgpr_private_segment_buffer 1
		.amdhsa_user_sgpr_dispatch_ptr 0
		.amdhsa_user_sgpr_queue_ptr 0
		.amdhsa_user_sgpr_kernarg_segment_ptr 1
		.amdhsa_user_sgpr_dispatch_id 0
		.amdhsa_user_sgpr_flat_scratch_init 0
		.amdhsa_user_sgpr_private_segment_size 0
		.amdhsa_uses_dynamic_stack 0
		.amdhsa_system_sgpr_private_segment_wavefront_offset 0
		.amdhsa_system_sgpr_workgroup_id_x 1
		.amdhsa_system_sgpr_workgroup_id_y 0
		.amdhsa_system_sgpr_workgroup_id_z 0
		.amdhsa_system_sgpr_workgroup_info 0
		.amdhsa_system_vgpr_workitem_id 0
		.amdhsa_next_free_vgpr 46
		.amdhsa_next_free_sgpr 31
		.amdhsa_reserve_vcc 1
		.amdhsa_reserve_flat_scratch 0
		.amdhsa_float_round_mode_32 0
		.amdhsa_float_round_mode_16_64 0
		.amdhsa_float_denorm_mode_32 3
		.amdhsa_float_denorm_mode_16_64 3
		.amdhsa_dx10_clamp 1
		.amdhsa_ieee_mode 1
		.amdhsa_fp16_overflow 0
		.amdhsa_exception_fp_ieee_invalid_op 0
		.amdhsa_exception_fp_denorm_src 0
		.amdhsa_exception_fp_ieee_div_zero 0
		.amdhsa_exception_fp_ieee_overflow 0
		.amdhsa_exception_fp_ieee_underflow 0
		.amdhsa_exception_fp_ieee_inexact 0
		.amdhsa_exception_int_div_zero 0
	.end_amdhsa_kernel
	.section	.text._ZN2at6native12_GLOBAL__N_125multi_tensor_apply_kernelINS1_28TensorListScalarListMetadataIiLi3EEENS1_28PointwiseOpScalarListFunctorIiLi3ELi3ELi0EEEJSt10multipliesIiEEEEvT_T0_DpT1_,"axG",@progbits,_ZN2at6native12_GLOBAL__N_125multi_tensor_apply_kernelINS1_28TensorListScalarListMetadataIiLi3EEENS1_28PointwiseOpScalarListFunctorIiLi3ELi3ELi0EEEJSt10multipliesIiEEEEvT_T0_DpT1_,comdat
.Lfunc_end101:
	.size	_ZN2at6native12_GLOBAL__N_125multi_tensor_apply_kernelINS1_28TensorListScalarListMetadataIiLi3EEENS1_28PointwiseOpScalarListFunctorIiLi3ELi3ELi0EEEJSt10multipliesIiEEEEvT_T0_DpT1_, .Lfunc_end101-_ZN2at6native12_GLOBAL__N_125multi_tensor_apply_kernelINS1_28TensorListScalarListMetadataIiLi3EEENS1_28PointwiseOpScalarListFunctorIiLi3ELi3ELi0EEEJSt10multipliesIiEEEEvT_T0_DpT1_
                                        ; -- End function
	.set _ZN2at6native12_GLOBAL__N_125multi_tensor_apply_kernelINS1_28TensorListScalarListMetadataIiLi3EEENS1_28PointwiseOpScalarListFunctorIiLi3ELi3ELi0EEEJSt10multipliesIiEEEEvT_T0_DpT1_.num_vgpr, 46
	.set _ZN2at6native12_GLOBAL__N_125multi_tensor_apply_kernelINS1_28TensorListScalarListMetadataIiLi3EEENS1_28PointwiseOpScalarListFunctorIiLi3ELi3ELi0EEEJSt10multipliesIiEEEEvT_T0_DpT1_.num_agpr, 0
	.set _ZN2at6native12_GLOBAL__N_125multi_tensor_apply_kernelINS1_28TensorListScalarListMetadataIiLi3EEENS1_28PointwiseOpScalarListFunctorIiLi3ELi3ELi0EEEJSt10multipliesIiEEEEvT_T0_DpT1_.numbered_sgpr, 31
	.set _ZN2at6native12_GLOBAL__N_125multi_tensor_apply_kernelINS1_28TensorListScalarListMetadataIiLi3EEENS1_28PointwiseOpScalarListFunctorIiLi3ELi3ELi0EEEJSt10multipliesIiEEEEvT_T0_DpT1_.num_named_barrier, 0
	.set _ZN2at6native12_GLOBAL__N_125multi_tensor_apply_kernelINS1_28TensorListScalarListMetadataIiLi3EEENS1_28PointwiseOpScalarListFunctorIiLi3ELi3ELi0EEEJSt10multipliesIiEEEEvT_T0_DpT1_.private_seg_size, 0
	.set _ZN2at6native12_GLOBAL__N_125multi_tensor_apply_kernelINS1_28TensorListScalarListMetadataIiLi3EEENS1_28PointwiseOpScalarListFunctorIiLi3ELi3ELi0EEEJSt10multipliesIiEEEEvT_T0_DpT1_.uses_vcc, 1
	.set _ZN2at6native12_GLOBAL__N_125multi_tensor_apply_kernelINS1_28TensorListScalarListMetadataIiLi3EEENS1_28PointwiseOpScalarListFunctorIiLi3ELi3ELi0EEEJSt10multipliesIiEEEEvT_T0_DpT1_.uses_flat_scratch, 0
	.set _ZN2at6native12_GLOBAL__N_125multi_tensor_apply_kernelINS1_28TensorListScalarListMetadataIiLi3EEENS1_28PointwiseOpScalarListFunctorIiLi3ELi3ELi0EEEJSt10multipliesIiEEEEvT_T0_DpT1_.has_dyn_sized_stack, 0
	.set _ZN2at6native12_GLOBAL__N_125multi_tensor_apply_kernelINS1_28TensorListScalarListMetadataIiLi3EEENS1_28PointwiseOpScalarListFunctorIiLi3ELi3ELi0EEEJSt10multipliesIiEEEEvT_T0_DpT1_.has_recursion, 0
	.set _ZN2at6native12_GLOBAL__N_125multi_tensor_apply_kernelINS1_28TensorListScalarListMetadataIiLi3EEENS1_28PointwiseOpScalarListFunctorIiLi3ELi3ELi0EEEJSt10multipliesIiEEEEvT_T0_DpT1_.has_indirect_call, 0
	.section	.AMDGPU.csdata,"",@progbits
; Kernel info:
; codeLenInByte = 1888
; TotalNumSgprs: 35
; NumVgprs: 46
; ScratchSize: 0
; MemoryBound: 0
; FloatMode: 240
; IeeeMode: 1
; LDSByteSize: 0 bytes/workgroup (compile time only)
; SGPRBlocks: 4
; VGPRBlocks: 11
; NumSGPRsForWavesPerEU: 35
; NumVGPRsForWavesPerEU: 46
; Occupancy: 5
; WaveLimiterHint : 0
; COMPUTE_PGM_RSRC2:SCRATCH_EN: 0
; COMPUTE_PGM_RSRC2:USER_SGPR: 6
; COMPUTE_PGM_RSRC2:TRAP_HANDLER: 0
; COMPUTE_PGM_RSRC2:TGID_X_EN: 1
; COMPUTE_PGM_RSRC2:TGID_Y_EN: 0
; COMPUTE_PGM_RSRC2:TGID_Z_EN: 0
; COMPUTE_PGM_RSRC2:TIDIG_COMP_CNT: 0
	.section	.text._ZN2at6native12_GLOBAL__N_125multi_tensor_apply_kernelINS1_28TensorListScalarListMetadataIlLi3EEENS1_28PointwiseOpScalarListFunctorIlLi3ELi3ELi0EEEJSt10multipliesIlEEEEvT_T0_DpT1_,"axG",@progbits,_ZN2at6native12_GLOBAL__N_125multi_tensor_apply_kernelINS1_28TensorListScalarListMetadataIlLi3EEENS1_28PointwiseOpScalarListFunctorIlLi3ELi3ELi0EEEJSt10multipliesIlEEEEvT_T0_DpT1_,comdat
	.globl	_ZN2at6native12_GLOBAL__N_125multi_tensor_apply_kernelINS1_28TensorListScalarListMetadataIlLi3EEENS1_28PointwiseOpScalarListFunctorIlLi3ELi3ELi0EEEJSt10multipliesIlEEEEvT_T0_DpT1_ ; -- Begin function _ZN2at6native12_GLOBAL__N_125multi_tensor_apply_kernelINS1_28TensorListScalarListMetadataIlLi3EEENS1_28PointwiseOpScalarListFunctorIlLi3ELi3ELi0EEEJSt10multipliesIlEEEEvT_T0_DpT1_
	.p2align	8
	.type	_ZN2at6native12_GLOBAL__N_125multi_tensor_apply_kernelINS1_28TensorListScalarListMetadataIlLi3EEENS1_28PointwiseOpScalarListFunctorIlLi3ELi3ELi0EEEJSt10multipliesIlEEEEvT_T0_DpT1_,@function
_ZN2at6native12_GLOBAL__N_125multi_tensor_apply_kernelINS1_28TensorListScalarListMetadataIlLi3EEENS1_28PointwiseOpScalarListFunctorIlLi3ELi3ELi0EEEJSt10multipliesIlEEEEvT_T0_DpT1_: ; @_ZN2at6native12_GLOBAL__N_125multi_tensor_apply_kernelINS1_28TensorListScalarListMetadataIlLi3EEENS1_28PointwiseOpScalarListFunctorIlLi3ELi3ELi0EEEJSt10multipliesIlEEEEvT_T0_DpT1_
; %bb.0:
	v_mov_b32_e32 v1, s6
	global_load_ubyte v1, v1, s[4:5] offset:1920
	s_add_u32 s0, s4, s6
	s_mul_hi_u32 s1, s6, 3
	s_mul_i32 s6, s6, 3
	s_addc_u32 s2, s5, 0
	s_add_u32 s0, s0, s6
	s_addc_u32 s1, s2, s1
	s_load_dword s12, s[0:1], 0x8c0
	s_mov_b32 s9, 0
	s_mov_b32 s17, s9
	s_waitcnt lgkmcnt(0)
	s_ashr_i32 s13, s12, 31
	s_lshl_b64 s[14:15], s[12:13], 19
	s_waitcnt vmcnt(0)
	v_readfirstlane_b32 s0, v1
	s_lshl_b32 s8, s0, 3
	s_load_dwordx2 s[10:11], s[4:5], s8 offset:0x600
	s_load_dwordx2 s[6:7], s[4:5], s8 offset:0x0
	;; [unrolled: 1-line block ×5, first 2 shown]
	s_waitcnt lgkmcnt(0)
	s_add_u32 s24, s6, s14
	s_addc_u32 s25, s7, s15
	s_and_b32 s8, s24, 31
	s_add_u32 s26, s2, s14
	s_addc_u32 s27, s3, s15
	s_add_u32 s28, s0, s14
	s_addc_u32 s29, s1, s15
	s_or_b32 s16, s28, s26
	s_and_b32 s16, s16, 31
	s_cmp_eq_u32 s16, 0
	s_cselect_b64 s[20:21], -1, 0
	s_lshl_b64 s[12:13], s[12:13], 16
	s_sub_u32 s12, s18, s12
	s_subb_u32 s13, s19, s13
	s_and_b32 s16, s18, 3
	s_or_b64 s[8:9], s[8:9], s[16:17]
	s_cmp_eq_u64 s[8:9], 0
	s_cselect_b64 s[8:9], -1, 0
	s_and_b64 s[16:17], s[20:21], s[8:9]
	s_mov_b64 s[8:9], -1
	s_and_b64 vcc, exec, s[16:17]
	s_cbranch_vccnz .LBB102_29
; %bb.1:
	v_cmp_lt_i64_e64 s[8:9], s[12:13], 1
	s_and_b64 vcc, exec, s[8:9]
	s_cbranch_vccnz .LBB102_28
; %bb.2:
	v_mov_b32_e32 v1, 0x10000
	s_load_dword s18, s[4:5], 0xdd4
	v_mov_b32_e32 v2, 0
	v_cmp_lt_i64_e32 vcc, s[12:13], v[1:2]
	v_mov_b32_e32 v3, 0
	s_and_b64 s[8:9], vcc, exec
	s_cselect_b32 s17, s13, 0
	s_cselect_b32 s16, s12, 0x10000
	v_cmp_lt_u64_e32 vcc, s[12:13], v[1:2]
	s_waitcnt lgkmcnt(0)
	s_and_b32 s20, s18, 0xffff
	v_lshlrev_b32_e32 v2, 3, v0
	v_mad_u64_u32 v[3:4], s[8:9], s20, 24, v[2:3]
	s_and_b64 s[8:9], vcc, exec
	v_mov_b32_e32 v7, s7
	v_add_co_u32_e32 v25, vcc, s6, v3
	v_addc_co_u32_e32 v26, vcc, v7, v4, vcc
	v_mov_b32_e32 v7, s3
	v_add_co_u32_e32 v27, vcc, s2, v3
	v_addc_co_u32_e32 v28, vcc, v7, v4, vcc
	v_mov_b32_e32 v7, s1
	v_add_co_u32_e32 v29, vcc, s0, v3
	s_cselect_b32 s19, s13, 0
	s_cselect_b32 s18, s12, 0x10000
	v_addc_co_u32_e32 v30, vcc, v7, v4, vcc
	s_lshl_b32 s8, s20, 4
	v_add_co_u32_e32 v3, vcc, s8, v2
	v_addc_co_u32_e64 v4, s[8:9], 0, 0, vcc
	v_mov_b32_e32 v7, s7
	v_add_co_u32_e32 v31, vcc, s6, v3
	v_addc_co_u32_e32 v32, vcc, v7, v4, vcc
	v_mov_b32_e32 v7, s3
	v_add_co_u32_e32 v33, vcc, s2, v3
	v_addc_co_u32_e32 v34, vcc, v7, v4, vcc
	;; [unrolled: 3-line block ×6, first 2 shown]
	v_add_co_u32_e32 v43, vcc, s20, v0
	v_lshlrev_b32_e32 v1, 3, v43
	v_addc_co_u32_e64 v44, s[8:9], 0, 0, vcc
	v_mov_b32_e32 v2, s7
	v_add_co_u32_e32 v45, vcc, s6, v1
	v_addc_co_u32_e32 v46, vcc, 0, v2, vcc
	v_mov_b32_e32 v2, s3
	v_add_co_u32_e32 v47, vcc, s2, v1
	v_addc_co_u32_e32 v48, vcc, 0, v2, vcc
	v_mov_b32_e32 v2, s1
	v_add_co_u32_e32 v49, vcc, s0, v1
	s_mul_i32 s23, s20, 3
	v_addc_co_u32_e32 v50, vcc, 0, v2, vcc
	s_lshl_b32 s22, s20, 1
	v_add_co_u32_e32 v51, vcc, s23, v0
	v_addc_co_u32_e64 v52, s[0:1], 0, 0, vcc
	v_add_co_u32_e32 v53, vcc, s22, v0
	s_lshl_b32 s30, s20, 2
	s_lshl_b32 s31, s20, 5
	s_mov_b64 s[20:21], 0
	v_addc_co_u32_e64 v54, s[0:1], 0, 0, vcc
	s_branch .LBB102_4
.LBB102_3:                              ;   in Loop: Header=BB102_4 Depth=1
	s_or_b64 exec, exec, s[0:1]
	v_add_co_u32_e32 v37, vcc, s31, v37
	v_addc_co_u32_e32 v38, vcc, 0, v38, vcc
	v_add_co_u32_e32 v39, vcc, s31, v39
	v_addc_co_u32_e32 v40, vcc, 0, v40, vcc
	;; [unrolled: 2-line block ×10, first 2 shown]
	s_add_u32 s20, s20, s30
	v_add_co_u32_e32 v47, vcc, s31, v47
	s_waitcnt vmcnt(0)
	v_mov_b32_e32 v1, s16
	s_addc_u32 s21, s21, 0
	v_addc_co_u32_e32 v48, vcc, 0, v48, vcc
	v_mov_b32_e32 v2, s17
	v_cmp_lt_i64_e32 vcc, s[20:21], v[1:2]
	v_add_co_u32_e64 v49, s[0:1], s31, v49
	v_addc_co_u32_e64 v50, s[0:1], 0, v50, s[0:1]
	s_cbranch_vccz .LBB102_28
.LBB102_4:                              ; =>This Inner Loop Header: Depth=1
	v_mov_b32_e32 v2, s21
	v_add_co_u32_e32 v1, vcc, s20, v0
	v_addc_co_u32_e32 v2, vcc, 0, v2, vcc
	v_cmp_gt_u64_e32 vcc, s[18:19], v[1:2]
	v_mov_b32_e32 v1, 0
	v_mov_b32_e32 v5, 0
	;; [unrolled: 1-line block ×6, first 2 shown]
	s_and_saveexec_b64 s[2:3], vcc
	s_cbranch_execz .LBB102_6
; %bb.5:                                ;   in Loop: Header=BB102_4 Depth=1
	v_mov_b32_e32 v3, s15
	v_add_co_u32_e64 v7, s[0:1], s14, v37
	v_addc_co_u32_e64 v8, s[0:1], v38, v3, s[0:1]
	v_add_co_u32_e64 v9, s[0:1], s14, v39
	v_addc_co_u32_e64 v10, s[0:1], v40, v3, s[0:1]
	global_load_dwordx2 v[3:4], v[7:8], off
	global_load_dwordx2 v[5:6], v[9:10], off
.LBB102_6:                              ;   in Loop: Header=BB102_4 Depth=1
	s_or_b64 exec, exec, s[2:3]
	s_and_saveexec_b64 s[2:3], vcc
	s_cbranch_execz .LBB102_8
; %bb.7:                                ;   in Loop: Header=BB102_4 Depth=1
	v_mov_b32_e32 v2, s15
	v_add_co_u32_e64 v1, s[0:1], s14, v41
	v_addc_co_u32_e64 v2, s[0:1], v42, v2, s[0:1]
	global_load_dwordx2 v[1:2], v[1:2], off
.LBB102_8:                              ;   in Loop: Header=BB102_4 Depth=1
	s_or_b64 exec, exec, s[2:3]
	v_mov_b32_e32 v8, s21
	v_add_co_u32_e64 v7, s[0:1], s20, v43
	v_addc_co_u32_e64 v8, s[0:1], v44, v8, s[0:1]
	v_cmp_gt_u64_e64 s[0:1], s[18:19], v[7:8]
	v_mov_b32_e32 v7, 0
	v_mov_b32_e32 v11, 0
	;; [unrolled: 1-line block ×6, first 2 shown]
	s_and_saveexec_b64 s[6:7], s[0:1]
	s_cbranch_execz .LBB102_10
; %bb.9:                                ;   in Loop: Header=BB102_4 Depth=1
	v_mov_b32_e32 v9, s15
	v_add_co_u32_e64 v13, s[2:3], s14, v45
	v_addc_co_u32_e64 v14, s[2:3], v46, v9, s[2:3]
	v_add_co_u32_e64 v15, s[2:3], s14, v47
	v_addc_co_u32_e64 v16, s[2:3], v48, v9, s[2:3]
	global_load_dwordx2 v[9:10], v[13:14], off
	global_load_dwordx2 v[11:12], v[15:16], off
.LBB102_10:                             ;   in Loop: Header=BB102_4 Depth=1
	s_or_b64 exec, exec, s[6:7]
	s_and_saveexec_b64 s[6:7], s[0:1]
	s_cbranch_execz .LBB102_12
; %bb.11:                               ;   in Loop: Header=BB102_4 Depth=1
	v_mov_b32_e32 v8, s15
	v_add_co_u32_e64 v7, s[2:3], s14, v49
	v_addc_co_u32_e64 v8, s[2:3], v50, v8, s[2:3]
	global_load_dwordx2 v[7:8], v[7:8], off
.LBB102_12:                             ;   in Loop: Header=BB102_4 Depth=1
	s_or_b64 exec, exec, s[6:7]
	v_mov_b32_e32 v14, s21
	v_add_co_u32_e64 v13, s[2:3], s20, v53
	v_addc_co_u32_e64 v14, s[2:3], v54, v14, s[2:3]
	v_cmp_gt_u64_e64 s[2:3], s[18:19], v[13:14]
	v_mov_b32_e32 v13, 0
	v_mov_b32_e32 v17, 0
	;; [unrolled: 1-line block ×6, first 2 shown]
	s_and_saveexec_b64 s[8:9], s[2:3]
	s_cbranch_execz .LBB102_14
; %bb.13:                               ;   in Loop: Header=BB102_4 Depth=1
	v_mov_b32_e32 v15, s15
	v_add_co_u32_e64 v19, s[6:7], s14, v31
	v_addc_co_u32_e64 v20, s[6:7], v32, v15, s[6:7]
	v_add_co_u32_e64 v21, s[6:7], s14, v33
	v_addc_co_u32_e64 v22, s[6:7], v34, v15, s[6:7]
	global_load_dwordx2 v[15:16], v[19:20], off
	global_load_dwordx2 v[17:18], v[21:22], off
.LBB102_14:                             ;   in Loop: Header=BB102_4 Depth=1
	s_or_b64 exec, exec, s[8:9]
	s_and_saveexec_b64 s[8:9], s[2:3]
	s_cbranch_execz .LBB102_16
; %bb.15:                               ;   in Loop: Header=BB102_4 Depth=1
	v_mov_b32_e32 v14, s15
	v_add_co_u32_e64 v13, s[6:7], s14, v35
	v_addc_co_u32_e64 v14, s[6:7], v36, v14, s[6:7]
	global_load_dwordx2 v[13:14], v[13:14], off
.LBB102_16:                             ;   in Loop: Header=BB102_4 Depth=1
	s_or_b64 exec, exec, s[8:9]
	v_mov_b32_e32 v20, s21
	v_add_co_u32_e64 v19, s[6:7], s20, v51
	v_addc_co_u32_e64 v20, s[6:7], v52, v20, s[6:7]
	v_cmp_gt_u64_e64 s[6:7], s[18:19], v[19:20]
	v_mov_b32_e32 v19, 0
	v_mov_b32_e32 v23, 0
	;; [unrolled: 1-line block ×6, first 2 shown]
	s_and_saveexec_b64 s[22:23], s[6:7]
	s_cbranch_execnz .LBB102_22
; %bb.17:                               ;   in Loop: Header=BB102_4 Depth=1
	s_or_b64 exec, exec, s[22:23]
	s_and_saveexec_b64 s[22:23], s[6:7]
	s_cbranch_execnz .LBB102_23
.LBB102_18:                             ;   in Loop: Header=BB102_4 Depth=1
	s_or_b64 exec, exec, s[22:23]
	s_and_saveexec_b64 s[8:9], vcc
	s_cbranch_execnz .LBB102_24
.LBB102_19:                             ;   in Loop: Header=BB102_4 Depth=1
	s_or_b64 exec, exec, s[8:9]
	s_and_saveexec_b64 s[8:9], s[0:1]
	s_cbranch_execnz .LBB102_25
.LBB102_20:                             ;   in Loop: Header=BB102_4 Depth=1
	s_or_b64 exec, exec, s[8:9]
	s_and_saveexec_b64 s[0:1], s[2:3]
	s_cbranch_execnz .LBB102_26
.LBB102_21:                             ;   in Loop: Header=BB102_4 Depth=1
	s_or_b64 exec, exec, s[0:1]
	s_and_saveexec_b64 s[0:1], s[6:7]
	s_cbranch_execz .LBB102_3
	s_branch .LBB102_27
.LBB102_22:                             ;   in Loop: Header=BB102_4 Depth=1
	v_mov_b32_e32 v21, s15
	v_add_co_u32_e64 v55, s[8:9], s14, v25
	v_addc_co_u32_e64 v56, s[8:9], v26, v21, s[8:9]
	v_add_co_u32_e64 v57, s[8:9], s14, v27
	v_addc_co_u32_e64 v58, s[8:9], v28, v21, s[8:9]
	global_load_dwordx2 v[21:22], v[55:56], off
	global_load_dwordx2 v[23:24], v[57:58], off
	s_or_b64 exec, exec, s[22:23]
	s_and_saveexec_b64 s[22:23], s[6:7]
	s_cbranch_execz .LBB102_18
.LBB102_23:                             ;   in Loop: Header=BB102_4 Depth=1
	v_mov_b32_e32 v20, s15
	v_add_co_u32_e64 v19, s[8:9], s14, v29
	v_addc_co_u32_e64 v20, s[8:9], v30, v20, s[8:9]
	global_load_dwordx2 v[19:20], v[19:20], off
	s_or_b64 exec, exec, s[22:23]
	s_and_saveexec_b64 s[8:9], vcc
	s_cbranch_execz .LBB102_19
.LBB102_24:                             ;   in Loop: Header=BB102_4 Depth=1
	s_waitcnt vmcnt(0)
	v_mul_lo_u32 v55, v6, s10
	v_mul_lo_u32 v56, v5, s11
	v_mad_u64_u32 v[5:6], s[22:23], v5, s10, 0
	v_mov_b32_e32 v57, s15
	v_add3_u32 v6, v6, v56, v55
	v_mul_lo_u32 v6, v6, v1
	v_mul_lo_u32 v55, v5, v2
	v_mad_u64_u32 v[1:2], s[22:23], v5, v1, v[3:4]
	v_add_co_u32_e32 v3, vcc, s14, v37
	v_addc_co_u32_e32 v4, vcc, v38, v57, vcc
	v_add3_u32 v2, v6, v2, v55
	global_store_dwordx2 v[3:4], v[1:2], off
	s_or_b64 exec, exec, s[8:9]
	s_and_saveexec_b64 s[8:9], s[0:1]
	s_cbranch_execz .LBB102_20
.LBB102_25:                             ;   in Loop: Header=BB102_4 Depth=1
	s_waitcnt vmcnt(0)
	v_mul_lo_u32 v3, v12, s10
	v_mul_lo_u32 v4, v11, s11
	v_mad_u64_u32 v[1:2], s[0:1], v11, s10, 0
	v_add3_u32 v3, v2, v4, v3
	v_mul_lo_u32 v4, v1, v8
	v_mad_u64_u32 v[1:2], s[0:1], v1, v7, v[9:10]
	v_mul_lo_u32 v3, v3, v7
	v_add3_u32 v2, v3, v2, v4
	v_mov_b32_e32 v4, s15
	v_add_co_u32_e32 v3, vcc, s14, v45
	v_addc_co_u32_e32 v4, vcc, v46, v4, vcc
	global_store_dwordx2 v[3:4], v[1:2], off
	s_or_b64 exec, exec, s[8:9]
	s_and_saveexec_b64 s[0:1], s[2:3]
	s_cbranch_execz .LBB102_21
.LBB102_26:                             ;   in Loop: Header=BB102_4 Depth=1
	s_waitcnt vmcnt(0)
	v_mul_lo_u32 v3, v18, s10
	v_mul_lo_u32 v4, v17, s11
	v_mad_u64_u32 v[1:2], s[2:3], v17, s10, 0
	v_add3_u32 v3, v2, v4, v3
	v_mul_lo_u32 v4, v1, v14
	v_mad_u64_u32 v[1:2], s[2:3], v1, v13, v[15:16]
	v_mul_lo_u32 v3, v3, v13
	v_add3_u32 v2, v3, v2, v4
	v_mov_b32_e32 v4, s15
	v_add_co_u32_e32 v3, vcc, s14, v31
	v_addc_co_u32_e32 v4, vcc, v32, v4, vcc
	global_store_dwordx2 v[3:4], v[1:2], off
	s_or_b64 exec, exec, s[0:1]
	s_and_saveexec_b64 s[0:1], s[6:7]
	s_cbranch_execz .LBB102_3
.LBB102_27:                             ;   in Loop: Header=BB102_4 Depth=1
	s_waitcnt vmcnt(0)
	v_mul_lo_u32 v3, v24, s10
	v_mul_lo_u32 v4, v23, s11
	v_mad_u64_u32 v[1:2], s[2:3], v23, s10, 0
	v_add3_u32 v3, v2, v4, v3
	v_mul_lo_u32 v4, v1, v20
	v_mad_u64_u32 v[1:2], s[2:3], v1, v19, v[21:22]
	v_mul_lo_u32 v3, v3, v19
	v_add3_u32 v2, v3, v2, v4
	v_mov_b32_e32 v4, s15
	v_add_co_u32_e32 v3, vcc, s14, v25
	v_addc_co_u32_e32 v4, vcc, v26, v4, vcc
	global_store_dwordx2 v[3:4], v[1:2], off
	s_branch .LBB102_3
.LBB102_28:
	s_mov_b64 s[8:9], 0
.LBB102_29:
	s_andn2_b64 vcc, exec, s[8:9]
	s_cbranch_vccnz .LBB102_33
; %bb.30:
	v_mov_b32_e32 v1, 0x10000
	v_mov_b32_e32 v2, 0
	v_cmp_lt_i64_e32 vcc, s[12:13], v[1:2]
	v_mov_b32_e32 v2, 0
	s_and_b64 s[0:1], vcc, exec
	s_cselect_b32 s7, s13, 0
	s_cselect_b32 s6, s12, 0x10000
	v_lshlrev_b32_e32 v1, 2, v0
	v_cmp_gt_i64_e32 vcc, s[6:7], v[1:2]
	s_and_saveexec_b64 s[0:1], vcc
	s_cbranch_execz .LBB102_33
; %bb.31:
	s_load_dword s0, s[4:5], 0xdd4
	v_mov_b32_e32 v1, v2
	v_lshlrev_b32_e32 v2, 5, v0
	s_mov_b64 s[4:5], 0
	s_waitcnt lgkmcnt(0)
	s_and_b32 s8, s0, 0xffff
	s_lshl_b32 s9, s8, 5
.LBB102_32:                             ; =>This Inner Loop Header: Depth=1
	v_mov_b32_e32 v4, s27
	v_add_co_u32_e32 v27, vcc, s26, v2
	v_mov_b32_e32 v3, s25
	v_mov_b32_e32 v5, s29
	v_add_co_u32_e64 v29, s[0:1], s28, v2
	v_add_co_u32_e64 v31, s[2:3], s24, v2
	v_addc_co_u32_e32 v28, vcc, 0, v4, vcc
	v_addc_co_u32_e64 v32, s[2:3], 0, v3, s[2:3]
	v_addc_co_u32_e64 v30, vcc, 0, v5, s[0:1]
	global_load_dwordx4 v[3:6], v[27:28], off
	global_load_dwordx4 v[7:10], v[27:28], off offset:16
	global_load_dwordx4 v[11:14], v[31:32], off
	global_load_dwordx4 v[15:18], v[29:30], off
	global_load_dwordx4 v[19:22], v[29:30], off offset:16
	global_load_dwordx4 v[23:26], v[31:32], off offset:16
	v_add_co_u32_e32 v0, vcc, s8, v0
	v_addc_co_u32_e32 v1, vcc, 0, v1, vcc
	v_lshlrev_b64 v[27:28], 2, v[0:1]
	s_add_u32 s28, s28, s9
	v_cmp_le_i64_e32 vcc, s[6:7], v[27:28]
	s_addc_u32 s29, s29, 0
	s_add_u32 s24, s24, s9
	s_addc_u32 s25, s25, 0
	s_add_u32 s26, s26, s9
	s_addc_u32 s27, s27, 0
	s_or_b64 s[4:5], vcc, s[4:5]
	s_waitcnt vmcnt(5)
	v_mad_u64_u32 v[27:28], s[0:1], v3, s10, 0
	v_mad_u64_u32 v[29:30], s[0:1], v5, s10, 0
	v_mul_lo_u32 v37, v4, s10
	v_mul_lo_u32 v38, v3, s11
	;; [unrolled: 1-line block ×4, first 2 shown]
	s_waitcnt vmcnt(4)
	v_mad_u64_u32 v[33:34], s[0:1], v7, s10, 0
	v_mad_u64_u32 v[35:36], s[0:1], v9, s10, 0
	v_mul_lo_u32 v41, v8, s10
	v_mul_lo_u32 v42, v7, s11
	;; [unrolled: 1-line block ×4, first 2 shown]
	s_waitcnt vmcnt(2)
	v_mad_u64_u32 v[3:4], s[0:1], v27, v15, v[11:12]
	v_mad_u64_u32 v[5:6], s[0:1], v29, v17, v[13:14]
	v_add3_u32 v11, v28, v38, v37
	v_add3_u32 v13, v30, v40, v39
	v_mul_lo_u32 v12, v27, v16
	v_mul_lo_u32 v14, v29, v18
	v_add3_u32 v16, v34, v42, v41
	s_waitcnt vmcnt(1)
	v_mul_lo_u32 v18, v33, v20
	v_add3_u32 v20, v36, v44, v43
	v_mul_lo_u32 v11, v11, v15
	v_mul_lo_u32 v13, v13, v17
	s_waitcnt vmcnt(0)
	v_mad_u64_u32 v[7:8], s[0:1], v33, v19, v[23:24]
	v_mad_u64_u32 v[9:10], s[0:1], v35, v21, v[25:26]
	v_mul_lo_u32 v22, v35, v22
	v_mul_lo_u32 v15, v16, v19
	;; [unrolled: 1-line block ×3, first 2 shown]
	v_add3_u32 v4, v11, v4, v12
	v_add3_u32 v6, v13, v6, v14
	;; [unrolled: 1-line block ×4, first 2 shown]
	global_store_dwordx4 v[31:32], v[3:6], off
	global_store_dwordx4 v[31:32], v[7:10], off offset:16
	s_andn2_b64 exec, exec, s[4:5]
	s_cbranch_execnz .LBB102_32
.LBB102_33:
	s_endpgm
	.section	.rodata,"a",@progbits
	.p2align	6, 0x0
	.amdhsa_kernel _ZN2at6native12_GLOBAL__N_125multi_tensor_apply_kernelINS1_28TensorListScalarListMetadataIlLi3EEENS1_28PointwiseOpScalarListFunctorIlLi3ELi3ELi0EEEJSt10multipliesIlEEEEvT_T0_DpT1_
		.amdhsa_group_segment_fixed_size 0
		.amdhsa_private_segment_fixed_size 0
		.amdhsa_kernarg_size 3784
		.amdhsa_user_sgpr_count 6
		.amdhsa_user_sgpr_private_segment_buffer 1
		.amdhsa_user_sgpr_dispatch_ptr 0
		.amdhsa_user_sgpr_queue_ptr 0
		.amdhsa_user_sgpr_kernarg_segment_ptr 1
		.amdhsa_user_sgpr_dispatch_id 0
		.amdhsa_user_sgpr_flat_scratch_init 0
		.amdhsa_user_sgpr_private_segment_size 0
		.amdhsa_uses_dynamic_stack 0
		.amdhsa_system_sgpr_private_segment_wavefront_offset 0
		.amdhsa_system_sgpr_workgroup_id_x 1
		.amdhsa_system_sgpr_workgroup_id_y 0
		.amdhsa_system_sgpr_workgroup_id_z 0
		.amdhsa_system_sgpr_workgroup_info 0
		.amdhsa_system_vgpr_workitem_id 0
		.amdhsa_next_free_vgpr 59
		.amdhsa_next_free_sgpr 32
		.amdhsa_reserve_vcc 1
		.amdhsa_reserve_flat_scratch 0
		.amdhsa_float_round_mode_32 0
		.amdhsa_float_round_mode_16_64 0
		.amdhsa_float_denorm_mode_32 3
		.amdhsa_float_denorm_mode_16_64 3
		.amdhsa_dx10_clamp 1
		.amdhsa_ieee_mode 1
		.amdhsa_fp16_overflow 0
		.amdhsa_exception_fp_ieee_invalid_op 0
		.amdhsa_exception_fp_denorm_src 0
		.amdhsa_exception_fp_ieee_div_zero 0
		.amdhsa_exception_fp_ieee_overflow 0
		.amdhsa_exception_fp_ieee_underflow 0
		.amdhsa_exception_fp_ieee_inexact 0
		.amdhsa_exception_int_div_zero 0
	.end_amdhsa_kernel
	.section	.text._ZN2at6native12_GLOBAL__N_125multi_tensor_apply_kernelINS1_28TensorListScalarListMetadataIlLi3EEENS1_28PointwiseOpScalarListFunctorIlLi3ELi3ELi0EEEJSt10multipliesIlEEEEvT_T0_DpT1_,"axG",@progbits,_ZN2at6native12_GLOBAL__N_125multi_tensor_apply_kernelINS1_28TensorListScalarListMetadataIlLi3EEENS1_28PointwiseOpScalarListFunctorIlLi3ELi3ELi0EEEJSt10multipliesIlEEEEvT_T0_DpT1_,comdat
.Lfunc_end102:
	.size	_ZN2at6native12_GLOBAL__N_125multi_tensor_apply_kernelINS1_28TensorListScalarListMetadataIlLi3EEENS1_28PointwiseOpScalarListFunctorIlLi3ELi3ELi0EEEJSt10multipliesIlEEEEvT_T0_DpT1_, .Lfunc_end102-_ZN2at6native12_GLOBAL__N_125multi_tensor_apply_kernelINS1_28TensorListScalarListMetadataIlLi3EEENS1_28PointwiseOpScalarListFunctorIlLi3ELi3ELi0EEEJSt10multipliesIlEEEEvT_T0_DpT1_
                                        ; -- End function
	.set _ZN2at6native12_GLOBAL__N_125multi_tensor_apply_kernelINS1_28TensorListScalarListMetadataIlLi3EEENS1_28PointwiseOpScalarListFunctorIlLi3ELi3ELi0EEEJSt10multipliesIlEEEEvT_T0_DpT1_.num_vgpr, 59
	.set _ZN2at6native12_GLOBAL__N_125multi_tensor_apply_kernelINS1_28TensorListScalarListMetadataIlLi3EEENS1_28PointwiseOpScalarListFunctorIlLi3ELi3ELi0EEEJSt10multipliesIlEEEEvT_T0_DpT1_.num_agpr, 0
	.set _ZN2at6native12_GLOBAL__N_125multi_tensor_apply_kernelINS1_28TensorListScalarListMetadataIlLi3EEENS1_28PointwiseOpScalarListFunctorIlLi3ELi3ELi0EEEJSt10multipliesIlEEEEvT_T0_DpT1_.numbered_sgpr, 32
	.set _ZN2at6native12_GLOBAL__N_125multi_tensor_apply_kernelINS1_28TensorListScalarListMetadataIlLi3EEENS1_28PointwiseOpScalarListFunctorIlLi3ELi3ELi0EEEJSt10multipliesIlEEEEvT_T0_DpT1_.num_named_barrier, 0
	.set _ZN2at6native12_GLOBAL__N_125multi_tensor_apply_kernelINS1_28TensorListScalarListMetadataIlLi3EEENS1_28PointwiseOpScalarListFunctorIlLi3ELi3ELi0EEEJSt10multipliesIlEEEEvT_T0_DpT1_.private_seg_size, 0
	.set _ZN2at6native12_GLOBAL__N_125multi_tensor_apply_kernelINS1_28TensorListScalarListMetadataIlLi3EEENS1_28PointwiseOpScalarListFunctorIlLi3ELi3ELi0EEEJSt10multipliesIlEEEEvT_T0_DpT1_.uses_vcc, 1
	.set _ZN2at6native12_GLOBAL__N_125multi_tensor_apply_kernelINS1_28TensorListScalarListMetadataIlLi3EEENS1_28PointwiseOpScalarListFunctorIlLi3ELi3ELi0EEEJSt10multipliesIlEEEEvT_T0_DpT1_.uses_flat_scratch, 0
	.set _ZN2at6native12_GLOBAL__N_125multi_tensor_apply_kernelINS1_28TensorListScalarListMetadataIlLi3EEENS1_28PointwiseOpScalarListFunctorIlLi3ELi3ELi0EEEJSt10multipliesIlEEEEvT_T0_DpT1_.has_dyn_sized_stack, 0
	.set _ZN2at6native12_GLOBAL__N_125multi_tensor_apply_kernelINS1_28TensorListScalarListMetadataIlLi3EEENS1_28PointwiseOpScalarListFunctorIlLi3ELi3ELi0EEEJSt10multipliesIlEEEEvT_T0_DpT1_.has_recursion, 0
	.set _ZN2at6native12_GLOBAL__N_125multi_tensor_apply_kernelINS1_28TensorListScalarListMetadataIlLi3EEENS1_28PointwiseOpScalarListFunctorIlLi3ELi3ELi0EEEJSt10multipliesIlEEEEvT_T0_DpT1_.has_indirect_call, 0
	.section	.AMDGPU.csdata,"",@progbits
; Kernel info:
; codeLenInByte = 2300
; TotalNumSgprs: 36
; NumVgprs: 59
; ScratchSize: 0
; MemoryBound: 0
; FloatMode: 240
; IeeeMode: 1
; LDSByteSize: 0 bytes/workgroup (compile time only)
; SGPRBlocks: 4
; VGPRBlocks: 14
; NumSGPRsForWavesPerEU: 36
; NumVGPRsForWavesPerEU: 59
; Occupancy: 4
; WaveLimiterHint : 1
; COMPUTE_PGM_RSRC2:SCRATCH_EN: 0
; COMPUTE_PGM_RSRC2:USER_SGPR: 6
; COMPUTE_PGM_RSRC2:TRAP_HANDLER: 0
; COMPUTE_PGM_RSRC2:TGID_X_EN: 1
; COMPUTE_PGM_RSRC2:TGID_Y_EN: 0
; COMPUTE_PGM_RSRC2:TGID_Z_EN: 0
; COMPUTE_PGM_RSRC2:TIDIG_COMP_CNT: 0
	.section	.text._ZN2at6native12_GLOBAL__N_125multi_tensor_apply_kernelINS1_28TensorListScalarListMetadataIsLi3EEENS1_28PointwiseOpScalarListFunctorIsLi3ELi3ELi0EEEJSt10multipliesIsEEEEvT_T0_DpT1_,"axG",@progbits,_ZN2at6native12_GLOBAL__N_125multi_tensor_apply_kernelINS1_28TensorListScalarListMetadataIsLi3EEENS1_28PointwiseOpScalarListFunctorIsLi3ELi3ELi0EEEJSt10multipliesIsEEEEvT_T0_DpT1_,comdat
	.globl	_ZN2at6native12_GLOBAL__N_125multi_tensor_apply_kernelINS1_28TensorListScalarListMetadataIsLi3EEENS1_28PointwiseOpScalarListFunctorIsLi3ELi3ELi0EEEJSt10multipliesIsEEEEvT_T0_DpT1_ ; -- Begin function _ZN2at6native12_GLOBAL__N_125multi_tensor_apply_kernelINS1_28TensorListScalarListMetadataIsLi3EEENS1_28PointwiseOpScalarListFunctorIsLi3ELi3ELi0EEEJSt10multipliesIsEEEEvT_T0_DpT1_
	.p2align	8
	.type	_ZN2at6native12_GLOBAL__N_125multi_tensor_apply_kernelINS1_28TensorListScalarListMetadataIsLi3EEENS1_28PointwiseOpScalarListFunctorIsLi3ELi3ELi0EEEJSt10multipliesIsEEEEvT_T0_DpT1_,@function
_ZN2at6native12_GLOBAL__N_125multi_tensor_apply_kernelINS1_28TensorListScalarListMetadataIsLi3EEENS1_28PointwiseOpScalarListFunctorIsLi3ELi3ELi0EEEJSt10multipliesIsEEEEvT_T0_DpT1_: ; @_ZN2at6native12_GLOBAL__N_125multi_tensor_apply_kernelINS1_28TensorListScalarListMetadataIsLi3EEENS1_28PointwiseOpScalarListFunctorIsLi3ELi3ELi0EEEJSt10multipliesIsEEEEvT_T0_DpT1_
; %bb.0:
	v_mov_b32_e32 v1, s6
	global_load_ubyte v1, v1, s[4:5] offset:1632
	s_add_u32 s0, s4, s6
	s_mul_i32 s1, s6, 3
	s_addc_u32 s2, s5, 0
	s_mul_hi_u32 s3, s6, 3
	s_add_u32 s0, s0, s1
	s_addc_u32 s1, s2, s3
	s_load_dword s0, s[0:1], 0x7a0
	s_mov_b32 s7, 0
	s_waitcnt lgkmcnt(0)
	s_ashr_i32 s1, s0, 31
	s_waitcnt vmcnt(0)
	v_readfirstlane_b32 s2, v1
	v_mul_hi_i32 v2, v1, -6
	v_mul_lo_u32 v1, v1, -6
	s_lshl_b32 s6, s2, 3
	s_add_u32 s2, s4, s6
	s_addc_u32 s3, s5, 0
	v_mov_b32_e32 v3, s3
	v_add_co_u32_e32 v1, vcc, s2, v1
	v_addc_co_u32_e32 v2, vcc, v3, v2, vcc
	global_load_ushort v3, v[1:2], off offset:1536
	s_load_dwordx2 s[2:3], s[4:5], s6 offset:0x480
	s_load_dwordx2 s[10:11], s[4:5], s6 offset:0x0
	;; [unrolled: 1-line block ×4, first 2 shown]
	s_lshl_b64 s[16:17], s[0:1], 17
	s_waitcnt lgkmcnt(0)
	s_and_b32 s6, s10, 7
	s_add_u32 s8, s12, s16
	s_or_b32 s8, s14, s8
	s_and_b32 s8, s8, 7
	s_cmp_eq_u32 s8, 0
	s_cselect_b64 s[8:9], -1, 0
	s_lshl_b64 s[0:1], s[0:1], 16
	s_sub_u32 s18, s2, s0
	s_subb_u32 s19, s3, s1
	s_and_b32 s0, s2, 3
	s_mov_b32 s1, s7
	s_or_b64 s[0:1], s[6:7], s[0:1]
	s_cmp_eq_u64 s[0:1], 0
	s_cselect_b64 s[0:1], -1, 0
	s_and_b64 s[2:3], s[8:9], s[0:1]
	s_mov_b64 s[0:1], -1
	s_and_b64 vcc, exec, s[2:3]
	s_cbranch_vccnz .LBB103_29
; %bb.1:
	v_cmp_lt_i64_e64 s[0:1], s[18:19], 1
	s_and_b64 vcc, exec, s[0:1]
	s_cbranch_vccnz .LBB103_28
; %bb.2:
	v_mov_b32_e32 v1, 0x10000
	s_load_dword s2, s[4:5], 0xcb4
	v_mov_b32_e32 v2, 0
	v_cmp_lt_i64_e32 vcc, s[18:19], v[1:2]
	v_mov_b32_e32 v19, 0
	s_and_b64 s[0:1], vcc, exec
	s_cselect_b32 s21, s19, 0
	s_cselect_b32 s20, s18, 0x10000
	s_waitcnt lgkmcnt(0)
	s_and_b32 s2, s2, 0xffff
	v_lshlrev_b32_e32 v18, 1, v0
	v_mad_u64_u32 v[6:7], s[0:1], s2, 6, v[18:19]
	v_cmp_lt_u64_e32 vcc, s[18:19], v[1:2]
	v_mov_b32_e32 v2, s11
	s_and_b64 s[0:1], vcc, exec
	v_add_co_u32_e32 v1, vcc, s10, v6
	v_addc_co_u32_e32 v2, vcc, v2, v7, vcc
	v_mov_b32_e32 v5, s13
	v_add_co_u32_e32 v4, vcc, s12, v6
	v_addc_co_u32_e32 v5, vcc, v5, v7, vcc
	v_mov_b32_e32 v8, s15
	v_add_co_u32_e32 v6, vcc, s14, v6
	s_cselect_b32 s23, s19, 0
	s_cselect_b32 s22, s18, 0x10000
	s_lshl_b32 s28, s2, 2
	v_addc_co_u32_e32 v7, vcc, v8, v7, vcc
	v_add_co_u32_e32 v12, vcc, s28, v18
	v_addc_co_u32_e64 v13, s[0:1], 0, 0, vcc
	v_mov_b32_e32 v9, s11
	v_add_co_u32_e32 v8, vcc, s10, v12
	v_addc_co_u32_e32 v9, vcc, v9, v13, vcc
	v_mov_b32_e32 v11, s13
	v_add_co_u32_e32 v10, vcc, s12, v12
	v_addc_co_u32_e32 v11, vcc, v11, v13, vcc
	;; [unrolled: 3-line block ×6, first 2 shown]
	v_add_co_u32_e32 v20, vcc, s2, v0
	v_lshlrev_b32_e32 v26, 1, v20
	v_addc_co_u32_e64 v21, s[0:1], 0, 0, vcc
	v_mov_b32_e32 v23, s11
	v_add_co_u32_e32 v22, vcc, s10, v26
	v_addc_co_u32_e32 v23, vcc, 0, v23, vcc
	v_mov_b32_e32 v25, s13
	v_add_co_u32_e32 v24, vcc, s12, v26
	v_addc_co_u32_e32 v25, vcc, 0, v25, vcc
	v_mov_b32_e32 v27, s15
	v_add_co_u32_e32 v26, vcc, s14, v26
	s_mul_i32 s6, s2, 3
	v_addc_co_u32_e32 v27, vcc, 0, v27, vcc
	s_lshl_b32 s3, s2, 1
	v_add_co_u32_e32 v28, vcc, s6, v0
	v_addc_co_u32_e64 v29, s[0:1], 0, 0, vcc
	v_add_co_u32_e32 v30, vcc, s3, v0
	s_lshl_b32 s29, s2, 3
	s_mov_b64 s[24:25], 0
	v_addc_co_u32_e64 v31, s[0:1], 0, 0, vcc
	s_branch .LBB103_4
.LBB103_3:                              ;   in Loop: Header=BB103_4 Depth=1
	s_or_b64 exec, exec, s[0:1]
	v_add_co_u32_e32 v14, vcc, s29, v14
	v_addc_co_u32_e32 v15, vcc, 0, v15, vcc
	v_add_co_u32_e32 v16, vcc, s29, v16
	v_addc_co_u32_e32 v17, vcc, 0, v17, vcc
	;; [unrolled: 2-line block ×10, first 2 shown]
	s_add_u32 s24, s24, s28
	v_add_co_u32_e32 v24, vcc, s29, v24
	s_waitcnt vmcnt(0)
	v_mov_b32_e32 v33, s21
	s_addc_u32 s25, s25, 0
	v_addc_co_u32_e32 v25, vcc, 0, v25, vcc
	v_mov_b32_e32 v32, s20
	v_cmp_lt_i64_e32 vcc, s[24:25], v[32:33]
	v_add_co_u32_e64 v26, s[0:1], s29, v26
	v_addc_co_u32_e64 v27, s[0:1], 0, v27, s[0:1]
	s_cbranch_vccz .LBB103_28
.LBB103_4:                              ; =>This Inner Loop Header: Depth=1
	v_mov_b32_e32 v33, s25
	v_add_co_u32_e32 v32, vcc, s24, v0
	v_addc_co_u32_e32 v33, vcc, 0, v33, vcc
	v_cmp_gt_u64_e32 vcc, s[22:23], v[32:33]
	v_mov_b32_e32 v33, 0
	v_mov_b32_e32 v32, 0
	s_and_saveexec_b64 s[2:3], vcc
	s_cbranch_execz .LBB103_6
; %bb.5:                                ;   in Loop: Header=BB103_4 Depth=1
	v_mov_b32_e32 v32, s17
	v_add_co_u32_e64 v34, s[0:1], s16, v14
	v_addc_co_u32_e64 v35, s[0:1], v15, v32, s[0:1]
	v_add_co_u32_e64 v36, s[0:1], s16, v16
	v_addc_co_u32_e64 v37, s[0:1], v17, v32, s[0:1]
	global_load_ushort v32, v[34:35], off
	global_load_ushort v33, v[36:37], off
.LBB103_6:                              ;   in Loop: Header=BB103_4 Depth=1
	s_or_b64 exec, exec, s[2:3]
	v_mov_b32_e32 v34, 0
	v_mov_b32_e32 v35, 0
	s_and_saveexec_b64 s[2:3], vcc
	s_cbranch_execz .LBB103_8
; %bb.7:                                ;   in Loop: Header=BB103_4 Depth=1
	v_mov_b32_e32 v36, s17
	v_add_co_u32_e64 v35, s[0:1], s16, v18
	v_addc_co_u32_e64 v36, s[0:1], v19, v36, s[0:1]
	global_load_ushort v35, v[35:36], off
.LBB103_8:                              ;   in Loop: Header=BB103_4 Depth=1
	s_or_b64 exec, exec, s[2:3]
	v_mov_b32_e32 v37, s25
	v_add_co_u32_e64 v36, s[0:1], s24, v20
	v_addc_co_u32_e64 v37, s[0:1], v21, v37, s[0:1]
	v_cmp_gt_u64_e64 s[0:1], s[22:23], v[36:37]
	v_mov_b32_e32 v36, 0
	s_and_saveexec_b64 s[6:7], s[0:1]
	s_cbranch_execz .LBB103_10
; %bb.9:                                ;   in Loop: Header=BB103_4 Depth=1
	v_mov_b32_e32 v34, s17
	v_add_co_u32_e64 v37, s[2:3], s16, v24
	v_addc_co_u32_e64 v38, s[2:3], v25, v34, s[2:3]
	v_add_co_u32_e64 v39, s[2:3], s16, v22
	v_addc_co_u32_e64 v40, s[2:3], v23, v34, s[2:3]
	global_load_ushort v36, v[39:40], off
	global_load_ushort v34, v[37:38], off
.LBB103_10:                             ;   in Loop: Header=BB103_4 Depth=1
	s_or_b64 exec, exec, s[6:7]
	v_mov_b32_e32 v37, 0
	v_mov_b32_e32 v38, 0
	s_and_saveexec_b64 s[6:7], s[0:1]
	s_cbranch_execz .LBB103_12
; %bb.11:                               ;   in Loop: Header=BB103_4 Depth=1
	v_mov_b32_e32 v39, s17
	v_add_co_u32_e64 v38, s[2:3], s16, v26
	v_addc_co_u32_e64 v39, s[2:3], v27, v39, s[2:3]
	global_load_ushort v38, v[38:39], off
.LBB103_12:                             ;   in Loop: Header=BB103_4 Depth=1
	s_or_b64 exec, exec, s[6:7]
	v_mov_b32_e32 v40, s25
	v_add_co_u32_e64 v39, s[2:3], s24, v30
	v_addc_co_u32_e64 v40, s[2:3], v31, v40, s[2:3]
	v_cmp_gt_u64_e64 s[2:3], s[22:23], v[39:40]
	v_mov_b32_e32 v39, 0
	s_and_saveexec_b64 s[8:9], s[2:3]
	s_cbranch_execz .LBB103_14
; %bb.13:                               ;   in Loop: Header=BB103_4 Depth=1
	v_mov_b32_e32 v37, s17
	v_add_co_u32_e64 v40, s[6:7], s16, v10
	v_addc_co_u32_e64 v41, s[6:7], v11, v37, s[6:7]
	v_add_co_u32_e64 v42, s[6:7], s16, v8
	v_addc_co_u32_e64 v43, s[6:7], v9, v37, s[6:7]
	global_load_ushort v39, v[42:43], off
	global_load_ushort v37, v[40:41], off
.LBB103_14:                             ;   in Loop: Header=BB103_4 Depth=1
	s_or_b64 exec, exec, s[8:9]
	v_mov_b32_e32 v40, 0
	v_mov_b32_e32 v41, 0
	s_and_saveexec_b64 s[8:9], s[2:3]
	s_cbranch_execz .LBB103_16
; %bb.15:                               ;   in Loop: Header=BB103_4 Depth=1
	v_mov_b32_e32 v42, s17
	v_add_co_u32_e64 v41, s[6:7], s16, v12
	v_addc_co_u32_e64 v42, s[6:7], v13, v42, s[6:7]
	global_load_ushort v41, v[41:42], off
.LBB103_16:                             ;   in Loop: Header=BB103_4 Depth=1
	s_or_b64 exec, exec, s[8:9]
	v_mov_b32_e32 v43, s25
	v_add_co_u32_e64 v42, s[6:7], s24, v28
	v_addc_co_u32_e64 v43, s[6:7], v29, v43, s[6:7]
	v_cmp_gt_u64_e64 s[6:7], s[22:23], v[42:43]
	v_mov_b32_e32 v42, 0
	s_and_saveexec_b64 s[26:27], s[6:7]
	s_cbranch_execnz .LBB103_22
; %bb.17:                               ;   in Loop: Header=BB103_4 Depth=1
	s_or_b64 exec, exec, s[26:27]
	v_mov_b32_e32 v43, 0
	s_and_saveexec_b64 s[26:27], s[6:7]
	s_cbranch_execnz .LBB103_23
.LBB103_18:                             ;   in Loop: Header=BB103_4 Depth=1
	s_or_b64 exec, exec, s[26:27]
	s_and_saveexec_b64 s[8:9], vcc
	s_cbranch_execnz .LBB103_24
.LBB103_19:                             ;   in Loop: Header=BB103_4 Depth=1
	s_or_b64 exec, exec, s[8:9]
	s_and_saveexec_b64 s[8:9], s[0:1]
	s_cbranch_execnz .LBB103_25
.LBB103_20:                             ;   in Loop: Header=BB103_4 Depth=1
	s_or_b64 exec, exec, s[8:9]
	s_and_saveexec_b64 s[0:1], s[2:3]
	s_cbranch_execnz .LBB103_26
.LBB103_21:                             ;   in Loop: Header=BB103_4 Depth=1
	s_or_b64 exec, exec, s[0:1]
	s_and_saveexec_b64 s[0:1], s[6:7]
	s_cbranch_execz .LBB103_3
	s_branch .LBB103_27
.LBB103_22:                             ;   in Loop: Header=BB103_4 Depth=1
	v_mov_b32_e32 v40, s17
	v_add_co_u32_e64 v43, s[8:9], s16, v4
	v_addc_co_u32_e64 v44, s[8:9], v5, v40, s[8:9]
	v_add_co_u32_e64 v45, s[8:9], s16, v1
	v_addc_co_u32_e64 v46, s[8:9], v2, v40, s[8:9]
	global_load_ushort v42, v[45:46], off
	global_load_ushort v40, v[43:44], off
	s_or_b64 exec, exec, s[26:27]
	v_mov_b32_e32 v43, 0
	s_and_saveexec_b64 s[26:27], s[6:7]
	s_cbranch_execz .LBB103_18
.LBB103_23:                             ;   in Loop: Header=BB103_4 Depth=1
	v_mov_b32_e32 v44, s17
	v_add_co_u32_e64 v43, s[8:9], s16, v6
	v_addc_co_u32_e64 v44, s[8:9], v7, v44, s[8:9]
	global_load_ushort v43, v[43:44], off
	s_or_b64 exec, exec, s[26:27]
	s_and_saveexec_b64 s[8:9], vcc
	s_cbranch_execz .LBB103_19
.LBB103_24:                             ;   in Loop: Header=BB103_4 Depth=1
	s_waitcnt vmcnt(0)
	v_mul_lo_u16_e32 v33, v33, v3
	v_mad_legacy_u16 v35, v33, v35, v32
	v_mov_b32_e32 v33, s17
	v_add_co_u32_e32 v32, vcc, s16, v14
	v_addc_co_u32_e32 v33, vcc, v15, v33, vcc
	global_store_short v[32:33], v35, off
	s_or_b64 exec, exec, s[8:9]
	s_and_saveexec_b64 s[8:9], s[0:1]
	s_cbranch_execz .LBB103_20
.LBB103_25:                             ;   in Loop: Header=BB103_4 Depth=1
	s_waitcnt vmcnt(0)
	v_mul_lo_u16_e32 v32, v34, v3
	v_mad_legacy_u16 v34, v32, v38, v36
	v_mov_b32_e32 v33, s17
	v_add_co_u32_e32 v32, vcc, s16, v22
	v_addc_co_u32_e32 v33, vcc, v23, v33, vcc
	global_store_short v[32:33], v34, off
	s_or_b64 exec, exec, s[8:9]
	s_and_saveexec_b64 s[0:1], s[2:3]
	s_cbranch_execz .LBB103_21
.LBB103_26:                             ;   in Loop: Header=BB103_4 Depth=1
	s_waitcnt vmcnt(0)
	v_mul_lo_u16_e32 v32, v37, v3
	v_mad_legacy_u16 v34, v32, v41, v39
	v_mov_b32_e32 v33, s17
	v_add_co_u32_e32 v32, vcc, s16, v8
	v_addc_co_u32_e32 v33, vcc, v9, v33, vcc
	global_store_short v[32:33], v34, off
	s_or_b64 exec, exec, s[0:1]
	s_and_saveexec_b64 s[0:1], s[6:7]
	s_cbranch_execz .LBB103_3
.LBB103_27:                             ;   in Loop: Header=BB103_4 Depth=1
	s_waitcnt vmcnt(0)
	v_mul_lo_u16_e32 v32, v40, v3
	v_mad_legacy_u16 v34, v32, v43, v42
	v_mov_b32_e32 v33, s17
	v_add_co_u32_e32 v32, vcc, s16, v1
	v_addc_co_u32_e32 v33, vcc, v2, v33, vcc
	global_store_short v[32:33], v34, off
	s_branch .LBB103_3
.LBB103_28:
	s_mov_b64 s[0:1], 0
.LBB103_29:
	s_andn2_b64 vcc, exec, s[0:1]
	s_cbranch_vccnz .LBB103_33
; %bb.30:
	v_mov_b32_e32 v1, 0x10000
	v_mov_b32_e32 v2, 0
	v_cmp_lt_i64_e32 vcc, s[18:19], v[1:2]
	v_mov_b32_e32 v2, 0
	s_and_b64 s[0:1], vcc, exec
	s_cselect_b32 s1, s19, 0
	s_cselect_b32 s0, s18, 0x10000
	v_lshlrev_b32_e32 v1, 2, v0
	v_cmp_gt_i64_e32 vcc, s[0:1], v[1:2]
	s_and_saveexec_b64 s[2:3], vcc
	s_cbranch_execz .LBB103_33
; %bb.31:
	s_load_dword s2, s[4:5], 0xcb4
	v_mov_b32_e32 v1, v2
	v_lshlrev_b32_e32 v2, 3, v0
	v_mov_b32_e32 v4, s17
	v_add_co_u32_e32 v2, vcc, s16, v2
	s_waitcnt lgkmcnt(0)
	s_and_b32 s4, s2, 0xffff
	v_addc_co_u32_e32 v4, vcc, 0, v4, vcc
	s_lshl_b32 s5, s4, 3
	s_mov_b64 s[2:3], 0
	v_mov_b32_e32 v5, s11
	v_mov_b32_e32 v6, s13
	;; [unrolled: 1-line block ×3, first 2 shown]
.LBB103_32:                             ; =>This Inner Loop Header: Depth=1
	v_add_co_u32_e32 v8, vcc, s10, v2
	v_addc_co_u32_e32 v9, vcc, v5, v4, vcc
	v_add_co_u32_e32 v10, vcc, s12, v2
	v_addc_co_u32_e32 v11, vcc, v6, v4, vcc
	;; [unrolled: 2-line block ×3, first 2 shown]
	global_load_dwordx2 v[14:15], v[10:11], off
	global_load_dwordx2 v[16:17], v[8:9], off
	;; [unrolled: 1-line block ×3, first 2 shown]
	v_add_co_u32_e32 v0, vcc, s4, v0
	v_addc_co_u32_e32 v1, vcc, 0, v1, vcc
	v_add_co_u32_e32 v2, vcc, s5, v2
	v_lshlrev_b64 v[10:11], 2, v[0:1]
	v_addc_co_u32_e32 v4, vcc, 0, v4, vcc
	v_cmp_le_i64_e32 vcc, s[0:1], v[10:11]
	s_or_b64 s[2:3], vcc, s[2:3]
	s_waitcnt vmcnt(2)
	v_mul_lo_u16_e32 v10, v3, v14
	s_waitcnt vmcnt(1)
	v_lshrrev_b32_e32 v11, 16, v16
	s_waitcnt vmcnt(0)
	v_lshrrev_b32_e32 v12, 16, v18
	v_mul_lo_u16_sdwa v13, v3, v14 dst_sel:DWORD dst_unused:UNUSED_PAD src0_sel:DWORD src1_sel:WORD_1
	v_mul_lo_u16_e32 v14, v3, v15
	v_lshrrev_b32_e32 v20, 16, v17
	v_lshrrev_b32_e32 v21, 16, v19
	v_mul_lo_u16_sdwa v15, v3, v15 dst_sel:DWORD dst_unused:UNUSED_PAD src0_sel:DWORD src1_sel:WORD_1
	v_mul_lo_u16_e32 v10, v10, v18
	v_mad_legacy_u16 v11, v13, v12, v11
	v_mad_legacy_u16 v13, v15, v21, v20
	v_add_u16_e32 v10, v10, v16
	v_lshlrev_b32_e32 v11, 16, v11
	v_mad_legacy_u16 v12, v14, v19, v17
	v_lshlrev_b32_e32 v13, 16, v13
	v_or_b32_e32 v10, v11, v10
	v_or3_b32 v11, 0, v12, v13
	v_or3_b32 v10, v10, 0, 0
	global_store_dwordx2 v[8:9], v[10:11], off
	s_andn2_b64 exec, exec, s[2:3]
	s_cbranch_execnz .LBB103_32
.LBB103_33:
	s_endpgm
	.section	.rodata,"a",@progbits
	.p2align	6, 0x0
	.amdhsa_kernel _ZN2at6native12_GLOBAL__N_125multi_tensor_apply_kernelINS1_28TensorListScalarListMetadataIsLi3EEENS1_28PointwiseOpScalarListFunctorIsLi3ELi3ELi0EEEJSt10multipliesIsEEEEvT_T0_DpT1_
		.amdhsa_group_segment_fixed_size 0
		.amdhsa_private_segment_fixed_size 0
		.amdhsa_kernarg_size 3496
		.amdhsa_user_sgpr_count 6
		.amdhsa_user_sgpr_private_segment_buffer 1
		.amdhsa_user_sgpr_dispatch_ptr 0
		.amdhsa_user_sgpr_queue_ptr 0
		.amdhsa_user_sgpr_kernarg_segment_ptr 1
		.amdhsa_user_sgpr_dispatch_id 0
		.amdhsa_user_sgpr_flat_scratch_init 0
		.amdhsa_user_sgpr_private_segment_size 0
		.amdhsa_uses_dynamic_stack 0
		.amdhsa_system_sgpr_private_segment_wavefront_offset 0
		.amdhsa_system_sgpr_workgroup_id_x 1
		.amdhsa_system_sgpr_workgroup_id_y 0
		.amdhsa_system_sgpr_workgroup_id_z 0
		.amdhsa_system_sgpr_workgroup_info 0
		.amdhsa_system_vgpr_workitem_id 0
		.amdhsa_next_free_vgpr 47
		.amdhsa_next_free_sgpr 30
		.amdhsa_reserve_vcc 1
		.amdhsa_reserve_flat_scratch 0
		.amdhsa_float_round_mode_32 0
		.amdhsa_float_round_mode_16_64 0
		.amdhsa_float_denorm_mode_32 3
		.amdhsa_float_denorm_mode_16_64 3
		.amdhsa_dx10_clamp 1
		.amdhsa_ieee_mode 1
		.amdhsa_fp16_overflow 0
		.amdhsa_exception_fp_ieee_invalid_op 0
		.amdhsa_exception_fp_denorm_src 0
		.amdhsa_exception_fp_ieee_div_zero 0
		.amdhsa_exception_fp_ieee_overflow 0
		.amdhsa_exception_fp_ieee_underflow 0
		.amdhsa_exception_fp_ieee_inexact 0
		.amdhsa_exception_int_div_zero 0
	.end_amdhsa_kernel
	.section	.text._ZN2at6native12_GLOBAL__N_125multi_tensor_apply_kernelINS1_28TensorListScalarListMetadataIsLi3EEENS1_28PointwiseOpScalarListFunctorIsLi3ELi3ELi0EEEJSt10multipliesIsEEEEvT_T0_DpT1_,"axG",@progbits,_ZN2at6native12_GLOBAL__N_125multi_tensor_apply_kernelINS1_28TensorListScalarListMetadataIsLi3EEENS1_28PointwiseOpScalarListFunctorIsLi3ELi3ELi0EEEJSt10multipliesIsEEEEvT_T0_DpT1_,comdat
.Lfunc_end103:
	.size	_ZN2at6native12_GLOBAL__N_125multi_tensor_apply_kernelINS1_28TensorListScalarListMetadataIsLi3EEENS1_28PointwiseOpScalarListFunctorIsLi3ELi3ELi0EEEJSt10multipliesIsEEEEvT_T0_DpT1_, .Lfunc_end103-_ZN2at6native12_GLOBAL__N_125multi_tensor_apply_kernelINS1_28TensorListScalarListMetadataIsLi3EEENS1_28PointwiseOpScalarListFunctorIsLi3ELi3ELi0EEEJSt10multipliesIsEEEEvT_T0_DpT1_
                                        ; -- End function
	.set _ZN2at6native12_GLOBAL__N_125multi_tensor_apply_kernelINS1_28TensorListScalarListMetadataIsLi3EEENS1_28PointwiseOpScalarListFunctorIsLi3ELi3ELi0EEEJSt10multipliesIsEEEEvT_T0_DpT1_.num_vgpr, 47
	.set _ZN2at6native12_GLOBAL__N_125multi_tensor_apply_kernelINS1_28TensorListScalarListMetadataIsLi3EEENS1_28PointwiseOpScalarListFunctorIsLi3ELi3ELi0EEEJSt10multipliesIsEEEEvT_T0_DpT1_.num_agpr, 0
	.set _ZN2at6native12_GLOBAL__N_125multi_tensor_apply_kernelINS1_28TensorListScalarListMetadataIsLi3EEENS1_28PointwiseOpScalarListFunctorIsLi3ELi3ELi0EEEJSt10multipliesIsEEEEvT_T0_DpT1_.numbered_sgpr, 30
	.set _ZN2at6native12_GLOBAL__N_125multi_tensor_apply_kernelINS1_28TensorListScalarListMetadataIsLi3EEENS1_28PointwiseOpScalarListFunctorIsLi3ELi3ELi0EEEJSt10multipliesIsEEEEvT_T0_DpT1_.num_named_barrier, 0
	.set _ZN2at6native12_GLOBAL__N_125multi_tensor_apply_kernelINS1_28TensorListScalarListMetadataIsLi3EEENS1_28PointwiseOpScalarListFunctorIsLi3ELi3ELi0EEEJSt10multipliesIsEEEEvT_T0_DpT1_.private_seg_size, 0
	.set _ZN2at6native12_GLOBAL__N_125multi_tensor_apply_kernelINS1_28TensorListScalarListMetadataIsLi3EEENS1_28PointwiseOpScalarListFunctorIsLi3ELi3ELi0EEEJSt10multipliesIsEEEEvT_T0_DpT1_.uses_vcc, 1
	.set _ZN2at6native12_GLOBAL__N_125multi_tensor_apply_kernelINS1_28TensorListScalarListMetadataIsLi3EEENS1_28PointwiseOpScalarListFunctorIsLi3ELi3ELi0EEEJSt10multipliesIsEEEEvT_T0_DpT1_.uses_flat_scratch, 0
	.set _ZN2at6native12_GLOBAL__N_125multi_tensor_apply_kernelINS1_28TensorListScalarListMetadataIsLi3EEENS1_28PointwiseOpScalarListFunctorIsLi3ELi3ELi0EEEJSt10multipliesIsEEEEvT_T0_DpT1_.has_dyn_sized_stack, 0
	.set _ZN2at6native12_GLOBAL__N_125multi_tensor_apply_kernelINS1_28TensorListScalarListMetadataIsLi3EEENS1_28PointwiseOpScalarListFunctorIsLi3ELi3ELi0EEEJSt10multipliesIsEEEEvT_T0_DpT1_.has_recursion, 0
	.set _ZN2at6native12_GLOBAL__N_125multi_tensor_apply_kernelINS1_28TensorListScalarListMetadataIsLi3EEENS1_28PointwiseOpScalarListFunctorIsLi3ELi3ELi0EEEJSt10multipliesIsEEEEvT_T0_DpT1_.has_indirect_call, 0
	.section	.AMDGPU.csdata,"",@progbits
; Kernel info:
; codeLenInByte = 1844
; TotalNumSgprs: 34
; NumVgprs: 47
; ScratchSize: 0
; MemoryBound: 0
; FloatMode: 240
; IeeeMode: 1
; LDSByteSize: 0 bytes/workgroup (compile time only)
; SGPRBlocks: 4
; VGPRBlocks: 11
; NumSGPRsForWavesPerEU: 34
; NumVGPRsForWavesPerEU: 47
; Occupancy: 5
; WaveLimiterHint : 0
; COMPUTE_PGM_RSRC2:SCRATCH_EN: 0
; COMPUTE_PGM_RSRC2:USER_SGPR: 6
; COMPUTE_PGM_RSRC2:TRAP_HANDLER: 0
; COMPUTE_PGM_RSRC2:TGID_X_EN: 1
; COMPUTE_PGM_RSRC2:TGID_Y_EN: 0
; COMPUTE_PGM_RSRC2:TGID_Z_EN: 0
; COMPUTE_PGM_RSRC2:TIDIG_COMP_CNT: 0
	.section	.text._ZN2at6native12_GLOBAL__N_125multi_tensor_apply_kernelINS1_28TensorListScalarListMetadataIdLi3EEENS1_28PointwiseOpScalarListFunctorIdLi3ELi3ELi0EEEJSt10multipliesIdEEEEvT_T0_DpT1_,"axG",@progbits,_ZN2at6native12_GLOBAL__N_125multi_tensor_apply_kernelINS1_28TensorListScalarListMetadataIdLi3EEENS1_28PointwiseOpScalarListFunctorIdLi3ELi3ELi0EEEJSt10multipliesIdEEEEvT_T0_DpT1_,comdat
	.globl	_ZN2at6native12_GLOBAL__N_125multi_tensor_apply_kernelINS1_28TensorListScalarListMetadataIdLi3EEENS1_28PointwiseOpScalarListFunctorIdLi3ELi3ELi0EEEJSt10multipliesIdEEEEvT_T0_DpT1_ ; -- Begin function _ZN2at6native12_GLOBAL__N_125multi_tensor_apply_kernelINS1_28TensorListScalarListMetadataIdLi3EEENS1_28PointwiseOpScalarListFunctorIdLi3ELi3ELi0EEEJSt10multipliesIdEEEEvT_T0_DpT1_
	.p2align	8
	.type	_ZN2at6native12_GLOBAL__N_125multi_tensor_apply_kernelINS1_28TensorListScalarListMetadataIdLi3EEENS1_28PointwiseOpScalarListFunctorIdLi3ELi3ELi0EEEJSt10multipliesIdEEEEvT_T0_DpT1_,@function
_ZN2at6native12_GLOBAL__N_125multi_tensor_apply_kernelINS1_28TensorListScalarListMetadataIdLi3EEENS1_28PointwiseOpScalarListFunctorIdLi3ELi3ELi0EEEJSt10multipliesIdEEEEvT_T0_DpT1_: ; @_ZN2at6native12_GLOBAL__N_125multi_tensor_apply_kernelINS1_28TensorListScalarListMetadataIdLi3EEENS1_28PointwiseOpScalarListFunctorIdLi3ELi3ELi0EEEJSt10multipliesIdEEEEvT_T0_DpT1_
; %bb.0:
	v_mov_b32_e32 v1, s6
	global_load_ubyte v1, v1, s[4:5] offset:1920
	s_add_u32 s0, s4, s6
	s_mul_hi_u32 s1, s6, 3
	s_mul_i32 s6, s6, 3
	s_addc_u32 s2, s5, 0
	s_add_u32 s0, s0, s6
	s_addc_u32 s1, s2, s1
	s_load_dword s10, s[0:1], 0x8c0
	s_mov_b32 s9, 0
	s_mov_b32 s19, s9
	s_waitcnt lgkmcnt(0)
	s_ashr_i32 s11, s10, 31
	s_lshl_b64 s[16:17], s[10:11], 19
	s_waitcnt vmcnt(0)
	v_readfirstlane_b32 s0, v1
	s_lshl_b32 s8, s0, 3
	s_load_dwordx2 s[12:13], s[4:5], s8 offset:0x600
	s_load_dwordx2 s[6:7], s[4:5], s8 offset:0x0
	;; [unrolled: 1-line block ×5, first 2 shown]
	s_waitcnt lgkmcnt(0)
	s_add_u32 s28, s6, s16
	s_addc_u32 s29, s7, s17
	s_and_b32 s8, s28, 31
	s_add_u32 s30, s2, s16
	s_addc_u32 s31, s3, s17
	s_add_u32 s33, s0, s16
	s_addc_u32 s34, s1, s17
	s_or_b32 s14, s33, s30
	s_and_b32 s14, s14, 31
	s_cmp_eq_u32 s14, 0
	s_cselect_b64 s[22:23], -1, 0
	s_lshl_b64 s[10:11], s[10:11], 16
	s_sub_u32 s14, s20, s10
	s_subb_u32 s15, s21, s11
	s_and_b32 s18, s20, 3
	s_or_b64 s[8:9], s[8:9], s[18:19]
	s_cmp_eq_u64 s[8:9], 0
	s_cselect_b64 s[8:9], -1, 0
	s_and_b64 s[10:11], s[22:23], s[8:9]
	s_mov_b64 s[8:9], -1
	s_and_b64 vcc, exec, s[10:11]
	s_cbranch_vccnz .LBB104_45
; %bb.1:
	v_cmp_lt_i64_e64 s[8:9], s[14:15], 1
	s_and_b64 vcc, exec, s[8:9]
	s_cbranch_vccnz .LBB104_44
; %bb.2:
	v_mov_b32_e32 v1, 0x10000
	s_load_dword s10, s[4:5], 0xdd4
	v_mov_b32_e32 v2, 0
	v_cmp_lt_i64_e32 vcc, s[14:15], v[1:2]
	v_mov_b32_e32 v3, 0
	s_and_b64 s[8:9], vcc, exec
	s_cselect_b32 s19, s15, 0
	s_cselect_b32 s18, s14, 0x10000
	v_cmp_lt_u64_e32 vcc, s[14:15], v[1:2]
	s_waitcnt lgkmcnt(0)
	s_and_b32 s10, s10, 0xffff
	v_lshlrev_b32_e32 v2, 3, v0
	v_mad_u64_u32 v[3:4], s[8:9], s10, 24, v[2:3]
	s_and_b64 s[8:9], vcc, exec
	v_mov_b32_e32 v7, s7
	v_add_co_u32_e32 v27, vcc, s6, v3
	v_addc_co_u32_e32 v28, vcc, v7, v4, vcc
	v_mov_b32_e32 v7, s3
	v_add_co_u32_e32 v29, vcc, s2, v3
	v_addc_co_u32_e32 v30, vcc, v7, v4, vcc
	v_mov_b32_e32 v7, s1
	v_add_co_u32_e32 v31, vcc, s0, v3
	s_cselect_b32 s21, s15, 0
	s_cselect_b32 s20, s14, 0x10000
	v_addc_co_u32_e32 v32, vcc, v7, v4, vcc
	s_lshl_b32 s8, s10, 4
	v_add_co_u32_e32 v3, vcc, s8, v2
	v_addc_co_u32_e64 v4, s[8:9], 0, 0, vcc
	v_mov_b32_e32 v7, s7
	v_add_co_u32_e32 v33, vcc, s6, v3
	v_addc_co_u32_e32 v34, vcc, v7, v4, vcc
	v_mov_b32_e32 v7, s3
	v_add_co_u32_e32 v35, vcc, s2, v3
	v_addc_co_u32_e32 v36, vcc, v7, v4, vcc
	;; [unrolled: 3-line block ×6, first 2 shown]
	v_add_co_u32_e32 v45, vcc, s10, v0
	v_lshlrev_b32_e32 v1, 3, v45
	v_addc_co_u32_e64 v46, s[8:9], 0, 0, vcc
	v_mov_b32_e32 v2, s7
	v_add_co_u32_e32 v47, vcc, s6, v1
	v_cmp_neq_f64_e64 s[22:23], s[12:13], 1.0
	v_addc_co_u32_e32 v48, vcc, 0, v2, vcc
	v_mov_b32_e32 v2, s3
	v_add_co_u32_e32 v49, vcc, s2, v1
	v_addc_co_u32_e32 v50, vcc, 0, v2, vcc
	v_mov_b32_e32 v2, s1
	v_add_co_u32_e32 v51, vcc, s0, v1
	s_mul_i32 s26, s10, 3
	v_addc_co_u32_e32 v52, vcc, 0, v2, vcc
	s_lshl_b32 s11, s10, 1
	v_add_co_u32_e32 v53, vcc, s26, v0
	v_addc_co_u32_e64 v54, s[0:1], 0, 0, vcc
	v_add_co_u32_e32 v55, vcc, s11, v0
	s_lshl_b32 s35, s10, 2
	s_lshl_b32 s36, s10, 5
	s_mov_b64 s[24:25], 0
	v_addc_co_u32_e64 v56, s[0:1], 0, 0, vcc
	s_branch .LBB104_4
.LBB104_3:                              ;   in Loop: Header=BB104_4 Depth=1
	s_or_b64 exec, exec, s[0:1]
	v_add_co_u32_e32 v39, vcc, s36, v39
	v_addc_co_u32_e32 v40, vcc, 0, v40, vcc
	v_add_co_u32_e32 v41, vcc, s36, v41
	v_addc_co_u32_e32 v42, vcc, 0, v42, vcc
	;; [unrolled: 2-line block ×10, first 2 shown]
	s_add_u32 s24, s24, s35
	v_add_co_u32_e32 v49, vcc, s36, v49
	v_mov_b32_e32 v1, s18
	s_addc_u32 s25, s25, 0
	v_addc_co_u32_e32 v50, vcc, 0, v50, vcc
	v_mov_b32_e32 v2, s19
	v_cmp_ge_i64_e32 vcc, s[24:25], v[1:2]
	v_add_co_u32_e64 v51, s[0:1], s36, v51
	v_addc_co_u32_e64 v52, s[0:1], 0, v52, s[0:1]
	s_cbranch_vccnz .LBB104_44
.LBB104_4:                              ; =>This Inner Loop Header: Depth=1
	v_mov_b32_e32 v2, s25
	v_add_co_u32_e32 v1, vcc, s24, v0
	v_addc_co_u32_e32 v2, vcc, 0, v2, vcc
	v_cmp_gt_u64_e64 s[0:1], s[20:21], v[1:2]
	v_mov_b32_e32 v1, 0
	v_mov_b32_e32 v3, 0
	;; [unrolled: 1-line block ×6, first 2 shown]
	s_and_saveexec_b64 s[2:3], s[0:1]
	s_cbranch_execz .LBB104_6
; %bb.5:                                ;   in Loop: Header=BB104_4 Depth=1
	v_mov_b32_e32 v3, s17
	v_add_co_u32_e32 v7, vcc, s16, v39
	v_addc_co_u32_e32 v8, vcc, v40, v3, vcc
	v_add_co_u32_e32 v9, vcc, s16, v41
	v_addc_co_u32_e32 v10, vcc, v42, v3, vcc
	global_load_dwordx2 v[5:6], v[7:8], off
	global_load_dwordx2 v[3:4], v[9:10], off
.LBB104_6:                              ;   in Loop: Header=BB104_4 Depth=1
	s_or_b64 exec, exec, s[2:3]
	s_and_saveexec_b64 s[2:3], s[0:1]
	s_cbranch_execz .LBB104_8
; %bb.7:                                ;   in Loop: Header=BB104_4 Depth=1
	v_mov_b32_e32 v2, s17
	v_add_co_u32_e32 v1, vcc, s16, v43
	v_addc_co_u32_e32 v2, vcc, v44, v2, vcc
	global_load_dwordx2 v[1:2], v[1:2], off
.LBB104_8:                              ;   in Loop: Header=BB104_4 Depth=1
	s_or_b64 exec, exec, s[2:3]
	v_mov_b32_e32 v8, s25
	v_add_co_u32_e32 v7, vcc, s24, v45
	v_addc_co_u32_e32 v8, vcc, v46, v8, vcc
	v_cmp_gt_u64_e64 s[2:3], s[20:21], v[7:8]
	v_mov_b32_e32 v7, 0
	v_mov_b32_e32 v9, 0
	;; [unrolled: 1-line block ×6, first 2 shown]
	s_and_saveexec_b64 s[6:7], s[2:3]
	s_cbranch_execz .LBB104_10
; %bb.9:                                ;   in Loop: Header=BB104_4 Depth=1
	v_mov_b32_e32 v9, s17
	v_add_co_u32_e32 v13, vcc, s16, v47
	v_addc_co_u32_e32 v14, vcc, v48, v9, vcc
	v_add_co_u32_e32 v15, vcc, s16, v49
	v_addc_co_u32_e32 v16, vcc, v50, v9, vcc
	global_load_dwordx2 v[11:12], v[13:14], off
	global_load_dwordx2 v[9:10], v[15:16], off
.LBB104_10:                             ;   in Loop: Header=BB104_4 Depth=1
	s_or_b64 exec, exec, s[6:7]
	s_and_saveexec_b64 s[6:7], s[2:3]
	s_cbranch_execz .LBB104_12
; %bb.11:                               ;   in Loop: Header=BB104_4 Depth=1
	v_mov_b32_e32 v8, s17
	v_add_co_u32_e32 v7, vcc, s16, v51
	v_addc_co_u32_e32 v8, vcc, v52, v8, vcc
	global_load_dwordx2 v[7:8], v[7:8], off
.LBB104_12:                             ;   in Loop: Header=BB104_4 Depth=1
	s_or_b64 exec, exec, s[6:7]
	v_mov_b32_e32 v14, s25
	v_add_co_u32_e32 v13, vcc, s24, v55
	v_addc_co_u32_e32 v14, vcc, v56, v14, vcc
	v_cmp_gt_u64_e64 s[6:7], s[20:21], v[13:14]
	v_mov_b32_e32 v13, 0
	v_mov_b32_e32 v15, 0
	;; [unrolled: 1-line block ×6, first 2 shown]
	s_and_saveexec_b64 s[8:9], s[6:7]
	s_cbranch_execz .LBB104_14
; %bb.13:                               ;   in Loop: Header=BB104_4 Depth=1
	v_mov_b32_e32 v15, s17
	v_add_co_u32_e32 v19, vcc, s16, v33
	v_addc_co_u32_e32 v20, vcc, v34, v15, vcc
	v_add_co_u32_e32 v21, vcc, s16, v35
	v_addc_co_u32_e32 v22, vcc, v36, v15, vcc
	global_load_dwordx2 v[17:18], v[19:20], off
	global_load_dwordx2 v[15:16], v[21:22], off
.LBB104_14:                             ;   in Loop: Header=BB104_4 Depth=1
	s_or_b64 exec, exec, s[8:9]
	s_and_saveexec_b64 s[8:9], s[6:7]
	s_cbranch_execz .LBB104_16
; %bb.15:                               ;   in Loop: Header=BB104_4 Depth=1
	v_mov_b32_e32 v14, s17
	v_add_co_u32_e32 v13, vcc, s16, v37
	v_addc_co_u32_e32 v14, vcc, v38, v14, vcc
	global_load_dwordx2 v[13:14], v[13:14], off
.LBB104_16:                             ;   in Loop: Header=BB104_4 Depth=1
	s_or_b64 exec, exec, s[8:9]
	v_mov_b32_e32 v20, s25
	v_add_co_u32_e32 v19, vcc, s24, v53
	v_addc_co_u32_e32 v20, vcc, v54, v20, vcc
	v_cmp_gt_u64_e64 s[8:9], s[20:21], v[19:20]
	v_mov_b32_e32 v19, 0
	v_mov_b32_e32 v21, 0
	;; [unrolled: 1-line block ×6, first 2 shown]
	s_and_saveexec_b64 s[10:11], s[8:9]
	s_cbranch_execnz .LBB104_34
; %bb.17:                               ;   in Loop: Header=BB104_4 Depth=1
	s_or_b64 exec, exec, s[10:11]
	s_and_saveexec_b64 s[10:11], s[8:9]
	s_cbranch_execnz .LBB104_35
.LBB104_18:                             ;   in Loop: Header=BB104_4 Depth=1
	s_or_b64 exec, exec, s[10:11]
	s_and_b64 vcc, exec, s[22:23]
	s_cbranch_vccz .LBB104_36
.LBB104_19:                             ;   in Loop: Header=BB104_4 Depth=1
	s_waitcnt vmcnt(0)
	v_mul_f64 v[25:26], v[3:4], v[1:2]
	v_fma_f64 v[25:26], s[12:13], v[25:26], v[5:6]
	s_cbranch_execnz .LBB104_21
.LBB104_20:                             ;   in Loop: Header=BB104_4 Depth=1
	s_waitcnt vmcnt(0)
	v_fma_f64 v[25:26], v[3:4], v[1:2], v[5:6]
.LBB104_21:                             ;   in Loop: Header=BB104_4 Depth=1
	s_waitcnt vmcnt(0)
	v_cndmask_b32_e64 v1, 0, 1, s[22:23]
	v_cmp_ne_u32_e64 s[10:11], 1, v1
	s_andn2_b64 vcc, exec, s[22:23]
	s_cbranch_vccnz .LBB104_41
; %bb.22:                               ;   in Loop: Header=BB104_4 Depth=1
	v_mul_f64 v[1:2], v[9:10], v[7:8]
	v_fma_f64 v[1:2], s[12:13], v[1:2], v[11:12]
	s_cbranch_execnz .LBB104_24
.LBB104_23:                             ;   in Loop: Header=BB104_4 Depth=1
	v_fma_f64 v[1:2], v[9:10], v[7:8], v[11:12]
.LBB104_24:                             ;   in Loop: Header=BB104_4 Depth=1
	s_and_b64 vcc, exec, s[10:11]
	s_cbranch_vccnz .LBB104_42
; %bb.25:                               ;   in Loop: Header=BB104_4 Depth=1
	v_mul_f64 v[3:4], v[15:16], v[13:14]
	v_fma_f64 v[3:4], s[12:13], v[3:4], v[17:18]
	s_cbranch_execnz .LBB104_27
.LBB104_26:                             ;   in Loop: Header=BB104_4 Depth=1
	v_fma_f64 v[3:4], v[15:16], v[13:14], v[17:18]
.LBB104_27:                             ;   in Loop: Header=BB104_4 Depth=1
	s_and_b64 vcc, exec, s[10:11]
	s_cbranch_vccnz .LBB104_43
; %bb.28:                               ;   in Loop: Header=BB104_4 Depth=1
	v_mul_f64 v[5:6], v[21:22], v[19:20]
	v_fma_f64 v[5:6], s[12:13], v[5:6], v[23:24]
	s_cbranch_execnz .LBB104_30
.LBB104_29:                             ;   in Loop: Header=BB104_4 Depth=1
	v_fma_f64 v[5:6], v[21:22], v[19:20], v[23:24]
.LBB104_30:                             ;   in Loop: Header=BB104_4 Depth=1
	s_and_saveexec_b64 s[10:11], s[0:1]
	s_xor_b64 s[0:1], exec, s[10:11]
	s_cbranch_execnz .LBB104_37
; %bb.31:                               ;   in Loop: Header=BB104_4 Depth=1
	s_or_b64 exec, exec, s[0:1]
	s_and_saveexec_b64 s[0:1], s[2:3]
	s_cbranch_execnz .LBB104_38
.LBB104_32:                             ;   in Loop: Header=BB104_4 Depth=1
	s_or_b64 exec, exec, s[0:1]
	s_and_saveexec_b64 s[0:1], s[6:7]
	s_cbranch_execnz .LBB104_39
.LBB104_33:                             ;   in Loop: Header=BB104_4 Depth=1
	s_or_b64 exec, exec, s[0:1]
	s_and_saveexec_b64 s[0:1], s[8:9]
	s_cbranch_execz .LBB104_3
	s_branch .LBB104_40
.LBB104_34:                             ;   in Loop: Header=BB104_4 Depth=1
	v_mov_b32_e32 v21, s17
	v_add_co_u32_e32 v25, vcc, s16, v27
	v_addc_co_u32_e32 v26, vcc, v28, v21, vcc
	v_add_co_u32_e32 v57, vcc, s16, v29
	v_addc_co_u32_e32 v58, vcc, v30, v21, vcc
	global_load_dwordx2 v[23:24], v[25:26], off
	global_load_dwordx2 v[21:22], v[57:58], off
	s_or_b64 exec, exec, s[10:11]
	s_and_saveexec_b64 s[10:11], s[8:9]
	s_cbranch_execz .LBB104_18
.LBB104_35:                             ;   in Loop: Header=BB104_4 Depth=1
	v_mov_b32_e32 v20, s17
	v_add_co_u32_e32 v19, vcc, s16, v31
	v_addc_co_u32_e32 v20, vcc, v32, v20, vcc
	global_load_dwordx2 v[19:20], v[19:20], off
	s_or_b64 exec, exec, s[10:11]
	s_and_b64 vcc, exec, s[22:23]
	s_cbranch_vccnz .LBB104_19
.LBB104_36:                             ;   in Loop: Header=BB104_4 Depth=1
                                        ; implicit-def: $vgpr25_vgpr26
	s_branch .LBB104_20
.LBB104_37:                             ;   in Loop: Header=BB104_4 Depth=1
	v_mov_b32_e32 v8, s17
	v_add_co_u32_e32 v7, vcc, s16, v39
	v_addc_co_u32_e32 v8, vcc, v40, v8, vcc
	global_store_dwordx2 v[7:8], v[25:26], off
	s_or_b64 exec, exec, s[0:1]
	s_and_saveexec_b64 s[0:1], s[2:3]
	s_cbranch_execz .LBB104_32
.LBB104_38:                             ;   in Loop: Header=BB104_4 Depth=1
	v_mov_b32_e32 v8, s17
	v_add_co_u32_e32 v7, vcc, s16, v47
	v_addc_co_u32_e32 v8, vcc, v48, v8, vcc
	global_store_dwordx2 v[7:8], v[1:2], off
	s_or_b64 exec, exec, s[0:1]
	s_and_saveexec_b64 s[0:1], s[6:7]
	s_cbranch_execz .LBB104_33
.LBB104_39:                             ;   in Loop: Header=BB104_4 Depth=1
	v_mov_b32_e32 v2, s17
	v_add_co_u32_e32 v1, vcc, s16, v33
	v_addc_co_u32_e32 v2, vcc, v34, v2, vcc
	global_store_dwordx2 v[1:2], v[3:4], off
	s_or_b64 exec, exec, s[0:1]
	s_and_saveexec_b64 s[0:1], s[8:9]
	s_cbranch_execz .LBB104_3
.LBB104_40:                             ;   in Loop: Header=BB104_4 Depth=1
	v_mov_b32_e32 v2, s17
	v_add_co_u32_e32 v1, vcc, s16, v27
	v_addc_co_u32_e32 v2, vcc, v28, v2, vcc
	global_store_dwordx2 v[1:2], v[5:6], off
	s_branch .LBB104_3
.LBB104_41:                             ;   in Loop: Header=BB104_4 Depth=1
                                        ; implicit-def: $vgpr1_vgpr2
	s_branch .LBB104_23
.LBB104_42:                             ;   in Loop: Header=BB104_4 Depth=1
                                        ; implicit-def: $vgpr3_vgpr4
	s_branch .LBB104_26
.LBB104_43:                             ;   in Loop: Header=BB104_4 Depth=1
                                        ; implicit-def: $vgpr5_vgpr6
	s_branch .LBB104_29
.LBB104_44:
	s_mov_b64 s[8:9], 0
.LBB104_45:
	s_andn2_b64 vcc, exec, s[8:9]
	s_cbranch_vccnz .LBB104_65
; %bb.46:
	v_mov_b32_e32 v1, 0x10000
	v_mov_b32_e32 v2, 0
	v_cmp_lt_i64_e32 vcc, s[14:15], v[1:2]
	v_mov_b32_e32 v2, 0
	s_and_b64 s[0:1], vcc, exec
	s_cselect_b32 s3, s15, 0
	s_cselect_b32 s2, s14, 0x10000
	v_lshlrev_b32_e32 v1, 2, v0
	v_cmp_gt_i64_e32 vcc, s[2:3], v[1:2]
	s_and_saveexec_b64 s[0:1], vcc
	s_cbranch_execz .LBB104_65
; %bb.47:
	s_load_dword s0, s[4:5], 0xdd4
	v_cmp_neq_f64_e64 s[4:5], s[12:13], 1.0
	v_mov_b32_e32 v1, v2
	v_lshlrev_b32_e32 v30, 5, v0
	s_mov_b64 s[6:7], 0
	s_waitcnt lgkmcnt(0)
	s_and_b32 s10, s0, 0xffff
	s_lshl_b32 s11, s10, 5
	s_branch .LBB104_49
.LBB104_48:                             ;   in Loop: Header=BB104_49 Depth=1
	v_add_co_u32_e32 v0, vcc, s10, v0
	s_add_u32 s33, s33, s11
	v_addc_co_u32_e32 v1, vcc, 0, v1, vcc
	s_addc_u32 s34, s34, 0
	v_lshlrev_b64 v[2:3], 2, v[0:1]
	s_add_u32 s28, s28, s11
	s_addc_u32 s29, s29, 0
	s_add_u32 s30, s30, s11
	v_cmp_le_i64_e32 vcc, s[2:3], v[2:3]
	s_addc_u32 s31, s31, 0
	s_or_b64 s[6:7], vcc, s[6:7]
	global_store_dwordx4 v[28:29], v[14:17], off
	s_waitcnt vmcnt(3)
	global_store_dwordx4 v[28:29], v[18:21], off offset:16
	s_andn2_b64 exec, exec, s[6:7]
	s_cbranch_execz .LBB104_65
.LBB104_49:                             ; =>This Inner Loop Header: Depth=1
	v_mov_b32_e32 v2, s29
	v_add_co_u32_e32 v28, vcc, s28, v30
	v_addc_co_u32_e32 v29, vcc, 0, v2, vcc
	v_mov_b32_e32 v6, s31
	s_waitcnt vmcnt(3)
	v_add_co_u32_e32 v10, vcc, s30, v30
	v_addc_co_u32_e32 v11, vcc, 0, v6, vcc
	global_load_dwordx4 v[2:5], v[28:29], off offset:16
	global_load_dwordx4 v[16:19], v[28:29], off
	global_load_dwordx4 v[6:9], v[10:11], off offset:16
	global_load_dwordx4 v[20:23], v[10:11], off
	v_mov_b32_e32 v10, s34
	v_add_co_u32_e32 v14, vcc, s33, v30
	v_addc_co_u32_e32 v15, vcc, 0, v10, vcc
	global_load_dwordx4 v[10:13], v[14:15], off offset:16
	global_load_dwordx4 v[24:27], v[14:15], off
	s_and_b64 vcc, exec, s[4:5]
	s_cbranch_vccz .LBB104_60
; %bb.50:                               ;   in Loop: Header=BB104_49 Depth=1
	s_waitcnt vmcnt(0)
	v_mul_f64 v[14:15], v[20:21], v[24:25]
	v_fma_f64 v[14:15], s[12:13], v[14:15], v[16:17]
	s_cbranch_execnz .LBB104_52
.LBB104_51:                             ;   in Loop: Header=BB104_49 Depth=1
	s_waitcnt vmcnt(0)
	v_fma_f64 v[14:15], v[20:21], v[24:25], v[16:17]
.LBB104_52:                             ;   in Loop: Header=BB104_49 Depth=1
	s_waitcnt vmcnt(4)
	v_cndmask_b32_e64 v16, 0, 1, s[4:5]
	v_cmp_ne_u32_e64 s[0:1], 1, v16
	s_andn2_b64 vcc, exec, s[4:5]
	s_cbranch_vccnz .LBB104_61
; %bb.53:                               ;   in Loop: Header=BB104_49 Depth=1
	s_waitcnt vmcnt(0)
	v_mul_f64 v[16:17], v[22:23], v[26:27]
	v_fma_f64 v[16:17], s[12:13], v[16:17], v[18:19]
	s_cbranch_execnz .LBB104_55
.LBB104_54:                             ;   in Loop: Header=BB104_49 Depth=1
	s_waitcnt vmcnt(0)
	v_fma_f64 v[16:17], v[22:23], v[26:27], v[18:19]
.LBB104_55:                             ;   in Loop: Header=BB104_49 Depth=1
	s_and_b64 vcc, exec, s[0:1]
	s_cbranch_vccnz .LBB104_62
; %bb.56:                               ;   in Loop: Header=BB104_49 Depth=1
	s_waitcnt vmcnt(1)
	v_mul_f64 v[18:19], v[6:7], v[10:11]
	v_fma_f64 v[18:19], s[12:13], v[18:19], v[2:3]
	s_cbranch_execnz .LBB104_58
.LBB104_57:                             ;   in Loop: Header=BB104_49 Depth=1
	s_waitcnt vmcnt(1)
	v_fma_f64 v[18:19], v[6:7], v[10:11], v[2:3]
.LBB104_58:                             ;   in Loop: Header=BB104_49 Depth=1
	s_and_b64 vcc, exec, s[0:1]
	s_cbranch_vccnz .LBB104_63
; %bb.59:                               ;   in Loop: Header=BB104_49 Depth=1
	s_waitcnt vmcnt(1)
	v_mul_f64 v[2:3], v[8:9], v[12:13]
	v_fma_f64 v[20:21], s[12:13], v[2:3], v[4:5]
	s_cbranch_execnz .LBB104_48
	s_branch .LBB104_64
.LBB104_60:                             ;   in Loop: Header=BB104_49 Depth=1
                                        ; implicit-def: $vgpr14_vgpr15
	s_branch .LBB104_51
.LBB104_61:                             ;   in Loop: Header=BB104_49 Depth=1
	s_branch .LBB104_54
.LBB104_62:                             ;   in Loop: Header=BB104_49 Depth=1
                                        ; implicit-def: $vgpr18_vgpr19
	s_branch .LBB104_57
.LBB104_63:                             ;   in Loop: Header=BB104_49 Depth=1
.LBB104_64:                             ;   in Loop: Header=BB104_49 Depth=1
	s_waitcnt vmcnt(1)
	v_fma_f64 v[20:21], v[8:9], v[12:13], v[4:5]
	s_branch .LBB104_48
.LBB104_65:
	s_endpgm
	.section	.rodata,"a",@progbits
	.p2align	6, 0x0
	.amdhsa_kernel _ZN2at6native12_GLOBAL__N_125multi_tensor_apply_kernelINS1_28TensorListScalarListMetadataIdLi3EEENS1_28PointwiseOpScalarListFunctorIdLi3ELi3ELi0EEEJSt10multipliesIdEEEEvT_T0_DpT1_
		.amdhsa_group_segment_fixed_size 0
		.amdhsa_private_segment_fixed_size 0
		.amdhsa_kernarg_size 3784
		.amdhsa_user_sgpr_count 6
		.amdhsa_user_sgpr_private_segment_buffer 1
		.amdhsa_user_sgpr_dispatch_ptr 0
		.amdhsa_user_sgpr_queue_ptr 0
		.amdhsa_user_sgpr_kernarg_segment_ptr 1
		.amdhsa_user_sgpr_dispatch_id 0
		.amdhsa_user_sgpr_flat_scratch_init 0
		.amdhsa_user_sgpr_private_segment_size 0
		.amdhsa_uses_dynamic_stack 0
		.amdhsa_system_sgpr_private_segment_wavefront_offset 0
		.amdhsa_system_sgpr_workgroup_id_x 1
		.amdhsa_system_sgpr_workgroup_id_y 0
		.amdhsa_system_sgpr_workgroup_id_z 0
		.amdhsa_system_sgpr_workgroup_info 0
		.amdhsa_system_vgpr_workitem_id 0
		.amdhsa_next_free_vgpr 59
		.amdhsa_next_free_sgpr 37
		.amdhsa_reserve_vcc 1
		.amdhsa_reserve_flat_scratch 0
		.amdhsa_float_round_mode_32 0
		.amdhsa_float_round_mode_16_64 0
		.amdhsa_float_denorm_mode_32 3
		.amdhsa_float_denorm_mode_16_64 3
		.amdhsa_dx10_clamp 1
		.amdhsa_ieee_mode 1
		.amdhsa_fp16_overflow 0
		.amdhsa_exception_fp_ieee_invalid_op 0
		.amdhsa_exception_fp_denorm_src 0
		.amdhsa_exception_fp_ieee_div_zero 0
		.amdhsa_exception_fp_ieee_overflow 0
		.amdhsa_exception_fp_ieee_underflow 0
		.amdhsa_exception_fp_ieee_inexact 0
		.amdhsa_exception_int_div_zero 0
	.end_amdhsa_kernel
	.section	.text._ZN2at6native12_GLOBAL__N_125multi_tensor_apply_kernelINS1_28TensorListScalarListMetadataIdLi3EEENS1_28PointwiseOpScalarListFunctorIdLi3ELi3ELi0EEEJSt10multipliesIdEEEEvT_T0_DpT1_,"axG",@progbits,_ZN2at6native12_GLOBAL__N_125multi_tensor_apply_kernelINS1_28TensorListScalarListMetadataIdLi3EEENS1_28PointwiseOpScalarListFunctorIdLi3ELi3ELi0EEEJSt10multipliesIdEEEEvT_T0_DpT1_,comdat
.Lfunc_end104:
	.size	_ZN2at6native12_GLOBAL__N_125multi_tensor_apply_kernelINS1_28TensorListScalarListMetadataIdLi3EEENS1_28PointwiseOpScalarListFunctorIdLi3ELi3ELi0EEEJSt10multipliesIdEEEEvT_T0_DpT1_, .Lfunc_end104-_ZN2at6native12_GLOBAL__N_125multi_tensor_apply_kernelINS1_28TensorListScalarListMetadataIdLi3EEENS1_28PointwiseOpScalarListFunctorIdLi3ELi3ELi0EEEJSt10multipliesIdEEEEvT_T0_DpT1_
                                        ; -- End function
	.set _ZN2at6native12_GLOBAL__N_125multi_tensor_apply_kernelINS1_28TensorListScalarListMetadataIdLi3EEENS1_28PointwiseOpScalarListFunctorIdLi3ELi3ELi0EEEJSt10multipliesIdEEEEvT_T0_DpT1_.num_vgpr, 59
	.set _ZN2at6native12_GLOBAL__N_125multi_tensor_apply_kernelINS1_28TensorListScalarListMetadataIdLi3EEENS1_28PointwiseOpScalarListFunctorIdLi3ELi3ELi0EEEJSt10multipliesIdEEEEvT_T0_DpT1_.num_agpr, 0
	.set _ZN2at6native12_GLOBAL__N_125multi_tensor_apply_kernelINS1_28TensorListScalarListMetadataIdLi3EEENS1_28PointwiseOpScalarListFunctorIdLi3ELi3ELi0EEEJSt10multipliesIdEEEEvT_T0_DpT1_.numbered_sgpr, 37
	.set _ZN2at6native12_GLOBAL__N_125multi_tensor_apply_kernelINS1_28TensorListScalarListMetadataIdLi3EEENS1_28PointwiseOpScalarListFunctorIdLi3ELi3ELi0EEEJSt10multipliesIdEEEEvT_T0_DpT1_.num_named_barrier, 0
	.set _ZN2at6native12_GLOBAL__N_125multi_tensor_apply_kernelINS1_28TensorListScalarListMetadataIdLi3EEENS1_28PointwiseOpScalarListFunctorIdLi3ELi3ELi0EEEJSt10multipliesIdEEEEvT_T0_DpT1_.private_seg_size, 0
	.set _ZN2at6native12_GLOBAL__N_125multi_tensor_apply_kernelINS1_28TensorListScalarListMetadataIdLi3EEENS1_28PointwiseOpScalarListFunctorIdLi3ELi3ELi0EEEJSt10multipliesIdEEEEvT_T0_DpT1_.uses_vcc, 1
	.set _ZN2at6native12_GLOBAL__N_125multi_tensor_apply_kernelINS1_28TensorListScalarListMetadataIdLi3EEENS1_28PointwiseOpScalarListFunctorIdLi3ELi3ELi0EEEJSt10multipliesIdEEEEvT_T0_DpT1_.uses_flat_scratch, 0
	.set _ZN2at6native12_GLOBAL__N_125multi_tensor_apply_kernelINS1_28TensorListScalarListMetadataIdLi3EEENS1_28PointwiseOpScalarListFunctorIdLi3ELi3ELi0EEEJSt10multipliesIdEEEEvT_T0_DpT1_.has_dyn_sized_stack, 0
	.set _ZN2at6native12_GLOBAL__N_125multi_tensor_apply_kernelINS1_28TensorListScalarListMetadataIdLi3EEENS1_28PointwiseOpScalarListFunctorIdLi3ELi3ELi0EEEJSt10multipliesIdEEEEvT_T0_DpT1_.has_recursion, 0
	.set _ZN2at6native12_GLOBAL__N_125multi_tensor_apply_kernelINS1_28TensorListScalarListMetadataIdLi3EEENS1_28PointwiseOpScalarListFunctorIdLi3ELi3ELi0EEEJSt10multipliesIdEEEEvT_T0_DpT1_.has_indirect_call, 0
	.section	.AMDGPU.csdata,"",@progbits
; Kernel info:
; codeLenInByte = 2052
; TotalNumSgprs: 41
; NumVgprs: 59
; ScratchSize: 0
; MemoryBound: 1
; FloatMode: 240
; IeeeMode: 1
; LDSByteSize: 0 bytes/workgroup (compile time only)
; SGPRBlocks: 5
; VGPRBlocks: 14
; NumSGPRsForWavesPerEU: 41
; NumVGPRsForWavesPerEU: 59
; Occupancy: 4
; WaveLimiterHint : 1
; COMPUTE_PGM_RSRC2:SCRATCH_EN: 0
; COMPUTE_PGM_RSRC2:USER_SGPR: 6
; COMPUTE_PGM_RSRC2:TRAP_HANDLER: 0
; COMPUTE_PGM_RSRC2:TGID_X_EN: 1
; COMPUTE_PGM_RSRC2:TGID_Y_EN: 0
; COMPUTE_PGM_RSRC2:TGID_Z_EN: 0
; COMPUTE_PGM_RSRC2:TIDIG_COMP_CNT: 0
	.section	.text._ZN2at6native12_GLOBAL__N_125multi_tensor_apply_kernelINS1_28TensorListScalarListMetadataIfLi3EEENS1_28PointwiseOpScalarListFunctorIfLi3ELi3ELi0EEEJSt10multipliesIfEEEEvT_T0_DpT1_,"axG",@progbits,_ZN2at6native12_GLOBAL__N_125multi_tensor_apply_kernelINS1_28TensorListScalarListMetadataIfLi3EEENS1_28PointwiseOpScalarListFunctorIfLi3ELi3ELi0EEEJSt10multipliesIfEEEEvT_T0_DpT1_,comdat
	.globl	_ZN2at6native12_GLOBAL__N_125multi_tensor_apply_kernelINS1_28TensorListScalarListMetadataIfLi3EEENS1_28PointwiseOpScalarListFunctorIfLi3ELi3ELi0EEEJSt10multipliesIfEEEEvT_T0_DpT1_ ; -- Begin function _ZN2at6native12_GLOBAL__N_125multi_tensor_apply_kernelINS1_28TensorListScalarListMetadataIfLi3EEENS1_28PointwiseOpScalarListFunctorIfLi3ELi3ELi0EEEJSt10multipliesIfEEEEvT_T0_DpT1_
	.p2align	8
	.type	_ZN2at6native12_GLOBAL__N_125multi_tensor_apply_kernelINS1_28TensorListScalarListMetadataIfLi3EEENS1_28PointwiseOpScalarListFunctorIfLi3ELi3ELi0EEEJSt10multipliesIfEEEEvT_T0_DpT1_,@function
_ZN2at6native12_GLOBAL__N_125multi_tensor_apply_kernelINS1_28TensorListScalarListMetadataIfLi3EEENS1_28PointwiseOpScalarListFunctorIfLi3ELi3ELi0EEEJSt10multipliesIfEEEEvT_T0_DpT1_: ; @_ZN2at6native12_GLOBAL__N_125multi_tensor_apply_kernelINS1_28TensorListScalarListMetadataIfLi3EEENS1_28PointwiseOpScalarListFunctorIfLi3ELi3ELi0EEEJSt10multipliesIfEEEEvT_T0_DpT1_
; %bb.0:
	v_mov_b32_e32 v1, s6
	global_load_ubyte v1, v1, s[4:5] offset:1728
	s_add_u32 s0, s4, s6
	s_mul_i32 s1, s6, 3
	s_addc_u32 s2, s5, 0
	s_mul_hi_u32 s3, s6, 3
	s_add_u32 s0, s0, s1
	s_addc_u32 s1, s2, s3
	s_load_dword s0, s[0:1], 0x800
	s_mov_b32 s11, 0
	s_mov_b32 s17, s11
	s_waitcnt lgkmcnt(0)
	s_ashr_i32 s1, s0, 31
	s_waitcnt vmcnt(0)
	v_readfirstlane_b32 s2, v1
	v_lshlrev_b32_e32 v1, 2, v1
	v_sub_co_u32_e32 v1, vcc, 0, v1
	s_lshl_b32 s10, s2, 3
	v_subb_co_u32_e64 v2, s[2:3], 0, 0, vcc
	s_load_dwordx2 s[18:19], s[4:5], s10 offset:0x480
	s_load_dwordx2 s[8:9], s[4:5], s10 offset:0x0
	;; [unrolled: 1-line block ×4, first 2 shown]
	s_add_u32 s14, s4, s10
	s_addc_u32 s10, s5, 0
	s_lshl_b64 s[12:13], s[0:1], 18
	s_waitcnt lgkmcnt(0)
	s_add_u32 s24, s8, s12
	v_mov_b32_e32 v3, s10
	s_addc_u32 s26, s9, s13
	s_and_b32 s10, s24, 15
	v_add_co_u32_e32 v1, vcc, s14, v1
	s_add_u32 s27, s6, s12
	v_addc_co_u32_e32 v2, vcc, v3, v2, vcc
	s_addc_u32 s28, s7, s13
	v_readfirstlane_b32 s14, v1
	v_readfirstlane_b32 s15, v2
	s_add_u32 s29, s2, s12
	s_load_dword s25, s[14:15], 0x600
	s_addc_u32 s30, s3, s13
	s_or_b32 s14, s29, s27
	s_and_b32 s14, s14, 15
	s_cmp_eq_u32 s14, 0
	s_cselect_b64 s[20:21], -1, 0
	s_lshl_b64 s[0:1], s[0:1], 16
	s_sub_u32 s14, s18, s0
	s_subb_u32 s15, s19, s1
	s_and_b32 s16, s18, 3
	s_or_b64 s[0:1], s[10:11], s[16:17]
	s_cmp_eq_u64 s[0:1], 0
	s_cselect_b64 s[0:1], -1, 0
	s_and_b64 s[10:11], s[20:21], s[0:1]
	s_mov_b64 s[0:1], -1
	s_and_b64 vcc, exec, s[10:11]
	s_cbranch_vccnz .LBB105_29
; %bb.1:
	v_cmp_lt_i64_e64 s[0:1], s[14:15], 1
	s_and_b64 vcc, exec, s[0:1]
	s_cbranch_vccnz .LBB105_28
; %bb.2:
	v_mov_b32_e32 v1, 0x10000
	s_load_dword s10, s[4:5], 0xd14
	v_mov_b32_e32 v2, 0
	v_cmp_lt_i64_e32 vcc, s[14:15], v[1:2]
	v_mov_b32_e32 v18, 0
	s_and_b64 s[0:1], vcc, exec
	s_cselect_b32 s17, s15, 0
	s_cselect_b32 s16, s14, 0x10000
	s_waitcnt lgkmcnt(0)
	s_and_b32 s10, s10, 0xffff
	v_lshlrev_b32_e32 v17, 2, v0
	v_mad_u64_u32 v[5:6], s[0:1], s10, 12, v[17:18]
	v_cmp_lt_u64_e32 vcc, s[14:15], v[1:2]
	v_mov_b32_e32 v2, s9
	s_and_b64 s[0:1], vcc, exec
	v_add_co_u32_e32 v1, vcc, s8, v5
	v_addc_co_u32_e32 v2, vcc, v2, v6, vcc
	v_mov_b32_e32 v4, s7
	v_add_co_u32_e32 v3, vcc, s6, v5
	v_addc_co_u32_e32 v4, vcc, v4, v6, vcc
	v_mov_b32_e32 v7, s3
	v_add_co_u32_e32 v5, vcc, s2, v5
	s_cselect_b32 s19, s15, 0
	s_cselect_b32 s18, s14, 0x10000
	v_addc_co_u32_e32 v6, vcc, v7, v6, vcc
	s_lshl_b32 s0, s10, 3
	v_add_co_u32_e32 v11, vcc, s0, v17
	v_addc_co_u32_e64 v12, s[0:1], 0, 0, vcc
	v_mov_b32_e32 v8, s9
	v_add_co_u32_e32 v7, vcc, s8, v11
	v_addc_co_u32_e32 v8, vcc, v8, v12, vcc
	v_mov_b32_e32 v10, s7
	v_add_co_u32_e32 v9, vcc, s6, v11
	v_addc_co_u32_e32 v10, vcc, v10, v12, vcc
	;; [unrolled: 3-line block ×6, first 2 shown]
	v_add_co_u32_e32 v19, vcc, s10, v0
	v_lshlrev_b32_e32 v25, 2, v19
	s_lshl_b32 s22, s10, 1
	s_mul_i32 s23, s10, 3
	s_lshl_b32 s31, s10, 2
	s_lshl_b32 s33, s10, 4
	v_addc_co_u32_e64 v20, s[10:11], 0, 0, vcc
	v_mov_b32_e32 v22, s9
	v_add_co_u32_e32 v21, vcc, s8, v25
	v_addc_co_u32_e32 v22, vcc, 0, v22, vcc
	v_mov_b32_e32 v24, s7
	v_add_co_u32_e32 v23, vcc, s6, v25
	v_addc_co_u32_e32 v24, vcc, 0, v24, vcc
	;; [unrolled: 3-line block ×3, first 2 shown]
	v_add_co_u32_e32 v27, vcc, s23, v0
	v_addc_co_u32_e64 v28, s[2:3], 0, 0, vcc
	v_add_co_u32_e32 v29, vcc, s22, v0
	v_cmp_eq_f32_e64 s[0:1], s25, 1.0
	s_mov_b64 s[20:21], 0
	v_addc_co_u32_e64 v30, s[2:3], 0, 0, vcc
	s_branch .LBB105_4
.LBB105_3:                              ;   in Loop: Header=BB105_4 Depth=1
	s_or_b64 exec, exec, s[2:3]
	v_add_co_u32_e32 v13, vcc, s33, v13
	v_addc_co_u32_e32 v14, vcc, 0, v14, vcc
	v_add_co_u32_e32 v15, vcc, s33, v15
	v_addc_co_u32_e32 v16, vcc, 0, v16, vcc
	;; [unrolled: 2-line block ×10, first 2 shown]
	s_add_u32 s20, s20, s31
	v_add_co_u32_e32 v23, vcc, s33, v23
	s_waitcnt vmcnt(0)
	v_mov_b32_e32 v32, s17
	s_addc_u32 s21, s21, 0
	v_addc_co_u32_e32 v24, vcc, 0, v24, vcc
	v_mov_b32_e32 v31, s16
	v_cmp_lt_i64_e32 vcc, s[20:21], v[31:32]
	v_add_co_u32_e64 v25, s[2:3], s33, v25
	v_addc_co_u32_e64 v26, s[2:3], 0, v26, s[2:3]
	s_cbranch_vccz .LBB105_28
.LBB105_4:                              ; =>This Inner Loop Header: Depth=1
	v_mov_b32_e32 v32, s21
	v_add_co_u32_e32 v31, vcc, s20, v0
	v_addc_co_u32_e32 v32, vcc, 0, v32, vcc
	v_cmp_gt_u64_e32 vcc, s[18:19], v[31:32]
	v_mov_b32_e32 v32, 0
	v_mov_b32_e32 v31, 0
	s_and_saveexec_b64 s[6:7], vcc
	s_cbranch_execz .LBB105_6
; %bb.5:                                ;   in Loop: Header=BB105_4 Depth=1
	v_mov_b32_e32 v31, s13
	v_add_co_u32_e64 v33, s[2:3], s12, v13
	v_addc_co_u32_e64 v34, s[2:3], v14, v31, s[2:3]
	v_add_co_u32_e64 v35, s[2:3], s12, v15
	v_addc_co_u32_e64 v36, s[2:3], v16, v31, s[2:3]
	global_load_dword v31, v[33:34], off
	global_load_dword v32, v[35:36], off
.LBB105_6:                              ;   in Loop: Header=BB105_4 Depth=1
	s_or_b64 exec, exec, s[6:7]
	v_mov_b32_e32 v33, 0
	v_mov_b32_e32 v34, 0
	s_and_saveexec_b64 s[6:7], vcc
	s_cbranch_execz .LBB105_8
; %bb.7:                                ;   in Loop: Header=BB105_4 Depth=1
	v_mov_b32_e32 v35, s13
	v_add_co_u32_e64 v34, s[2:3], s12, v17
	v_addc_co_u32_e64 v35, s[2:3], v18, v35, s[2:3]
	global_load_dword v34, v[34:35], off
.LBB105_8:                              ;   in Loop: Header=BB105_4 Depth=1
	s_or_b64 exec, exec, s[6:7]
	v_mov_b32_e32 v36, s21
	v_add_co_u32_e64 v35, s[2:3], s20, v19
	v_addc_co_u32_e64 v36, s[2:3], v20, v36, s[2:3]
	v_cmp_gt_u64_e64 s[2:3], s[18:19], v[35:36]
	v_mov_b32_e32 v35, 0
	s_and_saveexec_b64 s[8:9], s[2:3]
	s_cbranch_execz .LBB105_10
; %bb.9:                                ;   in Loop: Header=BB105_4 Depth=1
	v_mov_b32_e32 v33, s13
	v_add_co_u32_e64 v36, s[6:7], s12, v21
	v_addc_co_u32_e64 v37, s[6:7], v22, v33, s[6:7]
	v_add_co_u32_e64 v38, s[6:7], s12, v23
	v_addc_co_u32_e64 v39, s[6:7], v24, v33, s[6:7]
	global_load_dword v35, v[36:37], off
	global_load_dword v33, v[38:39], off
.LBB105_10:                             ;   in Loop: Header=BB105_4 Depth=1
	s_or_b64 exec, exec, s[8:9]
	v_mov_b32_e32 v36, 0
	v_mov_b32_e32 v37, 0
	s_and_saveexec_b64 s[8:9], s[2:3]
	s_cbranch_execz .LBB105_12
; %bb.11:                               ;   in Loop: Header=BB105_4 Depth=1
	v_mov_b32_e32 v38, s13
	v_add_co_u32_e64 v37, s[6:7], s12, v25
	v_addc_co_u32_e64 v38, s[6:7], v26, v38, s[6:7]
	global_load_dword v37, v[37:38], off
.LBB105_12:                             ;   in Loop: Header=BB105_4 Depth=1
	s_or_b64 exec, exec, s[8:9]
	v_mov_b32_e32 v39, s21
	v_add_co_u32_e64 v38, s[6:7], s20, v29
	v_addc_co_u32_e64 v39, s[6:7], v30, v39, s[6:7]
	v_cmp_gt_u64_e64 s[6:7], s[18:19], v[38:39]
	v_mov_b32_e32 v38, 0
	s_and_saveexec_b64 s[10:11], s[6:7]
	s_cbranch_execz .LBB105_14
; %bb.13:                               ;   in Loop: Header=BB105_4 Depth=1
	v_mov_b32_e32 v36, s13
	v_add_co_u32_e64 v39, s[8:9], s12, v7
	v_addc_co_u32_e64 v40, s[8:9], v8, v36, s[8:9]
	v_add_co_u32_e64 v41, s[8:9], s12, v9
	v_addc_co_u32_e64 v42, s[8:9], v10, v36, s[8:9]
	global_load_dword v38, v[39:40], off
	global_load_dword v36, v[41:42], off
.LBB105_14:                             ;   in Loop: Header=BB105_4 Depth=1
	s_or_b64 exec, exec, s[10:11]
	v_mov_b32_e32 v39, 0
	v_mov_b32_e32 v40, 0
	s_and_saveexec_b64 s[10:11], s[6:7]
	s_cbranch_execz .LBB105_16
; %bb.15:                               ;   in Loop: Header=BB105_4 Depth=1
	v_mov_b32_e32 v41, s13
	v_add_co_u32_e64 v40, s[8:9], s12, v11
	v_addc_co_u32_e64 v41, s[8:9], v12, v41, s[8:9]
	global_load_dword v40, v[40:41], off
.LBB105_16:                             ;   in Loop: Header=BB105_4 Depth=1
	s_or_b64 exec, exec, s[10:11]
	v_mov_b32_e32 v42, s21
	v_add_co_u32_e64 v41, s[8:9], s20, v27
	v_addc_co_u32_e64 v42, s[8:9], v28, v42, s[8:9]
	v_cmp_gt_u64_e64 s[8:9], s[18:19], v[41:42]
	v_mov_b32_e32 v41, 0
	s_and_saveexec_b64 s[22:23], s[8:9]
	s_cbranch_execnz .LBB105_22
; %bb.17:                               ;   in Loop: Header=BB105_4 Depth=1
	s_or_b64 exec, exec, s[22:23]
	v_mov_b32_e32 v42, 0
	s_and_saveexec_b64 s[22:23], s[8:9]
	s_cbranch_execnz .LBB105_23
.LBB105_18:                             ;   in Loop: Header=BB105_4 Depth=1
	s_or_b64 exec, exec, s[22:23]
	s_and_saveexec_b64 s[10:11], vcc
	s_cbranch_execnz .LBB105_24
.LBB105_19:                             ;   in Loop: Header=BB105_4 Depth=1
	s_or_b64 exec, exec, s[10:11]
	s_and_saveexec_b64 s[10:11], s[2:3]
	s_cbranch_execnz .LBB105_25
.LBB105_20:                             ;   in Loop: Header=BB105_4 Depth=1
	s_or_b64 exec, exec, s[10:11]
	s_and_saveexec_b64 s[2:3], s[6:7]
	s_cbranch_execnz .LBB105_26
.LBB105_21:                             ;   in Loop: Header=BB105_4 Depth=1
	s_or_b64 exec, exec, s[2:3]
	s_and_saveexec_b64 s[2:3], s[8:9]
	s_cbranch_execz .LBB105_3
	s_branch .LBB105_27
.LBB105_22:                             ;   in Loop: Header=BB105_4 Depth=1
	v_mov_b32_e32 v39, s13
	v_add_co_u32_e64 v42, s[10:11], s12, v1
	v_addc_co_u32_e64 v43, s[10:11], v2, v39, s[10:11]
	v_add_co_u32_e64 v44, s[10:11], s12, v3
	v_addc_co_u32_e64 v45, s[10:11], v4, v39, s[10:11]
	global_load_dword v41, v[42:43], off
	global_load_dword v39, v[44:45], off
	s_or_b64 exec, exec, s[22:23]
	v_mov_b32_e32 v42, 0
	s_and_saveexec_b64 s[22:23], s[8:9]
	s_cbranch_execz .LBB105_18
.LBB105_23:                             ;   in Loop: Header=BB105_4 Depth=1
	v_mov_b32_e32 v43, s13
	v_add_co_u32_e64 v42, s[10:11], s12, v5
	v_addc_co_u32_e64 v43, s[10:11], v6, v43, s[10:11]
	global_load_dword v42, v[42:43], off
	s_or_b64 exec, exec, s[22:23]
	s_and_saveexec_b64 s[10:11], vcc
	s_cbranch_execz .LBB105_19
.LBB105_24:                             ;   in Loop: Header=BB105_4 Depth=1
	s_waitcnt vmcnt(0)
	v_fma_f32 v43, v32, v34, v31
	v_mul_f32_e32 v32, v32, v34
	v_fmac_f32_e32 v31, s25, v32
	v_cndmask_b32_e64 v34, v31, v43, s[0:1]
	v_mov_b32_e32 v32, s13
	v_add_co_u32_e32 v31, vcc, s12, v13
	v_addc_co_u32_e32 v32, vcc, v14, v32, vcc
	global_store_dword v[31:32], v34, off
	s_or_b64 exec, exec, s[10:11]
	s_and_saveexec_b64 s[10:11], s[2:3]
	s_cbranch_execz .LBB105_20
.LBB105_25:                             ;   in Loop: Header=BB105_4 Depth=1
	s_waitcnt vmcnt(0)
	v_mul_f32_e32 v32, v33, v37
	v_fma_f32 v31, v33, v37, v35
	v_fmac_f32_e32 v35, s25, v32
	v_cndmask_b32_e64 v33, v35, v31, s[0:1]
	v_mov_b32_e32 v32, s13
	v_add_co_u32_e32 v31, vcc, s12, v21
	v_addc_co_u32_e32 v32, vcc, v22, v32, vcc
	global_store_dword v[31:32], v33, off
	s_or_b64 exec, exec, s[10:11]
	s_and_saveexec_b64 s[2:3], s[6:7]
	s_cbranch_execz .LBB105_21
.LBB105_26:                             ;   in Loop: Header=BB105_4 Depth=1
	s_waitcnt vmcnt(0)
	v_mul_f32_e32 v32, v36, v40
	v_fma_f32 v31, v36, v40, v38
	v_fmac_f32_e32 v38, s25, v32
	v_cndmask_b32_e64 v33, v38, v31, s[0:1]
	v_mov_b32_e32 v32, s13
	v_add_co_u32_e32 v31, vcc, s12, v7
	v_addc_co_u32_e32 v32, vcc, v8, v32, vcc
	global_store_dword v[31:32], v33, off
	s_or_b64 exec, exec, s[2:3]
	s_and_saveexec_b64 s[2:3], s[8:9]
	s_cbranch_execz .LBB105_3
.LBB105_27:                             ;   in Loop: Header=BB105_4 Depth=1
	s_waitcnt vmcnt(0)
	v_mul_f32_e32 v32, v39, v42
	v_fma_f32 v31, v39, v42, v41
	v_fmac_f32_e32 v41, s25, v32
	v_cndmask_b32_e64 v33, v41, v31, s[0:1]
	v_mov_b32_e32 v32, s13
	v_add_co_u32_e32 v31, vcc, s12, v1
	v_addc_co_u32_e32 v32, vcc, v2, v32, vcc
	global_store_dword v[31:32], v33, off
	s_branch .LBB105_3
.LBB105_28:
	s_mov_b64 s[0:1], 0
.LBB105_29:
	s_andn2_b64 vcc, exec, s[0:1]
	s_cbranch_vccnz .LBB105_33
; %bb.30:
	v_mov_b32_e32 v1, 0x10000
	v_mov_b32_e32 v2, 0
	v_cmp_lt_i64_e32 vcc, s[14:15], v[1:2]
	v_mov_b32_e32 v2, 0
	s_and_b64 s[0:1], vcc, exec
	s_cselect_b32 s7, s15, 0
	s_cselect_b32 s6, s14, 0x10000
	v_lshlrev_b32_e32 v1, 2, v0
	v_cmp_gt_i64_e32 vcc, s[6:7], v[1:2]
	s_and_saveexec_b64 s[0:1], vcc
	s_cbranch_execz .LBB105_33
; %bb.31:
	s_load_dword s0, s[4:5], 0xd14
	v_mov_b32_e32 v1, v2
	s_waitcnt lgkmcnt(0)
	v_cmp_eq_f32_e64 vcc, s25, 1.0
	v_lshlrev_b32_e32 v2, 4, v0
	s_mov_b64 s[8:9], 0
	s_and_b32 s10, s0, 0xffff
	s_lshl_b32 s11, s10, 4
.LBB105_32:                             ; =>This Inner Loop Header: Depth=1
	v_mov_b32_e32 v4, s28
	v_add_co_u32_e64 v15, s[0:1], s27, v2
	v_mov_b32_e32 v3, s26
	v_mov_b32_e32 v5, s30
	v_add_co_u32_e64 v17, s[2:3], s29, v2
	v_add_co_u32_e64 v19, s[4:5], s24, v2
	v_addc_co_u32_e64 v16, s[0:1], 0, v4, s[0:1]
	v_addc_co_u32_e64 v20, s[4:5], 0, v3, s[4:5]
	v_addc_co_u32_e64 v18, s[0:1], 0, v5, s[2:3]
	global_load_dwordx4 v[3:6], v[15:16], off
	global_load_dwordx4 v[7:10], v[17:18], off
	global_load_dwordx4 v[11:14], v[19:20], off
	v_add_co_u32_e64 v0, s[0:1], s10, v0
	s_add_u32 s29, s29, s11
	v_addc_co_u32_e64 v1, s[0:1], 0, v1, s[0:1]
	s_addc_u32 s30, s30, 0
	v_lshlrev_b64 v[15:16], 2, v[0:1]
	s_add_u32 s24, s24, s11
	s_addc_u32 s26, s26, 0
	v_cmp_le_i64_e64 s[0:1], s[6:7], v[15:16]
	s_add_u32 s27, s27, s11
	s_addc_u32 s28, s28, 0
	s_or_b64 s[8:9], s[0:1], s[8:9]
	s_waitcnt vmcnt(0)
	v_fma_f32 v15, v3, v7, v11
	v_mul_f32_e32 v3, v3, v7
	v_fma_f32 v7, v4, v8, v12
	v_mul_f32_e32 v4, v4, v8
	;; [unrolled: 2-line block ×4, first 2 shown]
	v_fma_f32 v3, s25, v3, v11
	v_fma_f32 v4, s25, v4, v12
	;; [unrolled: 1-line block ×3, first 2 shown]
	v_fmac_f32_e32 v14, s25, v6
	v_cndmask_b32_e32 v3, v3, v15, vcc
	v_cndmask_b32_e32 v4, v4, v7, vcc
	;; [unrolled: 1-line block ×4, first 2 shown]
	global_store_dwordx4 v[19:20], v[3:6], off
	s_andn2_b64 exec, exec, s[8:9]
	s_cbranch_execnz .LBB105_32
.LBB105_33:
	s_endpgm
	.section	.rodata,"a",@progbits
	.p2align	6, 0x0
	.amdhsa_kernel _ZN2at6native12_GLOBAL__N_125multi_tensor_apply_kernelINS1_28TensorListScalarListMetadataIfLi3EEENS1_28PointwiseOpScalarListFunctorIfLi3ELi3ELi0EEEJSt10multipliesIfEEEEvT_T0_DpT1_
		.amdhsa_group_segment_fixed_size 0
		.amdhsa_private_segment_fixed_size 0
		.amdhsa_kernarg_size 3592
		.amdhsa_user_sgpr_count 6
		.amdhsa_user_sgpr_private_segment_buffer 1
		.amdhsa_user_sgpr_dispatch_ptr 0
		.amdhsa_user_sgpr_queue_ptr 0
		.amdhsa_user_sgpr_kernarg_segment_ptr 1
		.amdhsa_user_sgpr_dispatch_id 0
		.amdhsa_user_sgpr_flat_scratch_init 0
		.amdhsa_user_sgpr_private_segment_size 0
		.amdhsa_uses_dynamic_stack 0
		.amdhsa_system_sgpr_private_segment_wavefront_offset 0
		.amdhsa_system_sgpr_workgroup_id_x 1
		.amdhsa_system_sgpr_workgroup_id_y 0
		.amdhsa_system_sgpr_workgroup_id_z 0
		.amdhsa_system_sgpr_workgroup_info 0
		.amdhsa_system_vgpr_workitem_id 0
		.amdhsa_next_free_vgpr 46
		.amdhsa_next_free_sgpr 34
		.amdhsa_reserve_vcc 1
		.amdhsa_reserve_flat_scratch 0
		.amdhsa_float_round_mode_32 0
		.amdhsa_float_round_mode_16_64 0
		.amdhsa_float_denorm_mode_32 3
		.amdhsa_float_denorm_mode_16_64 3
		.amdhsa_dx10_clamp 1
		.amdhsa_ieee_mode 1
		.amdhsa_fp16_overflow 0
		.amdhsa_exception_fp_ieee_invalid_op 0
		.amdhsa_exception_fp_denorm_src 0
		.amdhsa_exception_fp_ieee_div_zero 0
		.amdhsa_exception_fp_ieee_overflow 0
		.amdhsa_exception_fp_ieee_underflow 0
		.amdhsa_exception_fp_ieee_inexact 0
		.amdhsa_exception_int_div_zero 0
	.end_amdhsa_kernel
	.section	.text._ZN2at6native12_GLOBAL__N_125multi_tensor_apply_kernelINS1_28TensorListScalarListMetadataIfLi3EEENS1_28PointwiseOpScalarListFunctorIfLi3ELi3ELi0EEEJSt10multipliesIfEEEEvT_T0_DpT1_,"axG",@progbits,_ZN2at6native12_GLOBAL__N_125multi_tensor_apply_kernelINS1_28TensorListScalarListMetadataIfLi3EEENS1_28PointwiseOpScalarListFunctorIfLi3ELi3ELi0EEEJSt10multipliesIfEEEEvT_T0_DpT1_,comdat
.Lfunc_end105:
	.size	_ZN2at6native12_GLOBAL__N_125multi_tensor_apply_kernelINS1_28TensorListScalarListMetadataIfLi3EEENS1_28PointwiseOpScalarListFunctorIfLi3ELi3ELi0EEEJSt10multipliesIfEEEEvT_T0_DpT1_, .Lfunc_end105-_ZN2at6native12_GLOBAL__N_125multi_tensor_apply_kernelINS1_28TensorListScalarListMetadataIfLi3EEENS1_28PointwiseOpScalarListFunctorIfLi3ELi3ELi0EEEJSt10multipliesIfEEEEvT_T0_DpT1_
                                        ; -- End function
	.set _ZN2at6native12_GLOBAL__N_125multi_tensor_apply_kernelINS1_28TensorListScalarListMetadataIfLi3EEENS1_28PointwiseOpScalarListFunctorIfLi3ELi3ELi0EEEJSt10multipliesIfEEEEvT_T0_DpT1_.num_vgpr, 46
	.set _ZN2at6native12_GLOBAL__N_125multi_tensor_apply_kernelINS1_28TensorListScalarListMetadataIfLi3EEENS1_28PointwiseOpScalarListFunctorIfLi3ELi3ELi0EEEJSt10multipliesIfEEEEvT_T0_DpT1_.num_agpr, 0
	.set _ZN2at6native12_GLOBAL__N_125multi_tensor_apply_kernelINS1_28TensorListScalarListMetadataIfLi3EEENS1_28PointwiseOpScalarListFunctorIfLi3ELi3ELi0EEEJSt10multipliesIfEEEEvT_T0_DpT1_.numbered_sgpr, 34
	.set _ZN2at6native12_GLOBAL__N_125multi_tensor_apply_kernelINS1_28TensorListScalarListMetadataIfLi3EEENS1_28PointwiseOpScalarListFunctorIfLi3ELi3ELi0EEEJSt10multipliesIfEEEEvT_T0_DpT1_.num_named_barrier, 0
	.set _ZN2at6native12_GLOBAL__N_125multi_tensor_apply_kernelINS1_28TensorListScalarListMetadataIfLi3EEENS1_28PointwiseOpScalarListFunctorIfLi3ELi3ELi0EEEJSt10multipliesIfEEEEvT_T0_DpT1_.private_seg_size, 0
	.set _ZN2at6native12_GLOBAL__N_125multi_tensor_apply_kernelINS1_28TensorListScalarListMetadataIfLi3EEENS1_28PointwiseOpScalarListFunctorIfLi3ELi3ELi0EEEJSt10multipliesIfEEEEvT_T0_DpT1_.uses_vcc, 1
	.set _ZN2at6native12_GLOBAL__N_125multi_tensor_apply_kernelINS1_28TensorListScalarListMetadataIfLi3EEENS1_28PointwiseOpScalarListFunctorIfLi3ELi3ELi0EEEJSt10multipliesIfEEEEvT_T0_DpT1_.uses_flat_scratch, 0
	.set _ZN2at6native12_GLOBAL__N_125multi_tensor_apply_kernelINS1_28TensorListScalarListMetadataIfLi3EEENS1_28PointwiseOpScalarListFunctorIfLi3ELi3ELi0EEEJSt10multipliesIfEEEEvT_T0_DpT1_.has_dyn_sized_stack, 0
	.set _ZN2at6native12_GLOBAL__N_125multi_tensor_apply_kernelINS1_28TensorListScalarListMetadataIfLi3EEENS1_28PointwiseOpScalarListFunctorIfLi3ELi3ELi0EEEJSt10multipliesIfEEEEvT_T0_DpT1_.has_recursion, 0
	.set _ZN2at6native12_GLOBAL__N_125multi_tensor_apply_kernelINS1_28TensorListScalarListMetadataIfLi3EEENS1_28PointwiseOpScalarListFunctorIfLi3ELi3ELi0EEEJSt10multipliesIfEEEEvT_T0_DpT1_.has_indirect_call, 0
	.section	.AMDGPU.csdata,"",@progbits
; Kernel info:
; codeLenInByte = 1964
; TotalNumSgprs: 38
; NumVgprs: 46
; ScratchSize: 0
; MemoryBound: 0
; FloatMode: 240
; IeeeMode: 1
; LDSByteSize: 0 bytes/workgroup (compile time only)
; SGPRBlocks: 4
; VGPRBlocks: 11
; NumSGPRsForWavesPerEU: 38
; NumVGPRsForWavesPerEU: 46
; Occupancy: 5
; WaveLimiterHint : 0
; COMPUTE_PGM_RSRC2:SCRATCH_EN: 0
; COMPUTE_PGM_RSRC2:USER_SGPR: 6
; COMPUTE_PGM_RSRC2:TRAP_HANDLER: 0
; COMPUTE_PGM_RSRC2:TGID_X_EN: 1
; COMPUTE_PGM_RSRC2:TGID_Y_EN: 0
; COMPUTE_PGM_RSRC2:TGID_Z_EN: 0
; COMPUTE_PGM_RSRC2:TIDIG_COMP_CNT: 0
	.section	.text._ZN2at6native12_GLOBAL__N_125multi_tensor_apply_kernelINS1_28TensorListScalarListMetadataIN3c107complexIdEELi3EEENS1_28PointwiseOpScalarListFunctorIS6_Li3ELi3ELi0EEEJSt10multipliesIS6_EEEEvT_T0_DpT1_,"axG",@progbits,_ZN2at6native12_GLOBAL__N_125multi_tensor_apply_kernelINS1_28TensorListScalarListMetadataIN3c107complexIdEELi3EEENS1_28PointwiseOpScalarListFunctorIS6_Li3ELi3ELi0EEEJSt10multipliesIS6_EEEEvT_T0_DpT1_,comdat
	.globl	_ZN2at6native12_GLOBAL__N_125multi_tensor_apply_kernelINS1_28TensorListScalarListMetadataIN3c107complexIdEELi3EEENS1_28PointwiseOpScalarListFunctorIS6_Li3ELi3ELi0EEEJSt10multipliesIS6_EEEEvT_T0_DpT1_ ; -- Begin function _ZN2at6native12_GLOBAL__N_125multi_tensor_apply_kernelINS1_28TensorListScalarListMetadataIN3c107complexIdEELi3EEENS1_28PointwiseOpScalarListFunctorIS6_Li3ELi3ELi0EEEJSt10multipliesIS6_EEEEvT_T0_DpT1_
	.p2align	8
	.type	_ZN2at6native12_GLOBAL__N_125multi_tensor_apply_kernelINS1_28TensorListScalarListMetadataIN3c107complexIdEELi3EEENS1_28PointwiseOpScalarListFunctorIS6_Li3ELi3ELi0EEEJSt10multipliesIS6_EEEEvT_T0_DpT1_,@function
_ZN2at6native12_GLOBAL__N_125multi_tensor_apply_kernelINS1_28TensorListScalarListMetadataIN3c107complexIdEELi3EEENS1_28PointwiseOpScalarListFunctorIS6_Li3ELi3ELi0EEEJSt10multipliesIS6_EEEEvT_T0_DpT1_: ; @_ZN2at6native12_GLOBAL__N_125multi_tensor_apply_kernelINS1_28TensorListScalarListMetadataIN3c107complexIdEELi3EEENS1_28PointwiseOpScalarListFunctorIS6_Li3ELi3ELi0EEEJSt10multipliesIS6_EEEEvT_T0_DpT1_
; %bb.0:
	v_mov_b32_e32 v1, s6
	global_load_ubyte v1, v1, s[4:5] offset:2304
	s_add_u32 s0, s4, s6
	s_mul_hi_u32 s1, s6, 3
	s_mul_i32 s6, s6, 3
	s_addc_u32 s2, s5, 0
	s_add_u32 s0, s0, s6
	s_addc_u32 s1, s2, s1
	s_load_dword s0, s[0:1], 0xa40
	s_mov_b32 s3, 0
	s_mov_b32 s7, s3
	s_waitcnt lgkmcnt(0)
	s_ashr_i32 s1, s0, 31
	s_waitcnt vmcnt(0)
	v_readfirstlane_b32 s2, v1
	s_lshl_b32 s2, s2, 3
	s_load_dwordx2 s[10:11], s[4:5], s2 offset:0x480
	s_load_dwordx2 s[16:17], s[4:5], s2 offset:0x0
	;; [unrolled: 1-line block ×4, first 2 shown]
	s_add_u32 s8, s4, s2
	s_addc_u32 s9, s5, 0
	s_lshl_b64 s[22:23], s[0:1], 20
	s_waitcnt lgkmcnt(0)
	s_add_u32 s26, s16, s22
	s_addc_u32 s27, s17, s23
	s_add_u32 s28, s18, s22
	s_addc_u32 s29, s19, s23
	;; [unrolled: 2-line block ×3, first 2 shown]
	s_or_b32 s6, s30, s28
	s_load_dwordx4 s[12:15], s[8:9], s2 offset:0x600
	s_and_b32 s2, s26, 63
	s_and_b32 s6, s6, 63
	s_cmp_eq_u32 s6, 0
	s_cselect_b64 s[8:9], -1, 0
	s_lshl_b64 s[0:1], s[0:1], 16
	s_sub_u32 s16, s10, s0
	s_subb_u32 s17, s11, s1
	s_and_b32 s6, s10, 3
	s_or_b64 s[0:1], s[2:3], s[6:7]
	s_cmp_eq_u64 s[0:1], 0
	s_cselect_b64 s[0:1], -1, 0
	s_and_b64 s[2:3], s[8:9], s[0:1]
	s_mov_b64 s[0:1], -1
	s_and_b64 vcc, exec, s[2:3]
	s_cbranch_vccnz .LBB106_29
; %bb.1:
	v_cmp_lt_i64_e64 s[0:1], s[16:17], 1
	s_and_b64 vcc, exec, s[0:1]
	s_cbranch_vccnz .LBB106_28
; %bb.2:
	v_mov_b32_e32 v1, 0x10000
	v_mov_b32_e32 v2, 0
	v_cmp_lt_i64_e32 vcc, s[16:17], v[1:2]
	s_waitcnt lgkmcnt(0)
	v_cmp_eq_f64_e64 s[2:3], s[14:15], 0
	s_and_b64 s[0:1], vcc, exec
	v_cmp_eq_f64_e64 s[0:1], s[12:13], 1.0
	s_load_dword s6, s[4:5], 0xf54
	v_cmp_lt_u64_e32 vcc, s[16:17], v[1:2]
	s_cselect_b32 s19, s17, 0
	s_cselect_b32 s18, s16, 0x10000
	s_mov_b64 s[22:23], 0
	s_waitcnt lgkmcnt(0)
	s_and_b32 s33, s6, 0xffff
	s_and_b64 s[6:7], vcc, exec
	s_cselect_b32 s21, s17, 0
	s_cselect_b32 s20, s16, 0x10000
	s_lshl_b32 s34, s33, 1
	s_mul_i32 s35, s33, 3
	s_and_b64 s[0:1], s[0:1], s[2:3]
	s_lshl_b32 s36, s33, 2
	s_branch .LBB106_4
.LBB106_3:                              ;   in Loop: Header=BB106_4 Depth=1
	s_or_b64 exec, exec, s[2:3]
	s_add_u32 s22, s22, s36
	s_waitcnt vmcnt(1)
	v_mov_b32_e32 v1, s18
	s_addc_u32 s23, s23, 0
	v_mov_b32_e32 v2, s19
	v_cmp_lt_i64_e32 vcc, s[22:23], v[1:2]
	s_cbranch_vccz .LBB106_28
.LBB106_4:                              ; =>This Inner Loop Header: Depth=1
	v_mov_b32_e32 v1, s23
	v_add_co_u32_e32 v49, vcc, s22, v0
	v_addc_co_u32_e32 v50, vcc, 0, v1, vcc
	v_cmp_gt_u64_e32 vcc, s[20:21], v[49:50]
	s_waitcnt vmcnt(0)
	v_mov_b32_e32 v7, 0
	v_mov_b32_e32 v11, 0
	;; [unrolled: 1-line block ×10, first 2 shown]
	s_and_saveexec_b64 s[6:7], vcc
	s_cbranch_execz .LBB106_6
; %bb.5:                                ;   in Loop: Header=BB106_4 Depth=1
	v_lshlrev_b64 v[1:2], 4, v[49:50]
	v_mov_b32_e32 v3, s29
	v_add_co_u32_e64 v5, s[2:3], s28, v1
	v_addc_co_u32_e64 v6, s[2:3], v3, v2, s[2:3]
	v_mov_b32_e32 v3, s27
	v_add_co_u32_e64 v13, s[2:3], s26, v1
	v_addc_co_u32_e64 v14, s[2:3], v3, v2, s[2:3]
	global_load_dwordx4 v[1:4], v[13:14], off
	global_load_dwordx4 v[9:12], v[5:6], off
.LBB106_6:                              ;   in Loop: Header=BB106_4 Depth=1
	s_or_b64 exec, exec, s[6:7]
	v_mov_b32_e32 v5, 0
	v_mov_b32_e32 v6, 0
	s_and_saveexec_b64 s[6:7], vcc
	s_cbranch_execz .LBB106_8
; %bb.7:                                ;   in Loop: Header=BB106_4 Depth=1
	v_lshlrev_b64 v[5:6], 4, v[49:50]
	v_mov_b32_e32 v7, s31
	v_add_co_u32_e64 v5, s[2:3], s30, v5
	v_addc_co_u32_e64 v6, s[2:3], v7, v6, s[2:3]
	global_load_dwordx4 v[5:8], v[5:6], off
.LBB106_8:                              ;   in Loop: Header=BB106_4 Depth=1
	s_or_b64 exec, exec, s[6:7]
	v_add_co_u32_e64 v51, s[2:3], s33, v49
	v_addc_co_u32_e64 v52, s[2:3], 0, v50, s[2:3]
	v_cmp_gt_u64_e64 s[2:3], s[20:21], v[51:52]
	v_mov_b32_e32 v19, 0
	v_mov_b32_e32 v23, 0
	;; [unrolled: 1-line block ×10, first 2 shown]
	s_and_saveexec_b64 s[8:9], s[2:3]
	s_cbranch_execz .LBB106_10
; %bb.9:                                ;   in Loop: Header=BB106_4 Depth=1
	v_lshlrev_b64 v[13:14], 4, v[51:52]
	v_mov_b32_e32 v15, s29
	v_add_co_u32_e64 v17, s[6:7], s28, v13
	v_addc_co_u32_e64 v18, s[6:7], v15, v14, s[6:7]
	v_mov_b32_e32 v15, s27
	v_add_co_u32_e64 v25, s[6:7], s26, v13
	v_addc_co_u32_e64 v26, s[6:7], v15, v14, s[6:7]
	global_load_dwordx4 v[13:16], v[25:26], off
	global_load_dwordx4 v[21:24], v[17:18], off
.LBB106_10:                             ;   in Loop: Header=BB106_4 Depth=1
	s_or_b64 exec, exec, s[8:9]
	v_mov_b32_e32 v17, 0
	v_mov_b32_e32 v18, 0
	s_and_saveexec_b64 s[8:9], s[2:3]
	s_cbranch_execz .LBB106_12
; %bb.11:                               ;   in Loop: Header=BB106_4 Depth=1
	v_lshlrev_b64 v[17:18], 4, v[51:52]
	v_mov_b32_e32 v19, s31
	v_add_co_u32_e64 v17, s[6:7], s30, v17
	v_addc_co_u32_e64 v18, s[6:7], v19, v18, s[6:7]
	global_load_dwordx4 v[17:20], v[17:18], off
.LBB106_12:                             ;   in Loop: Header=BB106_4 Depth=1
	s_or_b64 exec, exec, s[8:9]
	v_add_co_u32_e64 v53, s[6:7], s34, v49
	v_addc_co_u32_e64 v54, s[6:7], 0, v50, s[6:7]
	v_cmp_gt_u64_e64 s[6:7], s[20:21], v[53:54]
	v_mov_b32_e32 v31, 0
	v_mov_b32_e32 v35, 0
	;; [unrolled: 1-line block ×10, first 2 shown]
	s_and_saveexec_b64 s[10:11], s[6:7]
	s_cbranch_execz .LBB106_14
; %bb.13:                               ;   in Loop: Header=BB106_4 Depth=1
	v_lshlrev_b64 v[25:26], 4, v[53:54]
	v_mov_b32_e32 v27, s29
	v_add_co_u32_e64 v29, s[8:9], s28, v25
	v_addc_co_u32_e64 v30, s[8:9], v27, v26, s[8:9]
	v_mov_b32_e32 v27, s27
	v_add_co_u32_e64 v37, s[8:9], s26, v25
	v_addc_co_u32_e64 v38, s[8:9], v27, v26, s[8:9]
	global_load_dwordx4 v[25:28], v[37:38], off
	global_load_dwordx4 v[33:36], v[29:30], off
.LBB106_14:                             ;   in Loop: Header=BB106_4 Depth=1
	s_or_b64 exec, exec, s[10:11]
	v_mov_b32_e32 v29, 0
	v_mov_b32_e32 v30, 0
	s_and_saveexec_b64 s[10:11], s[6:7]
	s_cbranch_execz .LBB106_16
; %bb.15:                               ;   in Loop: Header=BB106_4 Depth=1
	v_lshlrev_b64 v[29:30], 4, v[53:54]
	v_mov_b32_e32 v31, s31
	v_add_co_u32_e64 v29, s[8:9], s30, v29
	v_addc_co_u32_e64 v30, s[8:9], v31, v30, s[8:9]
	global_load_dwordx4 v[29:32], v[29:30], off
.LBB106_16:                             ;   in Loop: Header=BB106_4 Depth=1
	s_or_b64 exec, exec, s[10:11]
	v_add_co_u32_e64 v55, s[8:9], s35, v49
	v_addc_co_u32_e64 v56, s[8:9], 0, v50, s[8:9]
	v_cmp_gt_u64_e64 s[8:9], s[20:21], v[55:56]
	v_mov_b32_e32 v43, 0
	v_mov_b32_e32 v47, 0
	;; [unrolled: 1-line block ×10, first 2 shown]
	s_and_saveexec_b64 s[24:25], s[8:9]
	s_cbranch_execz .LBB106_18
; %bb.17:                               ;   in Loop: Header=BB106_4 Depth=1
	v_lshlrev_b64 v[37:38], 4, v[55:56]
	v_mov_b32_e32 v39, s29
	v_add_co_u32_e64 v41, s[10:11], s28, v37
	v_addc_co_u32_e64 v42, s[10:11], v39, v38, s[10:11]
	v_mov_b32_e32 v39, s27
	v_add_co_u32_e64 v57, s[10:11], s26, v37
	v_addc_co_u32_e64 v58, s[10:11], v39, v38, s[10:11]
	global_load_dwordx4 v[37:40], v[57:58], off
	global_load_dwordx4 v[45:48], v[41:42], off
.LBB106_18:                             ;   in Loop: Header=BB106_4 Depth=1
	s_or_b64 exec, exec, s[24:25]
	v_mov_b32_e32 v41, 0
	v_mov_b32_e32 v42, 0
	s_and_saveexec_b64 s[24:25], s[8:9]
	s_cbranch_execnz .LBB106_23
; %bb.19:                               ;   in Loop: Header=BB106_4 Depth=1
	s_or_b64 exec, exec, s[24:25]
	s_and_saveexec_b64 s[10:11], vcc
	s_cbranch_execnz .LBB106_24
.LBB106_20:                             ;   in Loop: Header=BB106_4 Depth=1
	s_or_b64 exec, exec, s[10:11]
	s_and_saveexec_b64 s[10:11], s[2:3]
	s_cbranch_execnz .LBB106_25
.LBB106_21:                             ;   in Loop: Header=BB106_4 Depth=1
	s_or_b64 exec, exec, s[10:11]
	s_and_saveexec_b64 s[2:3], s[6:7]
	s_cbranch_execnz .LBB106_26
.LBB106_22:                             ;   in Loop: Header=BB106_4 Depth=1
	s_or_b64 exec, exec, s[2:3]
	s_and_saveexec_b64 s[2:3], s[8:9]
	s_cbranch_execz .LBB106_3
	s_branch .LBB106_27
.LBB106_23:                             ;   in Loop: Header=BB106_4 Depth=1
	v_lshlrev_b64 v[41:42], 4, v[55:56]
	v_mov_b32_e32 v43, s31
	v_add_co_u32_e64 v41, s[10:11], s30, v41
	v_addc_co_u32_e64 v42, s[10:11], v43, v42, s[10:11]
	global_load_dwordx4 v[41:44], v[41:42], off
	s_or_b64 exec, exec, s[24:25]
	s_and_saveexec_b64 s[10:11], vcc
	s_cbranch_execz .LBB106_20
.LBB106_24:                             ;   in Loop: Header=BB106_4 Depth=1
	s_waitcnt vmcnt(0)
	v_mul_f64 v[57:58], v[11:12], v[5:6]
	v_mul_f64 v[11:12], v[11:12], v[7:8]
	v_fma_f64 v[7:8], v[9:10], v[7:8], v[57:58]
	v_fma_f64 v[5:6], v[9:10], v[5:6], -v[11:12]
	v_mul_f64 v[9:10], s[14:15], v[7:8]
	v_mul_f64 v[11:12], s[14:15], v[5:6]
	v_fma_f64 v[9:10], s[12:13], v[5:6], -v[9:10]
	v_fma_f64 v[11:12], s[12:13], v[7:8], v[11:12]
	v_cndmask_b32_e64 v6, v10, v6, s[0:1]
	v_cndmask_b32_e64 v5, v9, v5, s[0:1]
	;; [unrolled: 1-line block ×4, first 2 shown]
	v_add_f64 v[1:2], v[1:2], v[5:6]
	v_add_f64 v[3:4], v[3:4], v[7:8]
	v_lshlrev_b64 v[5:6], 4, v[49:50]
	v_mov_b32_e32 v7, s27
	v_add_co_u32_e32 v5, vcc, s26, v5
	v_addc_co_u32_e32 v6, vcc, v7, v6, vcc
	global_store_dwordx4 v[5:6], v[1:4], off
	s_or_b64 exec, exec, s[10:11]
	s_and_saveexec_b64 s[10:11], s[2:3]
	s_cbranch_execz .LBB106_21
.LBB106_25:                             ;   in Loop: Header=BB106_4 Depth=1
	s_waitcnt vmcnt(0)
	v_mul_f64 v[1:2], v[23:24], v[17:18]
	v_mul_f64 v[3:4], v[23:24], v[19:20]
	v_fma_f64 v[1:2], v[21:22], v[19:20], v[1:2]
	v_fma_f64 v[3:4], v[21:22], v[17:18], -v[3:4]
	v_mul_f64 v[5:6], s[14:15], v[1:2]
	v_mul_f64 v[7:8], s[14:15], v[3:4]
	v_fma_f64 v[5:6], s[12:13], v[3:4], -v[5:6]
	v_fma_f64 v[7:8], s[12:13], v[1:2], v[7:8]
	v_cndmask_b32_e64 v6, v6, v4, s[0:1]
	v_cndmask_b32_e64 v5, v5, v3, s[0:1]
	;; [unrolled: 1-line block ×4, first 2 shown]
	v_add_f64 v[3:4], v[15:16], v[1:2]
	v_add_f64 v[1:2], v[13:14], v[5:6]
	v_lshlrev_b64 v[5:6], 4, v[51:52]
	v_mov_b32_e32 v7, s27
	v_add_co_u32_e32 v5, vcc, s26, v5
	v_addc_co_u32_e32 v6, vcc, v7, v6, vcc
	global_store_dwordx4 v[5:6], v[1:4], off
	s_or_b64 exec, exec, s[10:11]
	s_and_saveexec_b64 s[2:3], s[6:7]
	s_cbranch_execz .LBB106_22
.LBB106_26:                             ;   in Loop: Header=BB106_4 Depth=1
	s_waitcnt vmcnt(0)
	v_mul_f64 v[1:2], v[35:36], v[29:30]
	v_mul_f64 v[3:4], v[35:36], v[31:32]
	v_fma_f64 v[1:2], v[33:34], v[31:32], v[1:2]
	v_fma_f64 v[3:4], v[33:34], v[29:30], -v[3:4]
	v_mul_f64 v[5:6], s[14:15], v[1:2]
	v_mul_f64 v[7:8], s[14:15], v[3:4]
	v_fma_f64 v[5:6], s[12:13], v[3:4], -v[5:6]
	v_fma_f64 v[7:8], s[12:13], v[1:2], v[7:8]
	v_cndmask_b32_e64 v6, v6, v4, s[0:1]
	v_cndmask_b32_e64 v5, v5, v3, s[0:1]
	;; [unrolled: 1-line block ×4, first 2 shown]
	v_add_f64 v[3:4], v[27:28], v[1:2]
	v_add_f64 v[1:2], v[25:26], v[5:6]
	v_lshlrev_b64 v[5:6], 4, v[53:54]
	v_mov_b32_e32 v7, s27
	v_add_co_u32_e32 v5, vcc, s26, v5
	v_addc_co_u32_e32 v6, vcc, v7, v6, vcc
	global_store_dwordx4 v[5:6], v[1:4], off
	s_or_b64 exec, exec, s[2:3]
	s_and_saveexec_b64 s[2:3], s[8:9]
	s_cbranch_execz .LBB106_3
.LBB106_27:                             ;   in Loop: Header=BB106_4 Depth=1
	s_waitcnt vmcnt(0)
	v_mul_f64 v[1:2], v[47:48], v[41:42]
	v_mul_f64 v[3:4], v[47:48], v[43:44]
	v_fma_f64 v[1:2], v[45:46], v[43:44], v[1:2]
	v_fma_f64 v[3:4], v[45:46], v[41:42], -v[3:4]
	v_mul_f64 v[5:6], s[14:15], v[1:2]
	v_mul_f64 v[7:8], s[14:15], v[3:4]
	v_fma_f64 v[5:6], s[12:13], v[3:4], -v[5:6]
	v_fma_f64 v[7:8], s[12:13], v[1:2], v[7:8]
	v_cndmask_b32_e64 v6, v6, v4, s[0:1]
	v_cndmask_b32_e64 v5, v5, v3, s[0:1]
	;; [unrolled: 1-line block ×4, first 2 shown]
	v_add_f64 v[3:4], v[39:40], v[1:2]
	v_add_f64 v[1:2], v[37:38], v[5:6]
	v_lshlrev_b64 v[5:6], 4, v[55:56]
	v_mov_b32_e32 v7, s27
	v_add_co_u32_e32 v5, vcc, s26, v5
	v_addc_co_u32_e32 v6, vcc, v7, v6, vcc
	global_store_dwordx4 v[5:6], v[1:4], off
	s_branch .LBB106_3
.LBB106_28:
	s_mov_b64 s[0:1], 0
.LBB106_29:
	s_andn2_b64 vcc, exec, s[0:1]
	s_cbranch_vccnz .LBB106_33
; %bb.30:
	v_mov_b32_e32 v1, 0x10000
	v_mov_b32_e32 v2, 0
	v_cmp_lt_i64_e32 vcc, s[16:17], v[1:2]
	v_mov_b32_e32 v2, 0
	s_and_b64 s[0:1], vcc, exec
	s_cselect_b32 s7, s17, 0
	s_cselect_b32 s6, s16, 0x10000
	v_lshlrev_b32_e32 v1, 2, v0
	v_cmp_gt_i64_e32 vcc, s[6:7], v[1:2]
	s_and_saveexec_b64 s[0:1], vcc
	s_cbranch_execz .LBB106_33
; %bb.31:
	s_waitcnt lgkmcnt(0)
	v_cmp_eq_f64_e64 s[0:1], s[12:13], 1.0
	v_cmp_eq_f64_e64 s[2:3], s[14:15], 0
	s_load_dword s8, s[4:5], 0xf54
	v_mov_b32_e32 v1, v2
	s_mov_b64 s[4:5], 0
	v_lshlrev_b32_e32 v2, 6, v0
	s_waitcnt lgkmcnt(0)
	s_and_b32 s8, s8, 0xffff
	s_lshl_b32 s9, s8, 6
	s_and_b64 vcc, s[0:1], s[2:3]
.LBB106_32:                             ; =>This Inner Loop Header: Depth=1
	v_mov_b32_e32 v4, s31
	s_waitcnt vmcnt(0)
	v_add_co_u32_e64 v35, s[0:1], s30, v2
	v_mov_b32_e32 v3, s29
	v_add_co_u32_e64 v37, s[2:3], s28, v2
	v_addc_co_u32_e64 v36, s[0:1], 0, v4, s[0:1]
	v_addc_co_u32_e64 v38, s[2:3], 0, v3, s[2:3]
	global_load_dwordx4 v[3:6], v[35:36], off
	global_load_dwordx4 v[7:10], v[37:38], off
	global_load_dwordx4 v[11:14], v[37:38], off offset:16
	global_load_dwordx4 v[15:18], v[35:36], off offset:16
	;; [unrolled: 1-line block ×6, first 2 shown]
	v_mov_b32_e32 v35, s27
	v_add_co_u32_e64 v51, s[0:1], s26, v2
	v_addc_co_u32_e64 v52, s[0:1], 0, v35, s[0:1]
	global_load_dwordx4 v[35:38], v[51:52], off
	global_load_dwordx4 v[39:42], v[51:52], off offset:16
	global_load_dwordx4 v[43:46], v[51:52], off offset:32
	;; [unrolled: 1-line block ×3, first 2 shown]
	v_add_co_u32_e64 v0, s[0:1], s8, v0
	s_add_u32 s30, s30, s9
	v_addc_co_u32_e64 v1, s[0:1], 0, v1, s[0:1]
	s_addc_u32 s31, s31, 0
	v_lshlrev_b64 v[53:54], 2, v[0:1]
	s_add_u32 s26, s26, s9
	s_addc_u32 s27, s27, 0
	v_cmp_le_i64_e64 s[0:1], s[6:7], v[53:54]
	s_add_u32 s28, s28, s9
	s_addc_u32 s29, s29, 0
	s_or_b64 s[4:5], s[0:1], s[4:5]
	s_waitcnt vmcnt(10)
	v_mul_f64 v[55:56], v[9:10], v[5:6]
	v_mul_f64 v[5:6], v[7:8], v[5:6]
	v_fma_f64 v[7:8], v[7:8], v[3:4], -v[55:56]
	v_fma_f64 v[3:4], v[9:10], v[3:4], v[5:6]
	s_waitcnt vmcnt(8)
	v_mul_f64 v[5:6], v[13:14], v[17:18]
	v_mul_f64 v[9:10], v[11:12], v[17:18]
	s_waitcnt vmcnt(6)
	v_mul_f64 v[17:18], v[25:26], v[21:22]
	v_mul_f64 v[21:22], v[23:24], v[21:22]
	v_fma_f64 v[5:6], v[11:12], v[15:16], -v[5:6]
	v_fma_f64 v[9:10], v[13:14], v[15:16], v[9:10]
	s_waitcnt vmcnt(4)
	v_mul_f64 v[11:12], v[27:28], v[33:34]
	v_mul_f64 v[13:14], v[29:30], v[33:34]
	v_fma_f64 v[15:16], v[25:26], v[19:20], v[21:22]
	v_fma_f64 v[17:18], v[23:24], v[19:20], -v[17:18]
	v_mul_f64 v[19:20], s[14:15], v[3:4]
	v_mul_f64 v[21:22], s[14:15], v[7:8]
	;; [unrolled: 1-line block ×4, first 2 shown]
	v_fma_f64 v[11:12], v[29:30], v[31:32], v[11:12]
	v_fma_f64 v[13:14], v[27:28], v[31:32], -v[13:14]
	v_mul_f64 v[27:28], s[14:15], v[15:16]
	v_mul_f64 v[29:30], s[14:15], v[17:18]
	v_fma_f64 v[19:20], s[12:13], v[7:8], -v[19:20]
	v_fma_f64 v[21:22], s[12:13], v[3:4], v[21:22]
	v_fma_f64 v[25:26], s[12:13], v[9:10], v[25:26]
	v_fma_f64 v[23:24], s[12:13], v[5:6], -v[23:24]
	v_mul_f64 v[31:32], s[14:15], v[11:12]
	v_mul_f64 v[33:34], s[14:15], v[13:14]
	v_fma_f64 v[27:28], s[12:13], v[17:18], -v[27:28]
	v_fma_f64 v[29:30], s[12:13], v[15:16], v[29:30]
	v_cndmask_b32_e32 v8, v20, v8, vcc
	v_cndmask_b32_e32 v7, v19, v7, vcc
	;; [unrolled: 1-line block ×4, first 2 shown]
	v_fma_f64 v[31:32], s[12:13], v[13:14], -v[31:32]
	v_fma_f64 v[33:34], s[12:13], v[11:12], v[33:34]
	v_cndmask_b32_e32 v20, v24, v6, vcc
	v_cndmask_b32_e32 v19, v23, v5, vcc
	v_cndmask_b32_e32 v10, v26, v10, vcc
	v_cndmask_b32_e32 v9, v25, v9, vcc
	s_waitcnt vmcnt(3)
	v_add_f64 v[5:6], v[37:38], v[3:4]
	v_add_f64 v[3:4], v[35:36], v[7:8]
	v_cndmask_b32_e32 v18, v28, v18, vcc
	v_cndmask_b32_e32 v17, v27, v17, vcc
	v_cndmask_b32_e32 v16, v30, v16, vcc
	v_cndmask_b32_e32 v15, v29, v15, vcc
	s_waitcnt vmcnt(2)
	v_add_f64 v[9:10], v[41:42], v[9:10]
	v_add_f64 v[7:8], v[39:40], v[19:20]
	;; [unrolled: 7-line block ×3, first 2 shown]
	s_waitcnt vmcnt(0)
	v_add_f64 v[17:18], v[49:50], v[23:24]
	v_add_f64 v[15:16], v[47:48], v[21:22]
	global_store_dwordx4 v[51:52], v[3:6], off
	global_store_dwordx4 v[51:52], v[7:10], off offset:16
	global_store_dwordx4 v[51:52], v[11:14], off offset:32
	;; [unrolled: 1-line block ×3, first 2 shown]
	s_andn2_b64 exec, exec, s[4:5]
	s_cbranch_execnz .LBB106_32
.LBB106_33:
	s_endpgm
	.section	.rodata,"a",@progbits
	.p2align	6, 0x0
	.amdhsa_kernel _ZN2at6native12_GLOBAL__N_125multi_tensor_apply_kernelINS1_28TensorListScalarListMetadataIN3c107complexIdEELi3EEENS1_28PointwiseOpScalarListFunctorIS6_Li3ELi3ELi0EEEJSt10multipliesIS6_EEEEvT_T0_DpT1_
		.amdhsa_group_segment_fixed_size 0
		.amdhsa_private_segment_fixed_size 0
		.amdhsa_kernarg_size 4168
		.amdhsa_user_sgpr_count 6
		.amdhsa_user_sgpr_private_segment_buffer 1
		.amdhsa_user_sgpr_dispatch_ptr 0
		.amdhsa_user_sgpr_queue_ptr 0
		.amdhsa_user_sgpr_kernarg_segment_ptr 1
		.amdhsa_user_sgpr_dispatch_id 0
		.amdhsa_user_sgpr_flat_scratch_init 0
		.amdhsa_user_sgpr_private_segment_size 0
		.amdhsa_uses_dynamic_stack 0
		.amdhsa_system_sgpr_private_segment_wavefront_offset 0
		.amdhsa_system_sgpr_workgroup_id_x 1
		.amdhsa_system_sgpr_workgroup_id_y 0
		.amdhsa_system_sgpr_workgroup_id_z 0
		.amdhsa_system_sgpr_workgroup_info 0
		.amdhsa_system_vgpr_workitem_id 0
		.amdhsa_next_free_vgpr 59
		.amdhsa_next_free_sgpr 37
		.amdhsa_reserve_vcc 1
		.amdhsa_reserve_flat_scratch 0
		.amdhsa_float_round_mode_32 0
		.amdhsa_float_round_mode_16_64 0
		.amdhsa_float_denorm_mode_32 3
		.amdhsa_float_denorm_mode_16_64 3
		.amdhsa_dx10_clamp 1
		.amdhsa_ieee_mode 1
		.amdhsa_fp16_overflow 0
		.amdhsa_exception_fp_ieee_invalid_op 0
		.amdhsa_exception_fp_denorm_src 0
		.amdhsa_exception_fp_ieee_div_zero 0
		.amdhsa_exception_fp_ieee_overflow 0
		.amdhsa_exception_fp_ieee_underflow 0
		.amdhsa_exception_fp_ieee_inexact 0
		.amdhsa_exception_int_div_zero 0
	.end_amdhsa_kernel
	.section	.text._ZN2at6native12_GLOBAL__N_125multi_tensor_apply_kernelINS1_28TensorListScalarListMetadataIN3c107complexIdEELi3EEENS1_28PointwiseOpScalarListFunctorIS6_Li3ELi3ELi0EEEJSt10multipliesIS6_EEEEvT_T0_DpT1_,"axG",@progbits,_ZN2at6native12_GLOBAL__N_125multi_tensor_apply_kernelINS1_28TensorListScalarListMetadataIN3c107complexIdEELi3EEENS1_28PointwiseOpScalarListFunctorIS6_Li3ELi3ELi0EEEJSt10multipliesIS6_EEEEvT_T0_DpT1_,comdat
.Lfunc_end106:
	.size	_ZN2at6native12_GLOBAL__N_125multi_tensor_apply_kernelINS1_28TensorListScalarListMetadataIN3c107complexIdEELi3EEENS1_28PointwiseOpScalarListFunctorIS6_Li3ELi3ELi0EEEJSt10multipliesIS6_EEEEvT_T0_DpT1_, .Lfunc_end106-_ZN2at6native12_GLOBAL__N_125multi_tensor_apply_kernelINS1_28TensorListScalarListMetadataIN3c107complexIdEELi3EEENS1_28PointwiseOpScalarListFunctorIS6_Li3ELi3ELi0EEEJSt10multipliesIS6_EEEEvT_T0_DpT1_
                                        ; -- End function
	.set _ZN2at6native12_GLOBAL__N_125multi_tensor_apply_kernelINS1_28TensorListScalarListMetadataIN3c107complexIdEELi3EEENS1_28PointwiseOpScalarListFunctorIS6_Li3ELi3ELi0EEEJSt10multipliesIS6_EEEEvT_T0_DpT1_.num_vgpr, 59
	.set _ZN2at6native12_GLOBAL__N_125multi_tensor_apply_kernelINS1_28TensorListScalarListMetadataIN3c107complexIdEELi3EEENS1_28PointwiseOpScalarListFunctorIS6_Li3ELi3ELi0EEEJSt10multipliesIS6_EEEEvT_T0_DpT1_.num_agpr, 0
	.set _ZN2at6native12_GLOBAL__N_125multi_tensor_apply_kernelINS1_28TensorListScalarListMetadataIN3c107complexIdEELi3EEENS1_28PointwiseOpScalarListFunctorIS6_Li3ELi3ELi0EEEJSt10multipliesIS6_EEEEvT_T0_DpT1_.numbered_sgpr, 37
	.set _ZN2at6native12_GLOBAL__N_125multi_tensor_apply_kernelINS1_28TensorListScalarListMetadataIN3c107complexIdEELi3EEENS1_28PointwiseOpScalarListFunctorIS6_Li3ELi3ELi0EEEJSt10multipliesIS6_EEEEvT_T0_DpT1_.num_named_barrier, 0
	.set _ZN2at6native12_GLOBAL__N_125multi_tensor_apply_kernelINS1_28TensorListScalarListMetadataIN3c107complexIdEELi3EEENS1_28PointwiseOpScalarListFunctorIS6_Li3ELi3ELi0EEEJSt10multipliesIS6_EEEEvT_T0_DpT1_.private_seg_size, 0
	.set _ZN2at6native12_GLOBAL__N_125multi_tensor_apply_kernelINS1_28TensorListScalarListMetadataIN3c107complexIdEELi3EEENS1_28PointwiseOpScalarListFunctorIS6_Li3ELi3ELi0EEEJSt10multipliesIS6_EEEEvT_T0_DpT1_.uses_vcc, 1
	.set _ZN2at6native12_GLOBAL__N_125multi_tensor_apply_kernelINS1_28TensorListScalarListMetadataIN3c107complexIdEELi3EEENS1_28PointwiseOpScalarListFunctorIS6_Li3ELi3ELi0EEEJSt10multipliesIS6_EEEEvT_T0_DpT1_.uses_flat_scratch, 0
	.set _ZN2at6native12_GLOBAL__N_125multi_tensor_apply_kernelINS1_28TensorListScalarListMetadataIN3c107complexIdEELi3EEENS1_28PointwiseOpScalarListFunctorIS6_Li3ELi3ELi0EEEJSt10multipliesIS6_EEEEvT_T0_DpT1_.has_dyn_sized_stack, 0
	.set _ZN2at6native12_GLOBAL__N_125multi_tensor_apply_kernelINS1_28TensorListScalarListMetadataIN3c107complexIdEELi3EEENS1_28PointwiseOpScalarListFunctorIS6_Li3ELi3ELi0EEEJSt10multipliesIS6_EEEEvT_T0_DpT1_.has_recursion, 0
	.set _ZN2at6native12_GLOBAL__N_125multi_tensor_apply_kernelINS1_28TensorListScalarListMetadataIN3c107complexIdEELi3EEENS1_28PointwiseOpScalarListFunctorIS6_Li3ELi3ELi0EEEJSt10multipliesIS6_EEEEvT_T0_DpT1_.has_indirect_call, 0
	.section	.AMDGPU.csdata,"",@progbits
; Kernel info:
; codeLenInByte = 2640
; TotalNumSgprs: 41
; NumVgprs: 59
; ScratchSize: 0
; MemoryBound: 1
; FloatMode: 240
; IeeeMode: 1
; LDSByteSize: 0 bytes/workgroup (compile time only)
; SGPRBlocks: 5
; VGPRBlocks: 14
; NumSGPRsForWavesPerEU: 41
; NumVGPRsForWavesPerEU: 59
; Occupancy: 4
; WaveLimiterHint : 0
; COMPUTE_PGM_RSRC2:SCRATCH_EN: 0
; COMPUTE_PGM_RSRC2:USER_SGPR: 6
; COMPUTE_PGM_RSRC2:TRAP_HANDLER: 0
; COMPUTE_PGM_RSRC2:TGID_X_EN: 1
; COMPUTE_PGM_RSRC2:TGID_Y_EN: 0
; COMPUTE_PGM_RSRC2:TGID_Z_EN: 0
; COMPUTE_PGM_RSRC2:TIDIG_COMP_CNT: 0
	.section	.text._ZN2at6native12_GLOBAL__N_125multi_tensor_apply_kernelINS1_28TensorListScalarListMetadataIN3c107complexIfEELi3EEENS1_28PointwiseOpScalarListFunctorIS6_Li3ELi3ELi0EEEJSt10multipliesIS6_EEEEvT_T0_DpT1_,"axG",@progbits,_ZN2at6native12_GLOBAL__N_125multi_tensor_apply_kernelINS1_28TensorListScalarListMetadataIN3c107complexIfEELi3EEENS1_28PointwiseOpScalarListFunctorIS6_Li3ELi3ELi0EEEJSt10multipliesIS6_EEEEvT_T0_DpT1_,comdat
	.globl	_ZN2at6native12_GLOBAL__N_125multi_tensor_apply_kernelINS1_28TensorListScalarListMetadataIN3c107complexIfEELi3EEENS1_28PointwiseOpScalarListFunctorIS6_Li3ELi3ELi0EEEJSt10multipliesIS6_EEEEvT_T0_DpT1_ ; -- Begin function _ZN2at6native12_GLOBAL__N_125multi_tensor_apply_kernelINS1_28TensorListScalarListMetadataIN3c107complexIfEELi3EEENS1_28PointwiseOpScalarListFunctorIS6_Li3ELi3ELi0EEEJSt10multipliesIS6_EEEEvT_T0_DpT1_
	.p2align	8
	.type	_ZN2at6native12_GLOBAL__N_125multi_tensor_apply_kernelINS1_28TensorListScalarListMetadataIN3c107complexIfEELi3EEENS1_28PointwiseOpScalarListFunctorIS6_Li3ELi3ELi0EEEJSt10multipliesIS6_EEEEvT_T0_DpT1_,@function
_ZN2at6native12_GLOBAL__N_125multi_tensor_apply_kernelINS1_28TensorListScalarListMetadataIN3c107complexIfEELi3EEENS1_28PointwiseOpScalarListFunctorIS6_Li3ELi3ELi0EEEJSt10multipliesIS6_EEEEvT_T0_DpT1_: ; @_ZN2at6native12_GLOBAL__N_125multi_tensor_apply_kernelINS1_28TensorListScalarListMetadataIN3c107complexIfEELi3EEENS1_28PointwiseOpScalarListFunctorIS6_Li3ELi3ELi0EEEJSt10multipliesIS6_EEEEvT_T0_DpT1_
; %bb.0:
	v_mov_b32_e32 v1, s6
	global_load_ubyte v1, v1, s[4:5] offset:1920
	s_add_u32 s0, s4, s6
	s_mul_hi_u32 s3, s6, 3
	s_mul_i32 s6, s6, 3
	s_addc_u32 s7, s5, 0
	s_add_u32 s2, s0, s6
	s_addc_u32 s3, s7, s3
	s_load_dword s10, s[2:3], 0x8c0
	s_mov_b32 s1, 0
	s_mov_b32 s19, s1
	s_waitcnt lgkmcnt(0)
	s_ashr_i32 s11, s10, 31
	s_lshl_b64 s[16:17], s[10:11], 19
	s_waitcnt vmcnt(0)
	v_readfirstlane_b32 s0, v1
	s_lshl_b32 s0, s0, 3
	s_load_dwordx2 s[12:13], s[4:5], s0 offset:0x600
	s_load_dwordx2 s[8:9], s[4:5], s0 offset:0x0
	;; [unrolled: 1-line block ×5, first 2 shown]
	s_waitcnt lgkmcnt(0)
	s_add_u32 s26, s8, s16
	s_addc_u32 s27, s9, s17
	s_add_u32 s28, s6, s16
	s_addc_u32 s29, s7, s17
	;; [unrolled: 2-line block ×3, first 2 shown]
	s_or_b32 s14, s30, s28
	s_and_b32 s0, s26, 31
	s_and_b32 s14, s14, 31
	s_cmp_eq_u32 s14, 0
	s_cselect_b64 s[22:23], -1, 0
	s_lshl_b64 s[10:11], s[10:11], 16
	s_sub_u32 s14, s20, s10
	s_subb_u32 s15, s21, s11
	s_and_b32 s18, s20, 3
	s_or_b64 s[0:1], s[0:1], s[18:19]
	s_cmp_eq_u64 s[0:1], 0
	s_cselect_b64 s[0:1], -1, 0
	s_and_b64 s[10:11], s[22:23], s[0:1]
	s_mov_b64 s[0:1], -1
	s_and_b64 vcc, exec, s[10:11]
	s_cbranch_vccnz .LBB107_29
; %bb.1:
	v_cmp_lt_i64_e64 s[0:1], s[14:15], 1
	s_and_b64 vcc, exec, s[0:1]
	s_cbranch_vccnz .LBB107_28
; %bb.2:
	v_mov_b32_e32 v1, 0x10000
	s_load_dword s10, s[4:5], 0xdd4
	v_mov_b32_e32 v2, 0
	v_cmp_lt_i64_e32 vcc, s[14:15], v[1:2]
	v_mov_b32_e32 v3, 0
	s_and_b64 s[0:1], vcc, exec
	s_cselect_b32 s19, s15, 0
	s_cselect_b32 s18, s14, 0x10000
	v_cmp_lt_u64_e32 vcc, s[14:15], v[1:2]
	s_waitcnt lgkmcnt(0)
	s_and_b32 s22, s10, 0xffff
	v_lshlrev_b32_e32 v2, 3, v0
	v_mad_u64_u32 v[3:4], s[10:11], s22, 24, v[2:3]
	s_and_b64 s[0:1], vcc, exec
	v_mov_b32_e32 v7, s9
	v_add_co_u32_e32 v25, vcc, s8, v3
	v_addc_co_u32_e32 v26, vcc, v7, v4, vcc
	v_mov_b32_e32 v7, s7
	v_add_co_u32_e32 v27, vcc, s6, v3
	s_cselect_b32 s21, s15, 0
	s_cselect_b32 s20, s14, 0x10000
	s_lshl_b32 s24, s22, 1
	s_and_b32 s0, s13, 0x7fffffff
	v_addc_co_u32_e32 v28, vcc, v7, v4, vcc
	s_cmp_eq_u32 s0, 0
	v_mov_b32_e32 v7, s3
	v_add_co_u32_e32 v29, vcc, s2, v3
	s_cselect_b64 s[0:1], -1, 0
	v_addc_co_u32_e32 v30, vcc, v7, v4, vcc
	s_lshl_b32 s10, s22, 4
	v_add_co_u32_e32 v3, vcc, s10, v2
	v_addc_co_u32_e64 v4, s[10:11], 0, 0, vcc
	v_mov_b32_e32 v7, s9
	v_add_co_u32_e32 v31, vcc, s8, v3
	v_addc_co_u32_e32 v32, vcc, v7, v4, vcc
	v_mov_b32_e32 v7, s7
	v_add_co_u32_e32 v33, vcc, s6, v3
	v_addc_co_u32_e32 v34, vcc, v7, v4, vcc
	;; [unrolled: 3-line block ×6, first 2 shown]
	v_add_co_u32_e32 v43, vcc, s22, v0
	v_cmp_eq_f32_e64 s[10:11], s12, 1.0
	v_lshlrev_b32_e32 v1, 3, v43
	s_and_b64 s[0:1], s[10:11], s[0:1]
	v_addc_co_u32_e64 v44, s[10:11], 0, 0, vcc
	v_mov_b32_e32 v2, s9
	v_add_co_u32_e32 v45, vcc, s8, v1
	v_addc_co_u32_e32 v46, vcc, 0, v2, vcc
	v_mov_b32_e32 v2, s7
	v_add_co_u32_e32 v47, vcc, s6, v1
	v_addc_co_u32_e32 v48, vcc, 0, v2, vcc
	v_mov_b32_e32 v2, s3
	v_add_co_u32_e32 v49, vcc, s2, v1
	s_mul_i32 s25, s22, 3
	v_addc_co_u32_e32 v50, vcc, 0, v2, vcc
	v_add_co_u32_e32 v51, vcc, s25, v0
	v_addc_co_u32_e64 v52, s[2:3], 0, 0, vcc
	v_add_co_u32_e32 v53, vcc, s24, v0
	s_lshl_b32 s33, s22, 2
	s_lshl_b32 s34, s22, 5
	s_mov_b64 s[22:23], 0
	v_addc_co_u32_e64 v54, s[2:3], 0, 0, vcc
	s_branch .LBB107_4
.LBB107_3:                              ;   in Loop: Header=BB107_4 Depth=1
	s_or_b64 exec, exec, s[2:3]
	v_add_co_u32_e32 v37, vcc, s34, v37
	v_addc_co_u32_e32 v38, vcc, 0, v38, vcc
	v_add_co_u32_e32 v39, vcc, s34, v39
	v_addc_co_u32_e32 v40, vcc, 0, v40, vcc
	;; [unrolled: 2-line block ×10, first 2 shown]
	s_add_u32 s22, s22, s33
	v_add_co_u32_e32 v47, vcc, s34, v47
	s_waitcnt vmcnt(1)
	v_mov_b32_e32 v1, s18
	s_addc_u32 s23, s23, 0
	v_addc_co_u32_e32 v48, vcc, 0, v48, vcc
	v_mov_b32_e32 v2, s19
	v_cmp_lt_i64_e32 vcc, s[22:23], v[1:2]
	v_add_co_u32_e64 v49, s[2:3], s34, v49
	v_addc_co_u32_e64 v50, s[2:3], 0, v50, s[2:3]
	s_cbranch_vccz .LBB107_28
.LBB107_4:                              ; =>This Inner Loop Header: Depth=1
	v_mov_b32_e32 v2, s23
	v_add_co_u32_e32 v1, vcc, s22, v0
	v_addc_co_u32_e32 v2, vcc, 0, v2, vcc
	v_cmp_gt_u64_e32 vcc, s[20:21], v[1:2]
	s_waitcnt vmcnt(0)
	v_mov_b32_e32 v4, 0
	v_mov_b32_e32 v3, 0
	;; [unrolled: 1-line block ×4, first 2 shown]
	s_and_saveexec_b64 s[6:7], vcc
	s_cbranch_execz .LBB107_6
; %bb.5:                                ;   in Loop: Header=BB107_4 Depth=1
	v_mov_b32_e32 v4, s17
	v_add_co_u32_e64 v1, s[2:3], s16, v37
	v_addc_co_u32_e64 v2, s[2:3], v38, v4, s[2:3]
	v_add_co_u32_e64 v3, s[2:3], s16, v39
	v_addc_co_u32_e64 v4, s[2:3], v40, v4, s[2:3]
	global_load_dwordx2 v[1:2], v[1:2], off
	s_nop 0
	global_load_dwordx2 v[3:4], v[3:4], off
.LBB107_6:                              ;   in Loop: Header=BB107_4 Depth=1
	s_or_b64 exec, exec, s[6:7]
	v_mov_b32_e32 v6, 0
	v_mov_b32_e32 v10, 0
	;; [unrolled: 1-line block ×3, first 2 shown]
	s_and_saveexec_b64 s[6:7], vcc
	s_cbranch_execz .LBB107_8
; %bb.7:                                ;   in Loop: Header=BB107_4 Depth=1
	v_mov_b32_e32 v5, s17
	v_add_co_u32_e64 v7, s[2:3], s16, v41
	v_addc_co_u32_e64 v8, s[2:3], v42, v5, s[2:3]
	global_load_dwordx2 v[9:10], v[7:8], off
.LBB107_8:                              ;   in Loop: Header=BB107_4 Depth=1
	s_or_b64 exec, exec, s[6:7]
	v_mov_b32_e32 v5, s23
	v_add_co_u32_e64 v7, s[2:3], s22, v43
	v_addc_co_u32_e64 v8, s[2:3], v44, v5, s[2:3]
	v_cmp_gt_u64_e64 s[2:3], s[20:21], v[7:8]
	v_mov_b32_e32 v5, 0
	v_mov_b32_e32 v8, 0
	;; [unrolled: 1-line block ×3, first 2 shown]
	s_and_saveexec_b64 s[8:9], s[2:3]
	s_cbranch_execz .LBB107_10
; %bb.9:                                ;   in Loop: Header=BB107_4 Depth=1
	v_mov_b32_e32 v11, s17
	v_add_co_u32_e64 v5, s[6:7], s16, v45
	v_addc_co_u32_e64 v6, s[6:7], v46, v11, s[6:7]
	global_load_dwordx2 v[7:8], v[5:6], off
	v_add_co_u32_e64 v5, s[6:7], s16, v47
	v_addc_co_u32_e64 v6, s[6:7], v48, v11, s[6:7]
	global_load_dwordx2 v[5:6], v[5:6], off
.LBB107_10:                             ;   in Loop: Header=BB107_4 Depth=1
	s_or_b64 exec, exec, s[8:9]
	v_mov_b32_e32 v12, 0
	v_mov_b32_e32 v16, 0
	;; [unrolled: 1-line block ×3, first 2 shown]
	s_and_saveexec_b64 s[8:9], s[2:3]
	s_cbranch_execz .LBB107_12
; %bb.11:                               ;   in Loop: Header=BB107_4 Depth=1
	v_mov_b32_e32 v11, s17
	v_add_co_u32_e64 v13, s[6:7], s16, v49
	v_addc_co_u32_e64 v14, s[6:7], v50, v11, s[6:7]
	global_load_dwordx2 v[15:16], v[13:14], off
.LBB107_12:                             ;   in Loop: Header=BB107_4 Depth=1
	s_or_b64 exec, exec, s[8:9]
	v_mov_b32_e32 v11, s23
	v_add_co_u32_e64 v13, s[6:7], s22, v53
	v_addc_co_u32_e64 v14, s[6:7], v54, v11, s[6:7]
	v_cmp_gt_u64_e64 s[6:7], s[20:21], v[13:14]
	v_mov_b32_e32 v11, 0
	v_mov_b32_e32 v14, 0
	v_mov_b32_e32 v13, 0
	s_and_saveexec_b64 s[10:11], s[6:7]
	s_cbranch_execz .LBB107_14
; %bb.13:                               ;   in Loop: Header=BB107_4 Depth=1
	v_mov_b32_e32 v17, s17
	v_add_co_u32_e64 v11, s[8:9], s16, v31
	v_addc_co_u32_e64 v12, s[8:9], v32, v17, s[8:9]
	global_load_dwordx2 v[13:14], v[11:12], off
	v_add_co_u32_e64 v11, s[8:9], s16, v33
	v_addc_co_u32_e64 v12, s[8:9], v34, v17, s[8:9]
	global_load_dwordx2 v[11:12], v[11:12], off
.LBB107_14:                             ;   in Loop: Header=BB107_4 Depth=1
	s_or_b64 exec, exec, s[10:11]
	v_mov_b32_e32 v18, 0
	v_mov_b32_e32 v22, 0
	;; [unrolled: 1-line block ×3, first 2 shown]
	s_and_saveexec_b64 s[10:11], s[6:7]
	s_cbranch_execz .LBB107_16
; %bb.15:                               ;   in Loop: Header=BB107_4 Depth=1
	v_mov_b32_e32 v17, s17
	v_add_co_u32_e64 v19, s[8:9], s16, v35
	v_addc_co_u32_e64 v20, s[8:9], v36, v17, s[8:9]
	global_load_dwordx2 v[21:22], v[19:20], off
.LBB107_16:                             ;   in Loop: Header=BB107_4 Depth=1
	s_or_b64 exec, exec, s[10:11]
	v_mov_b32_e32 v17, s23
	v_add_co_u32_e64 v19, s[8:9], s22, v51
	v_addc_co_u32_e64 v20, s[8:9], v52, v17, s[8:9]
	v_cmp_gt_u64_e64 s[8:9], s[20:21], v[19:20]
	v_mov_b32_e32 v17, 0
	v_mov_b32_e32 v20, 0
	;; [unrolled: 1-line block ×3, first 2 shown]
	s_and_saveexec_b64 s[24:25], s[8:9]
	s_cbranch_execz .LBB107_18
; %bb.17:                               ;   in Loop: Header=BB107_4 Depth=1
	v_mov_b32_e32 v23, s17
	v_add_co_u32_e64 v17, s[10:11], s16, v25
	v_addc_co_u32_e64 v18, s[10:11], v26, v23, s[10:11]
	global_load_dwordx2 v[19:20], v[17:18], off
	v_add_co_u32_e64 v17, s[10:11], s16, v27
	v_addc_co_u32_e64 v18, s[10:11], v28, v23, s[10:11]
	global_load_dwordx2 v[17:18], v[17:18], off
.LBB107_18:                             ;   in Loop: Header=BB107_4 Depth=1
	s_or_b64 exec, exec, s[24:25]
	v_mov_b32_e32 v24, 0
	v_mov_b32_e32 v23, 0
	s_and_saveexec_b64 s[24:25], s[8:9]
	s_cbranch_execnz .LBB107_23
; %bb.19:                               ;   in Loop: Header=BB107_4 Depth=1
	s_or_b64 exec, exec, s[24:25]
	s_and_saveexec_b64 s[10:11], vcc
	s_cbranch_execnz .LBB107_24
.LBB107_20:                             ;   in Loop: Header=BB107_4 Depth=1
	s_or_b64 exec, exec, s[10:11]
	s_and_saveexec_b64 s[10:11], s[2:3]
	s_cbranch_execnz .LBB107_25
.LBB107_21:                             ;   in Loop: Header=BB107_4 Depth=1
	s_or_b64 exec, exec, s[10:11]
	s_and_saveexec_b64 s[2:3], s[6:7]
	s_cbranch_execnz .LBB107_26
.LBB107_22:                             ;   in Loop: Header=BB107_4 Depth=1
	s_or_b64 exec, exec, s[2:3]
	s_and_saveexec_b64 s[2:3], s[8:9]
	s_cbranch_execz .LBB107_3
	s_branch .LBB107_27
.LBB107_23:                             ;   in Loop: Header=BB107_4 Depth=1
	v_mov_b32_e32 v24, s17
	v_add_co_u32_e64 v23, s[10:11], s16, v29
	v_addc_co_u32_e64 v24, s[10:11], v30, v24, s[10:11]
	global_load_dwordx2 v[23:24], v[23:24], off
	s_or_b64 exec, exec, s[24:25]
	s_and_saveexec_b64 s[10:11], vcc
	s_cbranch_execz .LBB107_20
.LBB107_24:                             ;   in Loop: Header=BB107_4 Depth=1
	s_waitcnt vmcnt(0)
	v_mul_f32_e32 v55, v4, v9
	v_mul_f32_e32 v4, v4, v10
	v_fmac_f32_e32 v55, v3, v10
	v_fma_f32 v3, v3, v9, -v4
	v_mul_f32_e32 v4, s13, v3
	v_fmac_f32_e32 v4, s12, v55
	v_cndmask_b32_e64 v4, v4, v55, s[0:1]
	v_add_f32_e32 v2, v2, v4
	v_mul_f32_e32 v4, s13, v55
	v_fma_f32 v4, v3, s12, -v4
	v_cndmask_b32_e64 v3, v4, v3, s[0:1]
	v_add_f32_e32 v1, v1, v3
	v_mov_b32_e32 v4, s17
	v_add_co_u32_e32 v3, vcc, s16, v37
	v_addc_co_u32_e32 v4, vcc, v38, v4, vcc
	global_store_dwordx2 v[3:4], v[1:2], off
	s_or_b64 exec, exec, s[10:11]
	s_and_saveexec_b64 s[10:11], s[2:3]
	s_cbranch_execz .LBB107_21
.LBB107_25:                             ;   in Loop: Header=BB107_4 Depth=1
	s_waitcnt vmcnt(0)
	v_mul_f32_e32 v1, v6, v16
	v_mul_f32_e32 v2, v6, v15
	v_fma_f32 v1, v5, v15, -v1
	v_fmac_f32_e32 v2, v5, v16
	v_mul_f32_e32 v3, s13, v2
	v_mul_f32_e32 v4, s13, v1
	v_fma_f32 v3, v1, s12, -v3
	v_fmac_f32_e32 v4, s12, v2
	v_cndmask_b32_e64 v1, v3, v1, s[0:1]
	v_cndmask_b32_e64 v2, v4, v2, s[0:1]
	v_mov_b32_e32 v4, s17
	v_add_co_u32_e32 v3, vcc, s16, v45
	v_add_f32_e32 v1, v7, v1
	v_add_f32_e32 v2, v8, v2
	v_addc_co_u32_e32 v4, vcc, v46, v4, vcc
	global_store_dwordx2 v[3:4], v[1:2], off
	s_or_b64 exec, exec, s[10:11]
	s_and_saveexec_b64 s[2:3], s[6:7]
	s_cbranch_execz .LBB107_22
.LBB107_26:                             ;   in Loop: Header=BB107_4 Depth=1
	s_waitcnt vmcnt(0)
	v_mul_f32_e32 v1, v12, v22
	v_mul_f32_e32 v2, v12, v21
	v_fma_f32 v1, v11, v21, -v1
	v_fmac_f32_e32 v2, v11, v22
	v_mul_f32_e32 v3, s13, v2
	v_mul_f32_e32 v4, s13, v1
	v_fma_f32 v3, v1, s12, -v3
	v_fmac_f32_e32 v4, s12, v2
	v_cndmask_b32_e64 v1, v3, v1, s[0:1]
	v_cndmask_b32_e64 v2, v4, v2, s[0:1]
	v_mov_b32_e32 v4, s17
	v_add_co_u32_e32 v3, vcc, s16, v31
	v_add_f32_e32 v1, v13, v1
	v_add_f32_e32 v2, v14, v2
	v_addc_co_u32_e32 v4, vcc, v32, v4, vcc
	global_store_dwordx2 v[3:4], v[1:2], off
	s_or_b64 exec, exec, s[2:3]
	s_and_saveexec_b64 s[2:3], s[8:9]
	s_cbranch_execz .LBB107_3
.LBB107_27:                             ;   in Loop: Header=BB107_4 Depth=1
	s_waitcnt vmcnt(0)
	v_mul_f32_e32 v1, v18, v24
	v_mul_f32_e32 v2, v18, v23
	v_fma_f32 v1, v17, v23, -v1
	v_fmac_f32_e32 v2, v17, v24
	v_mul_f32_e32 v3, s13, v2
	v_mul_f32_e32 v4, s13, v1
	v_fma_f32 v3, v1, s12, -v3
	v_fmac_f32_e32 v4, s12, v2
	v_cndmask_b32_e64 v1, v3, v1, s[0:1]
	v_cndmask_b32_e64 v2, v4, v2, s[0:1]
	v_mov_b32_e32 v4, s17
	v_add_co_u32_e32 v3, vcc, s16, v25
	v_add_f32_e32 v1, v19, v1
	v_add_f32_e32 v2, v20, v2
	v_addc_co_u32_e32 v4, vcc, v26, v4, vcc
	global_store_dwordx2 v[3:4], v[1:2], off
	s_branch .LBB107_3
.LBB107_28:
	s_mov_b64 s[0:1], 0
.LBB107_29:
	s_andn2_b64 vcc, exec, s[0:1]
	s_cbranch_vccnz .LBB107_33
; %bb.30:
	v_mov_b32_e32 v1, 0x10000
	v_mov_b32_e32 v2, 0
	v_cmp_lt_i64_e32 vcc, s[14:15], v[1:2]
	v_mov_b32_e32 v2, 0
	s_and_b64 s[0:1], vcc, exec
	s_cselect_b32 s7, s15, 0
	s_cselect_b32 s6, s14, 0x10000
	v_lshlrev_b32_e32 v1, 2, v0
	v_cmp_gt_i64_e32 vcc, s[6:7], v[1:2]
	s_and_saveexec_b64 s[0:1], vcc
	s_cbranch_execz .LBB107_33
; %bb.31:
	s_load_dword s4, s[4:5], 0xdd4
	s_and_b32 s2, s13, 0x7fffffff
	s_cmp_eq_u32 s2, 0
	v_cmp_eq_f32_e64 s[0:1], s12, 1.0
	s_cselect_b64 s[2:3], -1, 0
	s_waitcnt lgkmcnt(0)
	s_and_b32 s10, s4, 0xffff
	v_mov_b32_e32 v1, v2
	s_and_b64 vcc, s[0:1], s[2:3]
	v_lshlrev_b32_e32 v2, 5, v0
	s_lshl_b32 s11, s10, 5
	s_mov_b64 s[8:9], 0
.LBB107_32:                             ; =>This Inner Loop Header: Depth=1
	s_waitcnt vmcnt(0)
	v_mov_b32_e32 v4, s29
	v_add_co_u32_e64 v27, s[0:1], s28, v2
	v_mov_b32_e32 v5, s31
	v_add_co_u32_e64 v29, s[2:3], s30, v2
	v_mov_b32_e32 v3, s27
	v_add_co_u32_e64 v31, s[4:5], s26, v2
	v_addc_co_u32_e64 v28, s[0:1], 0, v4, s[0:1]
	v_addc_co_u32_e64 v30, s[0:1], 0, v5, s[2:3]
	;; [unrolled: 1-line block ×3, first 2 shown]
	global_load_dwordx4 v[3:6], v[29:30], off
	global_load_dwordx4 v[7:10], v[27:28], off
	global_load_dwordx4 v[11:14], v[27:28], off offset:16
	global_load_dwordx4 v[15:18], v[29:30], off offset:16
	global_load_dwordx4 v[19:22], v[31:32], off
	global_load_dwordx4 v[23:26], v[31:32], off offset:16
	v_add_co_u32_e64 v0, s[0:1], s10, v0
	v_addc_co_u32_e64 v1, s[0:1], 0, v1, s[0:1]
	v_lshlrev_b64 v[27:28], 2, v[0:1]
	s_add_u32 s30, s30, s11
	s_addc_u32 s31, s31, 0
	v_cmp_le_i64_e64 s[0:1], s[6:7], v[27:28]
	s_add_u32 s26, s26, s11
	s_addc_u32 s27, s27, 0
	s_add_u32 s28, s28, s11
	s_addc_u32 s29, s29, 0
	s_or_b64 s[8:9], s[0:1], s[8:9]
	s_waitcnt vmcnt(4)
	v_mul_f32_e32 v27, v8, v4
	v_mul_f32_e32 v4, v7, v4
	;; [unrolled: 1-line block ×4, first 2 shown]
	s_waitcnt vmcnt(2)
	v_mul_f32_e32 v29, v12, v16
	v_mul_f32_e32 v16, v11, v16
	;; [unrolled: 1-line block ×4, first 2 shown]
	v_fma_f32 v7, v7, v3, -v27
	v_fmac_f32_e32 v4, v8, v3
	v_fma_f32 v3, v9, v5, -v28
	v_fmac_f32_e32 v6, v10, v5
	;; [unrolled: 2-line block ×4, first 2 shown]
	v_mul_f32_e32 v9, s13, v4
	v_mul_f32_e32 v10, s13, v7
	v_mul_f32_e32 v11, s13, v6
	v_mul_f32_e32 v12, s13, v3
	v_mul_f32_e32 v13, s13, v16
	v_mul_f32_e32 v14, s13, v5
	v_mul_f32_e32 v15, s13, v18
	v_mul_f32_e32 v17, s13, v8
	v_fma_f32 v9, v7, s12, -v9
	v_fmac_f32_e32 v10, s12, v4
	v_fma_f32 v11, v3, s12, -v11
	v_fmac_f32_e32 v12, s12, v6
	;; [unrolled: 2-line block ×4, first 2 shown]
	v_cndmask_b32_e32 v7, v9, v7, vcc
	v_cndmask_b32_e32 v4, v10, v4, vcc
	;; [unrolled: 1-line block ×8, first 2 shown]
	s_waitcnt vmcnt(1)
	v_add_f32_e32 v3, v19, v7
	v_add_f32_e32 v4, v20, v4
	;; [unrolled: 1-line block ×4, first 2 shown]
	s_waitcnt vmcnt(0)
	v_add_f32_e32 v7, v23, v10
	v_add_f32_e32 v8, v24, v11
	;; [unrolled: 1-line block ×4, first 2 shown]
	global_store_dwordx4 v[31:32], v[3:6], off
	global_store_dwordx4 v[31:32], v[7:10], off offset:16
	s_andn2_b64 exec, exec, s[8:9]
	s_cbranch_execnz .LBB107_32
.LBB107_33:
	s_endpgm
	.section	.rodata,"a",@progbits
	.p2align	6, 0x0
	.amdhsa_kernel _ZN2at6native12_GLOBAL__N_125multi_tensor_apply_kernelINS1_28TensorListScalarListMetadataIN3c107complexIfEELi3EEENS1_28PointwiseOpScalarListFunctorIS6_Li3ELi3ELi0EEEJSt10multipliesIS6_EEEEvT_T0_DpT1_
		.amdhsa_group_segment_fixed_size 0
		.amdhsa_private_segment_fixed_size 0
		.amdhsa_kernarg_size 3784
		.amdhsa_user_sgpr_count 6
		.amdhsa_user_sgpr_private_segment_buffer 1
		.amdhsa_user_sgpr_dispatch_ptr 0
		.amdhsa_user_sgpr_queue_ptr 0
		.amdhsa_user_sgpr_kernarg_segment_ptr 1
		.amdhsa_user_sgpr_dispatch_id 0
		.amdhsa_user_sgpr_flat_scratch_init 0
		.amdhsa_user_sgpr_private_segment_size 0
		.amdhsa_uses_dynamic_stack 0
		.amdhsa_system_sgpr_private_segment_wavefront_offset 0
		.amdhsa_system_sgpr_workgroup_id_x 1
		.amdhsa_system_sgpr_workgroup_id_y 0
		.amdhsa_system_sgpr_workgroup_id_z 0
		.amdhsa_system_sgpr_workgroup_info 0
		.amdhsa_system_vgpr_workitem_id 0
		.amdhsa_next_free_vgpr 56
		.amdhsa_next_free_sgpr 35
		.amdhsa_reserve_vcc 1
		.amdhsa_reserve_flat_scratch 0
		.amdhsa_float_round_mode_32 0
		.amdhsa_float_round_mode_16_64 0
		.amdhsa_float_denorm_mode_32 3
		.amdhsa_float_denorm_mode_16_64 3
		.amdhsa_dx10_clamp 1
		.amdhsa_ieee_mode 1
		.amdhsa_fp16_overflow 0
		.amdhsa_exception_fp_ieee_invalid_op 0
		.amdhsa_exception_fp_denorm_src 0
		.amdhsa_exception_fp_ieee_div_zero 0
		.amdhsa_exception_fp_ieee_overflow 0
		.amdhsa_exception_fp_ieee_underflow 0
		.amdhsa_exception_fp_ieee_inexact 0
		.amdhsa_exception_int_div_zero 0
	.end_amdhsa_kernel
	.section	.text._ZN2at6native12_GLOBAL__N_125multi_tensor_apply_kernelINS1_28TensorListScalarListMetadataIN3c107complexIfEELi3EEENS1_28PointwiseOpScalarListFunctorIS6_Li3ELi3ELi0EEEJSt10multipliesIS6_EEEEvT_T0_DpT1_,"axG",@progbits,_ZN2at6native12_GLOBAL__N_125multi_tensor_apply_kernelINS1_28TensorListScalarListMetadataIN3c107complexIfEELi3EEENS1_28PointwiseOpScalarListFunctorIS6_Li3ELi3ELi0EEEJSt10multipliesIS6_EEEEvT_T0_DpT1_,comdat
.Lfunc_end107:
	.size	_ZN2at6native12_GLOBAL__N_125multi_tensor_apply_kernelINS1_28TensorListScalarListMetadataIN3c107complexIfEELi3EEENS1_28PointwiseOpScalarListFunctorIS6_Li3ELi3ELi0EEEJSt10multipliesIS6_EEEEvT_T0_DpT1_, .Lfunc_end107-_ZN2at6native12_GLOBAL__N_125multi_tensor_apply_kernelINS1_28TensorListScalarListMetadataIN3c107complexIfEELi3EEENS1_28PointwiseOpScalarListFunctorIS6_Li3ELi3ELi0EEEJSt10multipliesIS6_EEEEvT_T0_DpT1_
                                        ; -- End function
	.set _ZN2at6native12_GLOBAL__N_125multi_tensor_apply_kernelINS1_28TensorListScalarListMetadataIN3c107complexIfEELi3EEENS1_28PointwiseOpScalarListFunctorIS6_Li3ELi3ELi0EEEJSt10multipliesIS6_EEEEvT_T0_DpT1_.num_vgpr, 56
	.set _ZN2at6native12_GLOBAL__N_125multi_tensor_apply_kernelINS1_28TensorListScalarListMetadataIN3c107complexIfEELi3EEENS1_28PointwiseOpScalarListFunctorIS6_Li3ELi3ELi0EEEJSt10multipliesIS6_EEEEvT_T0_DpT1_.num_agpr, 0
	.set _ZN2at6native12_GLOBAL__N_125multi_tensor_apply_kernelINS1_28TensorListScalarListMetadataIN3c107complexIfEELi3EEENS1_28PointwiseOpScalarListFunctorIS6_Li3ELi3ELi0EEEJSt10multipliesIS6_EEEEvT_T0_DpT1_.numbered_sgpr, 35
	.set _ZN2at6native12_GLOBAL__N_125multi_tensor_apply_kernelINS1_28TensorListScalarListMetadataIN3c107complexIfEELi3EEENS1_28PointwiseOpScalarListFunctorIS6_Li3ELi3ELi0EEEJSt10multipliesIS6_EEEEvT_T0_DpT1_.num_named_barrier, 0
	.set _ZN2at6native12_GLOBAL__N_125multi_tensor_apply_kernelINS1_28TensorListScalarListMetadataIN3c107complexIfEELi3EEENS1_28PointwiseOpScalarListFunctorIS6_Li3ELi3ELi0EEEJSt10multipliesIS6_EEEEvT_T0_DpT1_.private_seg_size, 0
	.set _ZN2at6native12_GLOBAL__N_125multi_tensor_apply_kernelINS1_28TensorListScalarListMetadataIN3c107complexIfEELi3EEENS1_28PointwiseOpScalarListFunctorIS6_Li3ELi3ELi0EEEJSt10multipliesIS6_EEEEvT_T0_DpT1_.uses_vcc, 1
	.set _ZN2at6native12_GLOBAL__N_125multi_tensor_apply_kernelINS1_28TensorListScalarListMetadataIN3c107complexIfEELi3EEENS1_28PointwiseOpScalarListFunctorIS6_Li3ELi3ELi0EEEJSt10multipliesIS6_EEEEvT_T0_DpT1_.uses_flat_scratch, 0
	.set _ZN2at6native12_GLOBAL__N_125multi_tensor_apply_kernelINS1_28TensorListScalarListMetadataIN3c107complexIfEELi3EEENS1_28PointwiseOpScalarListFunctorIS6_Li3ELi3ELi0EEEJSt10multipliesIS6_EEEEvT_T0_DpT1_.has_dyn_sized_stack, 0
	.set _ZN2at6native12_GLOBAL__N_125multi_tensor_apply_kernelINS1_28TensorListScalarListMetadataIN3c107complexIfEELi3EEENS1_28PointwiseOpScalarListFunctorIS6_Li3ELi3ELi0EEEJSt10multipliesIS6_EEEEvT_T0_DpT1_.has_recursion, 0
	.set _ZN2at6native12_GLOBAL__N_125multi_tensor_apply_kernelINS1_28TensorListScalarListMetadataIN3c107complexIfEELi3EEENS1_28PointwiseOpScalarListFunctorIS6_Li3ELi3ELi0EEEJSt10multipliesIS6_EEEEvT_T0_DpT1_.has_indirect_call, 0
	.section	.AMDGPU.csdata,"",@progbits
; Kernel info:
; codeLenInByte = 2340
; TotalNumSgprs: 39
; NumVgprs: 56
; ScratchSize: 0
; MemoryBound: 0
; FloatMode: 240
; IeeeMode: 1
; LDSByteSize: 0 bytes/workgroup (compile time only)
; SGPRBlocks: 4
; VGPRBlocks: 13
; NumSGPRsForWavesPerEU: 39
; NumVGPRsForWavesPerEU: 56
; Occupancy: 4
; WaveLimiterHint : 1
; COMPUTE_PGM_RSRC2:SCRATCH_EN: 0
; COMPUTE_PGM_RSRC2:USER_SGPR: 6
; COMPUTE_PGM_RSRC2:TRAP_HANDLER: 0
; COMPUTE_PGM_RSRC2:TGID_X_EN: 1
; COMPUTE_PGM_RSRC2:TGID_Y_EN: 0
; COMPUTE_PGM_RSRC2:TGID_Z_EN: 0
; COMPUTE_PGM_RSRC2:TIDIG_COMP_CNT: 0
	.section	.text._ZN2at6native12_GLOBAL__N_125multi_tensor_apply_kernelINS1_28TensorListScalarListMetadataIfLi3EEENS1_28PointwiseOpScalarListFunctorIN3c104HalfELi3ELi3ELi0EEEJSt10multipliesIfEEEEvT_T0_DpT1_,"axG",@progbits,_ZN2at6native12_GLOBAL__N_125multi_tensor_apply_kernelINS1_28TensorListScalarListMetadataIfLi3EEENS1_28PointwiseOpScalarListFunctorIN3c104HalfELi3ELi3ELi0EEEJSt10multipliesIfEEEEvT_T0_DpT1_,comdat
	.globl	_ZN2at6native12_GLOBAL__N_125multi_tensor_apply_kernelINS1_28TensorListScalarListMetadataIfLi3EEENS1_28PointwiseOpScalarListFunctorIN3c104HalfELi3ELi3ELi0EEEJSt10multipliesIfEEEEvT_T0_DpT1_ ; -- Begin function _ZN2at6native12_GLOBAL__N_125multi_tensor_apply_kernelINS1_28TensorListScalarListMetadataIfLi3EEENS1_28PointwiseOpScalarListFunctorIN3c104HalfELi3ELi3ELi0EEEJSt10multipliesIfEEEEvT_T0_DpT1_
	.p2align	8
	.type	_ZN2at6native12_GLOBAL__N_125multi_tensor_apply_kernelINS1_28TensorListScalarListMetadataIfLi3EEENS1_28PointwiseOpScalarListFunctorIN3c104HalfELi3ELi3ELi0EEEJSt10multipliesIfEEEEvT_T0_DpT1_,@function
_ZN2at6native12_GLOBAL__N_125multi_tensor_apply_kernelINS1_28TensorListScalarListMetadataIfLi3EEENS1_28PointwiseOpScalarListFunctorIN3c104HalfELi3ELi3ELi0EEEJSt10multipliesIfEEEEvT_T0_DpT1_: ; @_ZN2at6native12_GLOBAL__N_125multi_tensor_apply_kernelINS1_28TensorListScalarListMetadataIfLi3EEENS1_28PointwiseOpScalarListFunctorIN3c104HalfELi3ELi3ELi0EEEJSt10multipliesIfEEEEvT_T0_DpT1_
; %bb.0:
	v_mov_b32_e32 v1, s6
	global_load_ubyte v1, v1, s[4:5] offset:1728
	s_add_u32 s0, s4, s6
	s_mul_i32 s1, s6, 3
	s_addc_u32 s2, s5, 0
	s_mul_hi_u32 s3, s6, 3
	s_add_u32 s0, s0, s1
	s_addc_u32 s1, s2, s3
	s_load_dword s0, s[0:1], 0x800
	s_mov_b32 s3, 0
	s_mov_b32 s7, s3
	s_waitcnt lgkmcnt(0)
	s_ashr_i32 s1, s0, 31
	s_waitcnt vmcnt(0)
	v_readfirstlane_b32 s2, v1
	v_lshlrev_b32_e32 v1, 2, v1
	v_sub_co_u32_e32 v1, vcc, 0, v1
	s_lshl_b32 s2, s2, 3
	v_subb_co_u32_e64 v2, s[8:9], 0, 0, vcc
	s_load_dwordx2 s[8:9], s[4:5], s2 offset:0x480
	s_load_dwordx2 s[12:13], s[4:5], s2 offset:0x0
	;; [unrolled: 1-line block ×4, first 2 shown]
	s_add_u32 s6, s4, s2
	s_addc_u32 s2, s5, 0
	s_lshl_b64 s[18:19], s[0:1], 17
	v_add_co_u32_e32 v1, vcc, s6, v1
	s_waitcnt lgkmcnt(0)
	s_add_u32 s6, s14, s18
	v_mov_b32_e32 v3, s2
	s_or_b32 s6, s16, s6
	v_addc_co_u32_e32 v2, vcc, v3, v2, vcc
	s_and_b32 s2, s12, 7
	s_and_b32 s6, s6, 7
	v_readfirstlane_b32 s10, v1
	v_readfirstlane_b32 s11, v2
	s_cmp_eq_u32 s6, 0
	s_load_dword s30, s[10:11], 0x600
	s_cselect_b64 s[10:11], -1, 0
	s_lshl_b64 s[0:1], s[0:1], 16
	s_sub_u32 s20, s8, s0
	s_subb_u32 s21, s9, s1
	s_and_b32 s6, s8, 3
	s_or_b64 s[0:1], s[2:3], s[6:7]
	s_cmp_eq_u64 s[0:1], 0
	s_cselect_b64 s[0:1], -1, 0
	s_and_b64 s[2:3], s[10:11], s[0:1]
	s_mov_b64 s[0:1], -1
	s_and_b64 vcc, exec, s[2:3]
	s_cbranch_vccnz .LBB108_29
; %bb.1:
	v_cmp_lt_i64_e64 s[0:1], s[20:21], 1
	s_and_b64 vcc, exec, s[0:1]
	s_cbranch_vccnz .LBB108_28
; %bb.2:
	v_mov_b32_e32 v1, 0x10000
	s_load_dword s2, s[4:5], 0xd14
	v_mov_b32_e32 v2, 0
	v_cmp_lt_i64_e32 vcc, s[20:21], v[1:2]
	v_mov_b32_e32 v18, 0
	s_and_b64 s[0:1], vcc, exec
	s_cselect_b32 s23, s21, 0
	s_cselect_b32 s22, s20, 0x10000
	s_waitcnt lgkmcnt(0)
	s_and_b32 s2, s2, 0xffff
	v_lshlrev_b32_e32 v17, 1, v0
	v_mad_u64_u32 v[5:6], s[0:1], s2, 6, v[17:18]
	v_cmp_lt_u64_e32 vcc, s[20:21], v[1:2]
	v_mov_b32_e32 v2, s13
	s_and_b64 s[0:1], vcc, exec
	v_add_co_u32_e32 v1, vcc, s12, v5
	v_addc_co_u32_e32 v2, vcc, v2, v6, vcc
	v_mov_b32_e32 v4, s15
	v_add_co_u32_e32 v3, vcc, s14, v5
	v_addc_co_u32_e32 v4, vcc, v4, v6, vcc
	v_mov_b32_e32 v7, s17
	v_add_co_u32_e32 v5, vcc, s16, v5
	s_cselect_b32 s25, s21, 0
	s_cselect_b32 s24, s20, 0x10000
	s_lshl_b32 s31, s2, 2
	v_addc_co_u32_e32 v6, vcc, v7, v6, vcc
	v_add_co_u32_e32 v11, vcc, s31, v17
	v_addc_co_u32_e64 v12, s[0:1], 0, 0, vcc
	v_mov_b32_e32 v8, s13
	v_add_co_u32_e32 v7, vcc, s12, v11
	v_addc_co_u32_e32 v8, vcc, v8, v12, vcc
	v_mov_b32_e32 v10, s15
	v_add_co_u32_e32 v9, vcc, s14, v11
	v_addc_co_u32_e32 v10, vcc, v10, v12, vcc
	v_mov_b32_e32 v13, s17
	v_add_co_u32_e32 v11, vcc, s16, v11
	v_addc_co_u32_e32 v12, vcc, v13, v12, vcc
	v_mov_b32_e32 v14, s13
	v_add_co_u32_e32 v13, vcc, s12, v17
	v_addc_co_u32_e32 v14, vcc, 0, v14, vcc
	v_mov_b32_e32 v16, s15
	v_add_co_u32_e32 v15, vcc, s14, v17
	v_addc_co_u32_e32 v16, vcc, 0, v16, vcc
	v_mov_b32_e32 v18, s17
	v_add_co_u32_e32 v17, vcc, s16, v17
	v_addc_co_u32_e32 v18, vcc, 0, v18, vcc
	v_add_co_u32_e32 v19, vcc, s2, v0
	v_lshlrev_b32_e32 v25, 1, v19
	s_lshl_b32 s6, s2, 1
	s_mul_i32 s7, s2, 3
	s_lshl_b32 s33, s2, 3
	v_addc_co_u32_e64 v20, s[2:3], 0, 0, vcc
	v_mov_b32_e32 v22, s13
	v_add_co_u32_e32 v21, vcc, s12, v25
	v_addc_co_u32_e32 v22, vcc, 0, v22, vcc
	v_mov_b32_e32 v24, s15
	v_add_co_u32_e32 v23, vcc, s14, v25
	v_addc_co_u32_e32 v24, vcc, 0, v24, vcc
	;; [unrolled: 3-line block ×3, first 2 shown]
	v_add_co_u32_e32 v27, vcc, s7, v0
	v_addc_co_u32_e64 v28, s[2:3], 0, 0, vcc
	v_add_co_u32_e32 v29, vcc, s6, v0
	v_cmp_eq_f32_e64 s[0:1], s30, 1.0
	s_mov_b64 s[26:27], 0
	v_addc_co_u32_e64 v30, s[2:3], 0, 0, vcc
	s_branch .LBB108_4
.LBB108_3:                              ;   in Loop: Header=BB108_4 Depth=1
	s_or_b64 exec, exec, s[2:3]
	v_add_co_u32_e32 v13, vcc, s33, v13
	v_addc_co_u32_e32 v14, vcc, 0, v14, vcc
	v_add_co_u32_e32 v15, vcc, s33, v15
	v_addc_co_u32_e32 v16, vcc, 0, v16, vcc
	;; [unrolled: 2-line block ×10, first 2 shown]
	s_add_u32 s26, s26, s31
	v_add_co_u32_e32 v23, vcc, s33, v23
	v_mov_b32_e32 v32, s23
	s_addc_u32 s27, s27, 0
	v_addc_co_u32_e32 v24, vcc, 0, v24, vcc
	v_mov_b32_e32 v31, s22
	v_cmp_lt_i64_e32 vcc, s[26:27], v[31:32]
	v_add_co_u32_e64 v25, s[2:3], s33, v25
	v_addc_co_u32_e64 v26, s[2:3], 0, v26, s[2:3]
	s_cbranch_vccz .LBB108_28
.LBB108_4:                              ; =>This Inner Loop Header: Depth=1
	v_mov_b32_e32 v32, s27
	v_add_co_u32_e32 v31, vcc, s26, v0
	v_addc_co_u32_e32 v32, vcc, 0, v32, vcc
	v_cmp_gt_u64_e32 vcc, s[24:25], v[31:32]
	v_mov_b32_e32 v32, 0
	v_mov_b32_e32 v31, 0
	s_and_saveexec_b64 s[6:7], vcc
	s_cbranch_execz .LBB108_6
; %bb.5:                                ;   in Loop: Header=BB108_4 Depth=1
	v_mov_b32_e32 v34, s19
	v_add_co_u32_e64 v31, s[2:3], s18, v15
	v_addc_co_u32_e64 v32, s[2:3], v16, v34, s[2:3]
	v_add_co_u32_e64 v33, s[2:3], s18, v13
	v_addc_co_u32_e64 v34, s[2:3], v14, v34, s[2:3]
	global_load_ushort v35, v[33:34], off
	global_load_ushort v36, v[31:32], off
	s_waitcnt vmcnt(1)
	v_cvt_f32_f16_e32 v31, v35
	s_waitcnt vmcnt(0)
	v_cvt_f32_f16_e32 v32, v36
.LBB108_6:                              ;   in Loop: Header=BB108_4 Depth=1
	s_or_b64 exec, exec, s[6:7]
	v_mov_b32_e32 v33, 0
	v_mov_b32_e32 v34, 0
	s_and_saveexec_b64 s[6:7], vcc
	s_cbranch_execz .LBB108_8
; %bb.7:                                ;   in Loop: Header=BB108_4 Depth=1
	v_mov_b32_e32 v35, s19
	v_add_co_u32_e64 v34, s[2:3], s18, v17
	v_addc_co_u32_e64 v35, s[2:3], v18, v35, s[2:3]
	global_load_ushort v34, v[34:35], off
	s_waitcnt vmcnt(0)
	v_cvt_f32_f16_e32 v34, v34
.LBB108_8:                              ;   in Loop: Header=BB108_4 Depth=1
	s_or_b64 exec, exec, s[6:7]
	v_mov_b32_e32 v36, s27
	v_add_co_u32_e64 v35, s[2:3], s26, v19
	v_addc_co_u32_e64 v36, s[2:3], v20, v36, s[2:3]
	v_cmp_gt_u64_e64 s[2:3], s[24:25], v[35:36]
	v_mov_b32_e32 v35, 0
	s_and_saveexec_b64 s[8:9], s[2:3]
	s_cbranch_execz .LBB108_10
; %bb.9:                                ;   in Loop: Header=BB108_4 Depth=1
	v_mov_b32_e32 v33, s19
	v_add_co_u32_e64 v35, s[6:7], s18, v23
	v_addc_co_u32_e64 v36, s[6:7], v24, v33, s[6:7]
	v_add_co_u32_e64 v37, s[6:7], s18, v21
	v_addc_co_u32_e64 v38, s[6:7], v22, v33, s[6:7]
	global_load_ushort v33, v[37:38], off
	global_load_ushort v39, v[35:36], off
	s_waitcnt vmcnt(1)
	v_cvt_f32_f16_e32 v35, v33
	s_waitcnt vmcnt(0)
	v_cvt_f32_f16_e32 v33, v39
.LBB108_10:                             ;   in Loop: Header=BB108_4 Depth=1
	s_or_b64 exec, exec, s[8:9]
	v_mov_b32_e32 v36, 0
	v_mov_b32_e32 v37, 0
	s_and_saveexec_b64 s[8:9], s[2:3]
	s_cbranch_execz .LBB108_12
; %bb.11:                               ;   in Loop: Header=BB108_4 Depth=1
	v_mov_b32_e32 v38, s19
	v_add_co_u32_e64 v37, s[6:7], s18, v25
	v_addc_co_u32_e64 v38, s[6:7], v26, v38, s[6:7]
	global_load_ushort v37, v[37:38], off
	s_waitcnt vmcnt(0)
	v_cvt_f32_f16_e32 v37, v37
.LBB108_12:                             ;   in Loop: Header=BB108_4 Depth=1
	s_or_b64 exec, exec, s[8:9]
	v_mov_b32_e32 v39, s27
	v_add_co_u32_e64 v38, s[6:7], s26, v29
	v_addc_co_u32_e64 v39, s[6:7], v30, v39, s[6:7]
	v_cmp_gt_u64_e64 s[6:7], s[24:25], v[38:39]
	v_mov_b32_e32 v38, 0
	s_and_saveexec_b64 s[10:11], s[6:7]
	s_cbranch_execz .LBB108_14
; %bb.13:                               ;   in Loop: Header=BB108_4 Depth=1
	v_mov_b32_e32 v36, s19
	v_add_co_u32_e64 v38, s[8:9], s18, v9
	v_addc_co_u32_e64 v39, s[8:9], v10, v36, s[8:9]
	v_add_co_u32_e64 v40, s[8:9], s18, v7
	v_addc_co_u32_e64 v41, s[8:9], v8, v36, s[8:9]
	global_load_ushort v36, v[40:41], off
	global_load_ushort v42, v[38:39], off
	s_waitcnt vmcnt(1)
	v_cvt_f32_f16_e32 v38, v36
	s_waitcnt vmcnt(0)
	v_cvt_f32_f16_e32 v36, v42
.LBB108_14:                             ;   in Loop: Header=BB108_4 Depth=1
	s_or_b64 exec, exec, s[10:11]
	v_mov_b32_e32 v39, 0
	v_mov_b32_e32 v40, 0
	s_and_saveexec_b64 s[10:11], s[6:7]
	s_cbranch_execz .LBB108_16
; %bb.15:                               ;   in Loop: Header=BB108_4 Depth=1
	v_mov_b32_e32 v41, s19
	v_add_co_u32_e64 v40, s[8:9], s18, v11
	v_addc_co_u32_e64 v41, s[8:9], v12, v41, s[8:9]
	global_load_ushort v40, v[40:41], off
	s_waitcnt vmcnt(0)
	v_cvt_f32_f16_e32 v40, v40
.LBB108_16:                             ;   in Loop: Header=BB108_4 Depth=1
	s_or_b64 exec, exec, s[10:11]
	v_mov_b32_e32 v42, s27
	v_add_co_u32_e64 v41, s[8:9], s26, v27
	v_addc_co_u32_e64 v42, s[8:9], v28, v42, s[8:9]
	v_cmp_gt_u64_e64 s[8:9], s[24:25], v[41:42]
	v_mov_b32_e32 v41, 0
	s_and_saveexec_b64 s[28:29], s[8:9]
	s_cbranch_execnz .LBB108_22
; %bb.17:                               ;   in Loop: Header=BB108_4 Depth=1
	s_or_b64 exec, exec, s[28:29]
	v_mov_b32_e32 v42, 0
	s_and_saveexec_b64 s[28:29], s[8:9]
	s_cbranch_execnz .LBB108_23
.LBB108_18:                             ;   in Loop: Header=BB108_4 Depth=1
	s_or_b64 exec, exec, s[28:29]
	s_and_saveexec_b64 s[10:11], vcc
	s_cbranch_execnz .LBB108_24
.LBB108_19:                             ;   in Loop: Header=BB108_4 Depth=1
	s_or_b64 exec, exec, s[10:11]
	s_and_saveexec_b64 s[10:11], s[2:3]
	s_cbranch_execnz .LBB108_25
.LBB108_20:                             ;   in Loop: Header=BB108_4 Depth=1
	s_or_b64 exec, exec, s[10:11]
	s_and_saveexec_b64 s[2:3], s[6:7]
	s_cbranch_execnz .LBB108_26
.LBB108_21:                             ;   in Loop: Header=BB108_4 Depth=1
	s_or_b64 exec, exec, s[2:3]
	s_and_saveexec_b64 s[2:3], s[8:9]
	s_cbranch_execz .LBB108_3
	s_branch .LBB108_27
.LBB108_22:                             ;   in Loop: Header=BB108_4 Depth=1
	v_mov_b32_e32 v39, s19
	v_add_co_u32_e64 v41, s[10:11], s18, v3
	v_addc_co_u32_e64 v42, s[10:11], v4, v39, s[10:11]
	v_add_co_u32_e64 v43, s[10:11], s18, v1
	v_addc_co_u32_e64 v44, s[10:11], v2, v39, s[10:11]
	global_load_ushort v39, v[43:44], off
	global_load_ushort v45, v[41:42], off
	s_waitcnt vmcnt(1)
	v_cvt_f32_f16_e32 v41, v39
	s_waitcnt vmcnt(0)
	v_cvt_f32_f16_e32 v39, v45
	s_or_b64 exec, exec, s[28:29]
	v_mov_b32_e32 v42, 0
	s_and_saveexec_b64 s[28:29], s[8:9]
	s_cbranch_execz .LBB108_18
.LBB108_23:                             ;   in Loop: Header=BB108_4 Depth=1
	v_mov_b32_e32 v43, s19
	v_add_co_u32_e64 v42, s[10:11], s18, v5
	v_addc_co_u32_e64 v43, s[10:11], v6, v43, s[10:11]
	global_load_ushort v42, v[42:43], off
	s_waitcnt vmcnt(0)
	v_cvt_f32_f16_e32 v42, v42
	s_or_b64 exec, exec, s[28:29]
	s_and_saveexec_b64 s[10:11], vcc
	s_cbranch_execz .LBB108_19
.LBB108_24:                             ;   in Loop: Header=BB108_4 Depth=1
	v_fma_f32 v43, v32, v34, v31
	v_mul_f32_e32 v32, v32, v34
	v_fmac_f32_e32 v31, s30, v32
	v_cndmask_b32_e64 v31, v31, v43, s[0:1]
	v_cvt_f16_f32_e32 v34, v31
	v_mov_b32_e32 v32, s19
	v_add_co_u32_e32 v31, vcc, s18, v13
	v_addc_co_u32_e32 v32, vcc, v14, v32, vcc
	global_store_short v[31:32], v34, off
	s_or_b64 exec, exec, s[10:11]
	s_and_saveexec_b64 s[10:11], s[2:3]
	s_cbranch_execz .LBB108_20
.LBB108_25:                             ;   in Loop: Header=BB108_4 Depth=1
	v_mul_f32_e32 v32, v33, v37
	v_fma_f32 v31, v33, v37, v35
	v_fmac_f32_e32 v35, s30, v32
	v_cndmask_b32_e64 v31, v35, v31, s[0:1]
	v_cvt_f16_f32_e32 v33, v31
	v_mov_b32_e32 v32, s19
	v_add_co_u32_e32 v31, vcc, s18, v21
	v_addc_co_u32_e32 v32, vcc, v22, v32, vcc
	global_store_short v[31:32], v33, off
	s_or_b64 exec, exec, s[10:11]
	s_and_saveexec_b64 s[2:3], s[6:7]
	s_cbranch_execz .LBB108_21
.LBB108_26:                             ;   in Loop: Header=BB108_4 Depth=1
	v_mul_f32_e32 v32, v36, v40
	v_fma_f32 v31, v36, v40, v38
	v_fmac_f32_e32 v38, s30, v32
	v_cndmask_b32_e64 v31, v38, v31, s[0:1]
	v_cvt_f16_f32_e32 v33, v31
	v_mov_b32_e32 v32, s19
	v_add_co_u32_e32 v31, vcc, s18, v7
	v_addc_co_u32_e32 v32, vcc, v8, v32, vcc
	global_store_short v[31:32], v33, off
	s_or_b64 exec, exec, s[2:3]
	s_and_saveexec_b64 s[2:3], s[8:9]
	s_cbranch_execz .LBB108_3
.LBB108_27:                             ;   in Loop: Header=BB108_4 Depth=1
	v_mul_f32_e32 v32, v39, v42
	v_fma_f32 v31, v39, v42, v41
	v_fmac_f32_e32 v41, s30, v32
	v_cndmask_b32_e64 v31, v41, v31, s[0:1]
	v_cvt_f16_f32_e32 v33, v31
	v_mov_b32_e32 v32, s19
	v_add_co_u32_e32 v31, vcc, s18, v1
	v_addc_co_u32_e32 v32, vcc, v2, v32, vcc
	global_store_short v[31:32], v33, off
	s_branch .LBB108_3
.LBB108_28:
	s_mov_b64 s[0:1], 0
.LBB108_29:
	s_andn2_b64 vcc, exec, s[0:1]
	s_cbranch_vccnz .LBB108_33
; %bb.30:
	v_mov_b32_e32 v1, 0x10000
	v_mov_b32_e32 v2, 0
	v_cmp_lt_i64_e32 vcc, s[20:21], v[1:2]
	v_mov_b32_e32 v2, 0
	s_and_b64 s[0:1], vcc, exec
	s_cselect_b32 s3, s21, 0
	s_cselect_b32 s2, s20, 0x10000
	v_lshlrev_b32_e32 v1, 2, v0
	v_cmp_gt_i64_e32 vcc, s[2:3], v[1:2]
	s_and_saveexec_b64 s[0:1], vcc
	s_cbranch_execz .LBB108_33
; %bb.31:
	s_load_dword s0, s[4:5], 0xd14
	v_mov_b32_e32 v1, v2
	v_lshlrev_b32_e32 v2, 3, v0
	v_mov_b32_e32 v3, s19
	s_waitcnt lgkmcnt(0)
	v_cmp_eq_f32_e64 vcc, s30, 1.0
	s_and_b32 s7, s0, 0xffff
	v_add_co_u32_e64 v2, s[0:1], s18, v2
	s_mov_b32 s6, s30
	v_addc_co_u32_e64 v3, s[0:1], 0, v3, s[0:1]
	s_lshl_b32 s8, s7, 3
	s_mov_b64 s[4:5], 0
	v_mov_b32_e32 v4, s13
	v_mov_b32_e32 v5, s15
	;; [unrolled: 1-line block ×3, first 2 shown]
.LBB108_32:                             ; =>This Inner Loop Header: Depth=1
	v_add_co_u32_e64 v7, s[0:1], s12, v2
	v_addc_co_u32_e64 v8, s[0:1], v4, v3, s[0:1]
	v_add_co_u32_e64 v9, s[0:1], s14, v2
	v_addc_co_u32_e64 v10, s[0:1], v5, v3, s[0:1]
	;; [unrolled: 2-line block ×3, first 2 shown]
	global_load_dwordx2 v[13:14], v[9:10], off
	global_load_dwordx2 v[15:16], v[11:12], off
	;; [unrolled: 1-line block ×3, first 2 shown]
	v_add_co_u32_e64 v0, s[0:1], s7, v0
	v_addc_co_u32_e64 v1, s[0:1], 0, v1, s[0:1]
	v_add_co_u32_e64 v2, s[0:1], s8, v2
	v_lshlrev_b64 v[9:10], 2, v[0:1]
	v_addc_co_u32_e64 v3, s[0:1], 0, v3, s[0:1]
	v_cmp_le_i64_e64 s[0:1], s[2:3], v[9:10]
	s_or_b64 s[4:5], s[0:1], s[4:5]
	s_waitcnt vmcnt(2)
	v_cvt_f32_f16_e32 v11, v13
	v_cvt_f32_f16_sdwa v12, v13 dst_sel:DWORD dst_unused:UNUSED_PAD src0_sel:WORD_1
	s_waitcnt vmcnt(1)
	v_cvt_f32_f16_e32 v19, v15
	v_cvt_f32_f16_sdwa v20, v15 dst_sel:DWORD dst_unused:UNUSED_PAD src0_sel:WORD_1
	s_waitcnt vmcnt(0)
	v_fma_mix_f32 v21, v13, v15, v17 op_sel_hi:[1,1,1]
	v_fma_mix_f32 v13, v13, v15, v17 op_sel:[1,1,1] op_sel_hi:[1,1,1]
	v_cvt_f32_f16_e32 v15, v14
	v_cvt_f32_f16_sdwa v22, v14 dst_sel:DWORD dst_unused:UNUSED_PAD src0_sel:WORD_1
	v_cvt_f32_f16_e32 v23, v16
	v_cvt_f32_f16_sdwa v24, v16 dst_sel:DWORD dst_unused:UNUSED_PAD src0_sel:WORD_1
	v_fma_mix_f32 v25, v14, v16, v18 op_sel_hi:[1,1,1]
	v_fma_mix_f32 v14, v14, v16, v18 op_sel:[1,1,1] op_sel_hi:[1,1,1]
	v_mul_f32_e32 v12, v12, v20
	v_mul_f32_e32 v11, v11, v19
	;; [unrolled: 1-line block ×4, first 2 shown]
	v_fma_mix_f32 v11, s30, v11, v17 op_sel_hi:[0,0,1]
	v_fma_mix_f32 v12, s6, v12, v17 op_sel:[0,0,1] op_sel_hi:[0,0,1]
	v_fma_mix_f32 v15, s30, v15, v18 op_sel_hi:[0,0,1]
	v_fma_mix_f32 v16, s6, v16, v18 op_sel:[0,0,1] op_sel_hi:[0,0,1]
	v_cndmask_b32_e32 v12, v12, v13, vcc
	v_cndmask_b32_e32 v11, v11, v21, vcc
	;; [unrolled: 1-line block ×4, first 2 shown]
	v_cvt_f16_f32_e32 v11, v11
	v_cvt_f16_f32_e32 v12, v12
	;; [unrolled: 1-line block ×4, first 2 shown]
	v_pack_b32_f16 v9, v11, v12
	v_pack_b32_f16 v10, v14, v13
	global_store_dwordx2 v[7:8], v[9:10], off
	s_andn2_b64 exec, exec, s[4:5]
	s_cbranch_execnz .LBB108_32
.LBB108_33:
	s_endpgm
	.section	.rodata,"a",@progbits
	.p2align	6, 0x0
	.amdhsa_kernel _ZN2at6native12_GLOBAL__N_125multi_tensor_apply_kernelINS1_28TensorListScalarListMetadataIfLi3EEENS1_28PointwiseOpScalarListFunctorIN3c104HalfELi3ELi3ELi0EEEJSt10multipliesIfEEEEvT_T0_DpT1_
		.amdhsa_group_segment_fixed_size 0
		.amdhsa_private_segment_fixed_size 0
		.amdhsa_kernarg_size 3592
		.amdhsa_user_sgpr_count 6
		.amdhsa_user_sgpr_private_segment_buffer 1
		.amdhsa_user_sgpr_dispatch_ptr 0
		.amdhsa_user_sgpr_queue_ptr 0
		.amdhsa_user_sgpr_kernarg_segment_ptr 1
		.amdhsa_user_sgpr_dispatch_id 0
		.amdhsa_user_sgpr_flat_scratch_init 0
		.amdhsa_user_sgpr_private_segment_size 0
		.amdhsa_uses_dynamic_stack 0
		.amdhsa_system_sgpr_private_segment_wavefront_offset 0
		.amdhsa_system_sgpr_workgroup_id_x 1
		.amdhsa_system_sgpr_workgroup_id_y 0
		.amdhsa_system_sgpr_workgroup_id_z 0
		.amdhsa_system_sgpr_workgroup_info 0
		.amdhsa_system_vgpr_workitem_id 0
		.amdhsa_next_free_vgpr 46
		.amdhsa_next_free_sgpr 34
		.amdhsa_reserve_vcc 1
		.amdhsa_reserve_flat_scratch 0
		.amdhsa_float_round_mode_32 0
		.amdhsa_float_round_mode_16_64 0
		.amdhsa_float_denorm_mode_32 3
		.amdhsa_float_denorm_mode_16_64 3
		.amdhsa_dx10_clamp 1
		.amdhsa_ieee_mode 1
		.amdhsa_fp16_overflow 0
		.amdhsa_exception_fp_ieee_invalid_op 0
		.amdhsa_exception_fp_denorm_src 0
		.amdhsa_exception_fp_ieee_div_zero 0
		.amdhsa_exception_fp_ieee_overflow 0
		.amdhsa_exception_fp_ieee_underflow 0
		.amdhsa_exception_fp_ieee_inexact 0
		.amdhsa_exception_int_div_zero 0
	.end_amdhsa_kernel
	.section	.text._ZN2at6native12_GLOBAL__N_125multi_tensor_apply_kernelINS1_28TensorListScalarListMetadataIfLi3EEENS1_28PointwiseOpScalarListFunctorIN3c104HalfELi3ELi3ELi0EEEJSt10multipliesIfEEEEvT_T0_DpT1_,"axG",@progbits,_ZN2at6native12_GLOBAL__N_125multi_tensor_apply_kernelINS1_28TensorListScalarListMetadataIfLi3EEENS1_28PointwiseOpScalarListFunctorIN3c104HalfELi3ELi3ELi0EEEJSt10multipliesIfEEEEvT_T0_DpT1_,comdat
.Lfunc_end108:
	.size	_ZN2at6native12_GLOBAL__N_125multi_tensor_apply_kernelINS1_28TensorListScalarListMetadataIfLi3EEENS1_28PointwiseOpScalarListFunctorIN3c104HalfELi3ELi3ELi0EEEJSt10multipliesIfEEEEvT_T0_DpT1_, .Lfunc_end108-_ZN2at6native12_GLOBAL__N_125multi_tensor_apply_kernelINS1_28TensorListScalarListMetadataIfLi3EEENS1_28PointwiseOpScalarListFunctorIN3c104HalfELi3ELi3ELi0EEEJSt10multipliesIfEEEEvT_T0_DpT1_
                                        ; -- End function
	.set _ZN2at6native12_GLOBAL__N_125multi_tensor_apply_kernelINS1_28TensorListScalarListMetadataIfLi3EEENS1_28PointwiseOpScalarListFunctorIN3c104HalfELi3ELi3ELi0EEEJSt10multipliesIfEEEEvT_T0_DpT1_.num_vgpr, 46
	.set _ZN2at6native12_GLOBAL__N_125multi_tensor_apply_kernelINS1_28TensorListScalarListMetadataIfLi3EEENS1_28PointwiseOpScalarListFunctorIN3c104HalfELi3ELi3ELi0EEEJSt10multipliesIfEEEEvT_T0_DpT1_.num_agpr, 0
	.set _ZN2at6native12_GLOBAL__N_125multi_tensor_apply_kernelINS1_28TensorListScalarListMetadataIfLi3EEENS1_28PointwiseOpScalarListFunctorIN3c104HalfELi3ELi3ELi0EEEJSt10multipliesIfEEEEvT_T0_DpT1_.numbered_sgpr, 34
	.set _ZN2at6native12_GLOBAL__N_125multi_tensor_apply_kernelINS1_28TensorListScalarListMetadataIfLi3EEENS1_28PointwiseOpScalarListFunctorIN3c104HalfELi3ELi3ELi0EEEJSt10multipliesIfEEEEvT_T0_DpT1_.num_named_barrier, 0
	.set _ZN2at6native12_GLOBAL__N_125multi_tensor_apply_kernelINS1_28TensorListScalarListMetadataIfLi3EEENS1_28PointwiseOpScalarListFunctorIN3c104HalfELi3ELi3ELi0EEEJSt10multipliesIfEEEEvT_T0_DpT1_.private_seg_size, 0
	.set _ZN2at6native12_GLOBAL__N_125multi_tensor_apply_kernelINS1_28TensorListScalarListMetadataIfLi3EEENS1_28PointwiseOpScalarListFunctorIN3c104HalfELi3ELi3ELi0EEEJSt10multipliesIfEEEEvT_T0_DpT1_.uses_vcc, 1
	.set _ZN2at6native12_GLOBAL__N_125multi_tensor_apply_kernelINS1_28TensorListScalarListMetadataIfLi3EEENS1_28PointwiseOpScalarListFunctorIN3c104HalfELi3ELi3ELi0EEEJSt10multipliesIfEEEEvT_T0_DpT1_.uses_flat_scratch, 0
	.set _ZN2at6native12_GLOBAL__N_125multi_tensor_apply_kernelINS1_28TensorListScalarListMetadataIfLi3EEENS1_28PointwiseOpScalarListFunctorIN3c104HalfELi3ELi3ELi0EEEJSt10multipliesIfEEEEvT_T0_DpT1_.has_dyn_sized_stack, 0
	.set _ZN2at6native12_GLOBAL__N_125multi_tensor_apply_kernelINS1_28TensorListScalarListMetadataIfLi3EEENS1_28PointwiseOpScalarListFunctorIN3c104HalfELi3ELi3ELi0EEEJSt10multipliesIfEEEEvT_T0_DpT1_.has_recursion, 0
	.set _ZN2at6native12_GLOBAL__N_125multi_tensor_apply_kernelINS1_28TensorListScalarListMetadataIfLi3EEENS1_28PointwiseOpScalarListFunctorIN3c104HalfELi3ELi3ELi0EEEJSt10multipliesIfEEEEvT_T0_DpT1_.has_indirect_call, 0
	.section	.AMDGPU.csdata,"",@progbits
; Kernel info:
; codeLenInByte = 2140
; TotalNumSgprs: 38
; NumVgprs: 46
; ScratchSize: 0
; MemoryBound: 0
; FloatMode: 240
; IeeeMode: 1
; LDSByteSize: 0 bytes/workgroup (compile time only)
; SGPRBlocks: 4
; VGPRBlocks: 11
; NumSGPRsForWavesPerEU: 38
; NumVGPRsForWavesPerEU: 46
; Occupancy: 5
; WaveLimiterHint : 0
; COMPUTE_PGM_RSRC2:SCRATCH_EN: 0
; COMPUTE_PGM_RSRC2:USER_SGPR: 6
; COMPUTE_PGM_RSRC2:TRAP_HANDLER: 0
; COMPUTE_PGM_RSRC2:TGID_X_EN: 1
; COMPUTE_PGM_RSRC2:TGID_Y_EN: 0
; COMPUTE_PGM_RSRC2:TGID_Z_EN: 0
; COMPUTE_PGM_RSRC2:TIDIG_COMP_CNT: 0
	.section	.text._ZN2at6native12_GLOBAL__N_125multi_tensor_apply_kernelINS1_28TensorListScalarListMetadataIfLi3EEENS1_28PointwiseOpScalarListFunctorIN3c108BFloat16ELi3ELi3ELi0EEEJSt10multipliesIfEEEEvT_T0_DpT1_,"axG",@progbits,_ZN2at6native12_GLOBAL__N_125multi_tensor_apply_kernelINS1_28TensorListScalarListMetadataIfLi3EEENS1_28PointwiseOpScalarListFunctorIN3c108BFloat16ELi3ELi3ELi0EEEJSt10multipliesIfEEEEvT_T0_DpT1_,comdat
	.globl	_ZN2at6native12_GLOBAL__N_125multi_tensor_apply_kernelINS1_28TensorListScalarListMetadataIfLi3EEENS1_28PointwiseOpScalarListFunctorIN3c108BFloat16ELi3ELi3ELi0EEEJSt10multipliesIfEEEEvT_T0_DpT1_ ; -- Begin function _ZN2at6native12_GLOBAL__N_125multi_tensor_apply_kernelINS1_28TensorListScalarListMetadataIfLi3EEENS1_28PointwiseOpScalarListFunctorIN3c108BFloat16ELi3ELi3ELi0EEEJSt10multipliesIfEEEEvT_T0_DpT1_
	.p2align	8
	.type	_ZN2at6native12_GLOBAL__N_125multi_tensor_apply_kernelINS1_28TensorListScalarListMetadataIfLi3EEENS1_28PointwiseOpScalarListFunctorIN3c108BFloat16ELi3ELi3ELi0EEEJSt10multipliesIfEEEEvT_T0_DpT1_,@function
_ZN2at6native12_GLOBAL__N_125multi_tensor_apply_kernelINS1_28TensorListScalarListMetadataIfLi3EEENS1_28PointwiseOpScalarListFunctorIN3c108BFloat16ELi3ELi3ELi0EEEJSt10multipliesIfEEEEvT_T0_DpT1_: ; @_ZN2at6native12_GLOBAL__N_125multi_tensor_apply_kernelINS1_28TensorListScalarListMetadataIfLi3EEENS1_28PointwiseOpScalarListFunctorIN3c108BFloat16ELi3ELi3ELi0EEEJSt10multipliesIfEEEEvT_T0_DpT1_
; %bb.0:
	v_mov_b32_e32 v1, s6
	global_load_ubyte v1, v1, s[4:5] offset:1728
	s_add_u32 s0, s4, s6
	s_mul_i32 s1, s6, 3
	s_addc_u32 s2, s5, 0
	s_mul_hi_u32 s3, s6, 3
	s_add_u32 s0, s0, s1
	s_addc_u32 s1, s2, s3
	s_load_dword s0, s[0:1], 0x800
	s_mov_b32 s3, 0
	s_mov_b32 s7, s3
	s_waitcnt lgkmcnt(0)
	s_ashr_i32 s1, s0, 31
	s_waitcnt vmcnt(0)
	v_readfirstlane_b32 s2, v1
	v_lshlrev_b32_e32 v1, 2, v1
	v_sub_co_u32_e32 v1, vcc, 0, v1
	s_lshl_b32 s2, s2, 3
	v_subb_co_u32_e64 v2, s[8:9], 0, 0, vcc
	s_load_dwordx2 s[8:9], s[4:5], s2 offset:0x480
	s_load_dwordx2 s[12:13], s[4:5], s2 offset:0x0
	;; [unrolled: 1-line block ×4, first 2 shown]
	s_add_u32 s6, s4, s2
	s_addc_u32 s2, s5, 0
	s_lshl_b64 s[18:19], s[0:1], 17
	v_add_co_u32_e32 v1, vcc, s6, v1
	s_waitcnt lgkmcnt(0)
	s_add_u32 s6, s14, s18
	v_mov_b32_e32 v3, s2
	s_or_b32 s6, s16, s6
	v_addc_co_u32_e32 v2, vcc, v3, v2, vcc
	s_and_b32 s2, s12, 7
	s_and_b32 s6, s6, 7
	v_readfirstlane_b32 s10, v1
	v_readfirstlane_b32 s11, v2
	s_cmp_eq_u32 s6, 0
	s_load_dword s30, s[10:11], 0x600
	s_cselect_b64 s[10:11], -1, 0
	s_lshl_b64 s[0:1], s[0:1], 16
	s_sub_u32 s20, s8, s0
	s_subb_u32 s21, s9, s1
	s_and_b32 s6, s8, 3
	s_or_b64 s[0:1], s[2:3], s[6:7]
	s_cmp_eq_u64 s[0:1], 0
	s_cselect_b64 s[0:1], -1, 0
	s_and_b64 s[2:3], s[10:11], s[0:1]
	s_mov_b64 s[0:1], -1
	s_and_b64 vcc, exec, s[2:3]
	s_cbranch_vccnz .LBB109_29
; %bb.1:
	v_cmp_lt_i64_e64 s[0:1], s[20:21], 1
	s_and_b64 vcc, exec, s[0:1]
	s_cbranch_vccnz .LBB109_28
; %bb.2:
	v_mov_b32_e32 v1, 0x10000
	s_load_dword s2, s[4:5], 0xd14
	v_mov_b32_e32 v2, 0
	v_cmp_lt_i64_e32 vcc, s[20:21], v[1:2]
	v_mov_b32_e32 v18, 0
	s_and_b64 s[0:1], vcc, exec
	s_cselect_b32 s23, s21, 0
	s_cselect_b32 s22, s20, 0x10000
	s_waitcnt lgkmcnt(0)
	s_and_b32 s2, s2, 0xffff
	v_lshlrev_b32_e32 v17, 1, v0
	v_mad_u64_u32 v[5:6], s[0:1], s2, 6, v[17:18]
	v_cmp_lt_u64_e32 vcc, s[20:21], v[1:2]
	v_mov_b32_e32 v2, s13
	s_and_b64 s[0:1], vcc, exec
	v_add_co_u32_e32 v1, vcc, s12, v5
	v_addc_co_u32_e32 v2, vcc, v2, v6, vcc
	v_mov_b32_e32 v4, s15
	v_add_co_u32_e32 v3, vcc, s14, v5
	v_addc_co_u32_e32 v4, vcc, v4, v6, vcc
	v_mov_b32_e32 v7, s17
	v_add_co_u32_e32 v5, vcc, s16, v5
	s_cselect_b32 s25, s21, 0
	s_cselect_b32 s24, s20, 0x10000
	s_lshl_b32 s31, s2, 2
	v_addc_co_u32_e32 v6, vcc, v7, v6, vcc
	v_add_co_u32_e32 v11, vcc, s31, v17
	v_addc_co_u32_e64 v12, s[0:1], 0, 0, vcc
	v_mov_b32_e32 v8, s13
	v_add_co_u32_e32 v7, vcc, s12, v11
	v_addc_co_u32_e32 v8, vcc, v8, v12, vcc
	v_mov_b32_e32 v10, s15
	v_add_co_u32_e32 v9, vcc, s14, v11
	v_addc_co_u32_e32 v10, vcc, v10, v12, vcc
	;; [unrolled: 3-line block ×6, first 2 shown]
	v_add_co_u32_e32 v19, vcc, s2, v0
	v_lshlrev_b32_e32 v25, 1, v19
	s_lshl_b32 s6, s2, 1
	s_mul_i32 s7, s2, 3
	s_lshl_b32 s33, s2, 3
	v_addc_co_u32_e64 v20, s[2:3], 0, 0, vcc
	v_mov_b32_e32 v22, s13
	v_add_co_u32_e32 v21, vcc, s12, v25
	v_addc_co_u32_e32 v22, vcc, 0, v22, vcc
	v_mov_b32_e32 v24, s15
	v_add_co_u32_e32 v23, vcc, s14, v25
	v_addc_co_u32_e32 v24, vcc, 0, v24, vcc
	;; [unrolled: 3-line block ×3, first 2 shown]
	v_add_co_u32_e32 v27, vcc, s7, v0
	v_addc_co_u32_e64 v28, s[2:3], 0, 0, vcc
	v_add_co_u32_e32 v29, vcc, s6, v0
	v_cmp_eq_f32_e64 s[0:1], s30, 1.0
	s_mov_b64 s[26:27], 0
	s_movk_i32 s34, 0x7fff
	v_addc_co_u32_e64 v30, s[2:3], 0, 0, vcc
	v_mov_b32_e32 v31, 0x7fc0
	s_branch .LBB109_4
.LBB109_3:                              ;   in Loop: Header=BB109_4 Depth=1
	s_or_b64 exec, exec, s[2:3]
	v_add_co_u32_e32 v13, vcc, s33, v13
	v_addc_co_u32_e32 v14, vcc, 0, v14, vcc
	v_add_co_u32_e32 v15, vcc, s33, v15
	v_addc_co_u32_e32 v16, vcc, 0, v16, vcc
	;; [unrolled: 2-line block ×10, first 2 shown]
	s_add_u32 s26, s26, s31
	v_add_co_u32_e32 v23, vcc, s33, v23
	v_mov_b32_e32 v33, s23
	s_addc_u32 s27, s27, 0
	v_addc_co_u32_e32 v24, vcc, 0, v24, vcc
	v_mov_b32_e32 v32, s22
	v_cmp_lt_i64_e32 vcc, s[26:27], v[32:33]
	v_add_co_u32_e64 v25, s[2:3], s33, v25
	v_addc_co_u32_e64 v26, s[2:3], 0, v26, s[2:3]
	s_cbranch_vccz .LBB109_28
.LBB109_4:                              ; =>This Inner Loop Header: Depth=1
	v_mov_b32_e32 v33, s27
	v_add_co_u32_e32 v32, vcc, s26, v0
	v_addc_co_u32_e32 v33, vcc, 0, v33, vcc
	v_cmp_gt_u64_e32 vcc, s[24:25], v[32:33]
	v_mov_b32_e32 v33, 0
	v_mov_b32_e32 v32, 0
	s_and_saveexec_b64 s[6:7], vcc
	s_cbranch_execz .LBB109_6
; %bb.5:                                ;   in Loop: Header=BB109_4 Depth=1
	v_mov_b32_e32 v35, s19
	v_add_co_u32_e64 v32, s[2:3], s18, v13
	v_addc_co_u32_e64 v33, s[2:3], v14, v35, s[2:3]
	v_add_co_u32_e64 v34, s[2:3], s18, v15
	v_addc_co_u32_e64 v35, s[2:3], v16, v35, s[2:3]
	global_load_ushort v36, v[34:35], off
	global_load_ushort v37, v[32:33], off
	s_waitcnt vmcnt(1)
	v_lshlrev_b32_e32 v33, 16, v36
	s_waitcnt vmcnt(0)
	v_lshlrev_b32_e32 v32, 16, v37
.LBB109_6:                              ;   in Loop: Header=BB109_4 Depth=1
	s_or_b64 exec, exec, s[6:7]
	v_mov_b32_e32 v34, 0
	v_mov_b32_e32 v35, 0
	s_and_saveexec_b64 s[6:7], vcc
	s_cbranch_execz .LBB109_8
; %bb.7:                                ;   in Loop: Header=BB109_4 Depth=1
	v_mov_b32_e32 v36, s19
	v_add_co_u32_e64 v35, s[2:3], s18, v17
	v_addc_co_u32_e64 v36, s[2:3], v18, v36, s[2:3]
	global_load_ushort v35, v[35:36], off
	s_waitcnt vmcnt(0)
	v_lshlrev_b32_e32 v35, 16, v35
.LBB109_8:                              ;   in Loop: Header=BB109_4 Depth=1
	s_or_b64 exec, exec, s[6:7]
	v_mov_b32_e32 v37, s27
	v_add_co_u32_e64 v36, s[2:3], s26, v19
	v_addc_co_u32_e64 v37, s[2:3], v20, v37, s[2:3]
	v_cmp_gt_u64_e64 s[2:3], s[24:25], v[36:37]
	v_mov_b32_e32 v36, 0
	s_and_saveexec_b64 s[8:9], s[2:3]
	s_cbranch_execz .LBB109_10
; %bb.9:                                ;   in Loop: Header=BB109_4 Depth=1
	v_mov_b32_e32 v34, s19
	v_add_co_u32_e64 v36, s[6:7], s18, v21
	v_addc_co_u32_e64 v37, s[6:7], v22, v34, s[6:7]
	v_add_co_u32_e64 v38, s[6:7], s18, v23
	v_addc_co_u32_e64 v39, s[6:7], v24, v34, s[6:7]
	global_load_ushort v34, v[38:39], off
	global_load_ushort v40, v[36:37], off
	s_waitcnt vmcnt(1)
	v_lshlrev_b32_e32 v34, 16, v34
	s_waitcnt vmcnt(0)
	v_lshlrev_b32_e32 v36, 16, v40
.LBB109_10:                             ;   in Loop: Header=BB109_4 Depth=1
	s_or_b64 exec, exec, s[8:9]
	v_mov_b32_e32 v37, 0
	v_mov_b32_e32 v38, 0
	s_and_saveexec_b64 s[8:9], s[2:3]
	s_cbranch_execz .LBB109_12
; %bb.11:                               ;   in Loop: Header=BB109_4 Depth=1
	v_mov_b32_e32 v39, s19
	v_add_co_u32_e64 v38, s[6:7], s18, v25
	v_addc_co_u32_e64 v39, s[6:7], v26, v39, s[6:7]
	global_load_ushort v38, v[38:39], off
	s_waitcnt vmcnt(0)
	v_lshlrev_b32_e32 v38, 16, v38
.LBB109_12:                             ;   in Loop: Header=BB109_4 Depth=1
	s_or_b64 exec, exec, s[8:9]
	v_mov_b32_e32 v40, s27
	v_add_co_u32_e64 v39, s[6:7], s26, v29
	v_addc_co_u32_e64 v40, s[6:7], v30, v40, s[6:7]
	v_cmp_gt_u64_e64 s[6:7], s[24:25], v[39:40]
	v_mov_b32_e32 v39, 0
	s_and_saveexec_b64 s[10:11], s[6:7]
	s_cbranch_execz .LBB109_14
; %bb.13:                               ;   in Loop: Header=BB109_4 Depth=1
	v_mov_b32_e32 v37, s19
	v_add_co_u32_e64 v39, s[8:9], s18, v7
	v_addc_co_u32_e64 v40, s[8:9], v8, v37, s[8:9]
	v_add_co_u32_e64 v41, s[8:9], s18, v9
	v_addc_co_u32_e64 v42, s[8:9], v10, v37, s[8:9]
	global_load_ushort v37, v[41:42], off
	global_load_ushort v43, v[39:40], off
	s_waitcnt vmcnt(1)
	v_lshlrev_b32_e32 v37, 16, v37
	s_waitcnt vmcnt(0)
	v_lshlrev_b32_e32 v39, 16, v43
.LBB109_14:                             ;   in Loop: Header=BB109_4 Depth=1
	s_or_b64 exec, exec, s[10:11]
	v_mov_b32_e32 v40, 0
	v_mov_b32_e32 v41, 0
	s_and_saveexec_b64 s[10:11], s[6:7]
	s_cbranch_execz .LBB109_16
; %bb.15:                               ;   in Loop: Header=BB109_4 Depth=1
	v_mov_b32_e32 v42, s19
	v_add_co_u32_e64 v41, s[8:9], s18, v11
	v_addc_co_u32_e64 v42, s[8:9], v12, v42, s[8:9]
	global_load_ushort v41, v[41:42], off
	s_waitcnt vmcnt(0)
	v_lshlrev_b32_e32 v41, 16, v41
.LBB109_16:                             ;   in Loop: Header=BB109_4 Depth=1
	s_or_b64 exec, exec, s[10:11]
	v_mov_b32_e32 v43, s27
	v_add_co_u32_e64 v42, s[8:9], s26, v27
	v_addc_co_u32_e64 v43, s[8:9], v28, v43, s[8:9]
	v_cmp_gt_u64_e64 s[8:9], s[24:25], v[42:43]
	v_mov_b32_e32 v42, 0
	s_and_saveexec_b64 s[28:29], s[8:9]
	s_cbranch_execnz .LBB109_22
; %bb.17:                               ;   in Loop: Header=BB109_4 Depth=1
	s_or_b64 exec, exec, s[28:29]
	v_mov_b32_e32 v43, 0
	s_and_saveexec_b64 s[28:29], s[8:9]
	s_cbranch_execnz .LBB109_23
.LBB109_18:                             ;   in Loop: Header=BB109_4 Depth=1
	s_or_b64 exec, exec, s[28:29]
	s_and_saveexec_b64 s[10:11], vcc
	s_cbranch_execnz .LBB109_24
.LBB109_19:                             ;   in Loop: Header=BB109_4 Depth=1
	s_or_b64 exec, exec, s[10:11]
	s_and_saveexec_b64 s[10:11], s[2:3]
	s_cbranch_execnz .LBB109_25
.LBB109_20:                             ;   in Loop: Header=BB109_4 Depth=1
	s_or_b64 exec, exec, s[10:11]
	s_and_saveexec_b64 s[2:3], s[6:7]
	s_cbranch_execnz .LBB109_26
.LBB109_21:                             ;   in Loop: Header=BB109_4 Depth=1
	s_or_b64 exec, exec, s[2:3]
	s_and_saveexec_b64 s[2:3], s[8:9]
	s_cbranch_execz .LBB109_3
	s_branch .LBB109_27
.LBB109_22:                             ;   in Loop: Header=BB109_4 Depth=1
	v_mov_b32_e32 v40, s19
	v_add_co_u32_e64 v42, s[10:11], s18, v1
	v_addc_co_u32_e64 v43, s[10:11], v2, v40, s[10:11]
	v_add_co_u32_e64 v44, s[10:11], s18, v3
	v_addc_co_u32_e64 v45, s[10:11], v4, v40, s[10:11]
	global_load_ushort v40, v[44:45], off
	global_load_ushort v46, v[42:43], off
	s_waitcnt vmcnt(1)
	v_lshlrev_b32_e32 v40, 16, v40
	s_waitcnt vmcnt(0)
	v_lshlrev_b32_e32 v42, 16, v46
	s_or_b64 exec, exec, s[28:29]
	v_mov_b32_e32 v43, 0
	s_and_saveexec_b64 s[28:29], s[8:9]
	s_cbranch_execz .LBB109_18
.LBB109_23:                             ;   in Loop: Header=BB109_4 Depth=1
	v_mov_b32_e32 v44, s19
	v_add_co_u32_e64 v43, s[10:11], s18, v5
	v_addc_co_u32_e64 v44, s[10:11], v6, v44, s[10:11]
	global_load_ushort v43, v[43:44], off
	s_waitcnt vmcnt(0)
	v_lshlrev_b32_e32 v43, 16, v43
	s_or_b64 exec, exec, s[28:29]
	s_and_saveexec_b64 s[10:11], vcc
	s_cbranch_execz .LBB109_19
.LBB109_24:                             ;   in Loop: Header=BB109_4 Depth=1
	v_fma_f32 v44, v33, v35, v32
	v_mul_f32_e32 v33, v33, v35
	v_fmac_f32_e32 v32, s30, v33
	v_cndmask_b32_e64 v32, v32, v44, s[0:1]
	v_bfe_u32 v33, v32, 16, 1
	v_add3_u32 v33, v32, v33, s34
	v_cmp_o_f32_e32 vcc, v32, v32
	v_cndmask_b32_sdwa v35, v31, v33, vcc dst_sel:DWORD dst_unused:UNUSED_PAD src0_sel:DWORD src1_sel:WORD_1
	v_mov_b32_e32 v33, s19
	v_add_co_u32_e32 v32, vcc, s18, v13
	v_addc_co_u32_e32 v33, vcc, v14, v33, vcc
	global_store_short v[32:33], v35, off
	s_or_b64 exec, exec, s[10:11]
	s_and_saveexec_b64 s[10:11], s[2:3]
	s_cbranch_execz .LBB109_20
.LBB109_25:                             ;   in Loop: Header=BB109_4 Depth=1
	v_mul_f32_e32 v33, v34, v38
	v_fma_f32 v32, v34, v38, v36
	v_fmac_f32_e32 v36, s30, v33
	v_cndmask_b32_e64 v34, v36, v32, s[0:1]
	v_bfe_u32 v32, v34, 16, 1
	v_add3_u32 v35, v34, v32, s34
	v_mov_b32_e32 v33, s19
	v_add_co_u32_e32 v32, vcc, s18, v21
	v_addc_co_u32_e32 v33, vcc, v22, v33, vcc
	v_cmp_o_f32_e32 vcc, v34, v34
	v_cndmask_b32_sdwa v34, v31, v35, vcc dst_sel:DWORD dst_unused:UNUSED_PAD src0_sel:DWORD src1_sel:WORD_1
	global_store_short v[32:33], v34, off
	s_or_b64 exec, exec, s[10:11]
	s_and_saveexec_b64 s[2:3], s[6:7]
	s_cbranch_execz .LBB109_21
.LBB109_26:                             ;   in Loop: Header=BB109_4 Depth=1
	v_mul_f32_e32 v33, v37, v41
	v_fma_f32 v32, v37, v41, v39
	v_fmac_f32_e32 v39, s30, v33
	v_cndmask_b32_e64 v34, v39, v32, s[0:1]
	v_bfe_u32 v32, v34, 16, 1
	v_add3_u32 v35, v34, v32, s34
	v_mov_b32_e32 v33, s19
	v_add_co_u32_e32 v32, vcc, s18, v7
	v_addc_co_u32_e32 v33, vcc, v8, v33, vcc
	v_cmp_o_f32_e32 vcc, v34, v34
	v_cndmask_b32_sdwa v34, v31, v35, vcc dst_sel:DWORD dst_unused:UNUSED_PAD src0_sel:DWORD src1_sel:WORD_1
	global_store_short v[32:33], v34, off
	s_or_b64 exec, exec, s[2:3]
	s_and_saveexec_b64 s[2:3], s[8:9]
	s_cbranch_execz .LBB109_3
.LBB109_27:                             ;   in Loop: Header=BB109_4 Depth=1
	v_mul_f32_e32 v33, v40, v43
	v_fma_f32 v32, v40, v43, v42
	v_fmac_f32_e32 v42, s30, v33
	v_cndmask_b32_e64 v34, v42, v32, s[0:1]
	v_bfe_u32 v32, v34, 16, 1
	v_add3_u32 v35, v34, v32, s34
	v_mov_b32_e32 v33, s19
	v_add_co_u32_e32 v32, vcc, s18, v1
	v_addc_co_u32_e32 v33, vcc, v2, v33, vcc
	v_cmp_o_f32_e32 vcc, v34, v34
	v_cndmask_b32_sdwa v34, v31, v35, vcc dst_sel:DWORD dst_unused:UNUSED_PAD src0_sel:DWORD src1_sel:WORD_1
	global_store_short v[32:33], v34, off
	s_branch .LBB109_3
.LBB109_28:
	s_mov_b64 s[0:1], 0
.LBB109_29:
	s_andn2_b64 vcc, exec, s[0:1]
	s_cbranch_vccnz .LBB109_33
; %bb.30:
	v_mov_b32_e32 v1, 0x10000
	v_mov_b32_e32 v2, 0
	v_cmp_lt_i64_e32 vcc, s[20:21], v[1:2]
	v_mov_b32_e32 v2, 0
	s_and_b64 s[0:1], vcc, exec
	s_cselect_b32 s7, s21, 0
	s_cselect_b32 s6, s20, 0x10000
	v_lshlrev_b32_e32 v1, 2, v0
	v_cmp_gt_i64_e32 vcc, s[6:7], v[1:2]
	s_and_saveexec_b64 s[0:1], vcc
	s_cbranch_execz .LBB109_33
; %bb.31:
	s_load_dword s0, s[4:5], 0xd14
	v_mov_b32_e32 v1, v2
	v_lshlrev_b32_e32 v2, 3, v0
	v_mov_b32_e32 v3, s19
	s_waitcnt lgkmcnt(0)
	v_cmp_eq_f32_e64 vcc, s30, 1.0
	s_and_b32 s10, s0, 0xffff
	v_add_co_u32_e64 v2, s[0:1], s18, v2
	v_addc_co_u32_e64 v3, s[0:1], 0, v3, s[0:1]
	s_lshl_b32 s11, s10, 3
	s_mov_b64 s[8:9], 0
	v_mov_b32_e32 v4, s13
	v_mov_b32_e32 v5, s15
	;; [unrolled: 1-line block ×3, first 2 shown]
	s_movk_i32 s13, 0x7fff
	v_mov_b32_e32 v7, 0x7fc0
	v_mov_b32_e32 v8, 0x7fc00000
.LBB109_32:                             ; =>This Inner Loop Header: Depth=1
	v_add_co_u32_e64 v9, s[0:1], s12, v2
	v_addc_co_u32_e64 v10, s[0:1], v4, v3, s[0:1]
	v_add_co_u32_e64 v11, s[0:1], s14, v2
	v_addc_co_u32_e64 v12, s[0:1], v5, v3, s[0:1]
	;; [unrolled: 2-line block ×3, first 2 shown]
	global_load_dwordx2 v[15:16], v[11:12], off
	global_load_dwordx2 v[17:18], v[13:14], off
	global_load_dwordx2 v[19:20], v[9:10], off
	v_add_co_u32_e64 v0, s[0:1], s10, v0
	v_addc_co_u32_e64 v1, s[0:1], 0, v1, s[0:1]
	v_add_co_u32_e64 v2, s[0:1], s11, v2
	v_lshlrev_b64 v[11:12], 2, v[0:1]
	v_addc_co_u32_e64 v3, s[0:1], 0, v3, s[0:1]
	v_cmp_le_i64_e64 s[0:1], s[6:7], v[11:12]
	s_or_b64 s[8:9], s[0:1], s[8:9]
	s_waitcnt vmcnt(2)
	v_lshlrev_b32_e32 v12, 16, v15
	s_waitcnt vmcnt(1)
	v_lshlrev_b32_e32 v13, 16, v17
	;; [unrolled: 2-line block ×3, first 2 shown]
	v_and_b32_e32 v14, 0xffff0000, v19
	v_and_b32_e32 v21, 0xffff0000, v15
	;; [unrolled: 1-line block ×3, first 2 shown]
	v_alignbit_b32 v19, v20, v19, 16
	v_alignbit_b32 v15, v16, v15, 16
	;; [unrolled: 1-line block ×3, first 2 shown]
	v_and_b32_e32 v20, 0xffff0000, v20
	v_and_b32_e32 v16, 0xffff0000, v16
	;; [unrolled: 1-line block ×3, first 2 shown]
	v_fma_f32 v23, v12, v13, v11
	v_mul_f32_e32 v12, v12, v13
	v_fma_f32 v13, v21, v22, v14
	v_mul_f32_e32 v21, v21, v22
	v_and_b32_e32 v19, 0xffff0000, v19
	v_and_b32_e32 v15, 0xffff0000, v15
	;; [unrolled: 1-line block ×3, first 2 shown]
	v_fma_f32 v22, v16, v18, v20
	v_mul_f32_e32 v16, v16, v18
	v_fmac_f32_e32 v11, s30, v12
	v_fmac_f32_e32 v14, s30, v21
	v_fma_f32 v12, v15, v17, v19
	v_mul_f32_e32 v15, v15, v17
	v_fmac_f32_e32 v20, s30, v16
	v_cndmask_b32_e32 v11, v11, v23, vcc
	v_cndmask_b32_e32 v13, v14, v13, vcc
	v_fmac_f32_e32 v19, s30, v15
	v_cndmask_b32_e32 v14, v20, v22, vcc
	v_bfe_u32 v15, v11, 16, 1
	v_bfe_u32 v16, v13, 16, 1
	v_cndmask_b32_e32 v12, v19, v12, vcc
	v_bfe_u32 v17, v14, 16, 1
	v_add3_u32 v15, v11, v15, s13
	v_add3_u32 v16, v13, v16, s13
	v_bfe_u32 v18, v12, 16, 1
	v_add3_u32 v17, v14, v17, s13
	v_lshrrev_b32_e32 v15, 16, v15
	v_and_b32_e32 v16, 0xffff0000, v16
	v_cmp_o_f32_e64 s[0:1], v13, v13
	v_add3_u32 v13, v12, v18, s13
	v_cmp_o_f32_e64 s[4:5], v11, v11
	v_and_b32_e32 v17, 0xffff0000, v17
	v_cmp_o_f32_e64 s[2:3], v14, v14
	v_cndmask_b32_e64 v11, v7, v15, s[4:5]
	v_cndmask_b32_e64 v14, v8, v16, s[0:1]
	v_lshrrev_b32_e32 v13, 16, v13
	v_cmp_o_f32_e64 s[0:1], v12, v12
	v_cndmask_b32_e64 v15, v8, v17, s[2:3]
	v_cndmask_b32_e64 v12, v7, v13, s[0:1]
	v_or_b32_e32 v11, v11, v14
	v_or3_b32 v12, 0, v12, v15
	v_or3_b32 v11, v11, 0, 0
	global_store_dwordx2 v[9:10], v[11:12], off
	s_andn2_b64 exec, exec, s[8:9]
	s_cbranch_execnz .LBB109_32
.LBB109_33:
	s_endpgm
	.section	.rodata,"a",@progbits
	.p2align	6, 0x0
	.amdhsa_kernel _ZN2at6native12_GLOBAL__N_125multi_tensor_apply_kernelINS1_28TensorListScalarListMetadataIfLi3EEENS1_28PointwiseOpScalarListFunctorIN3c108BFloat16ELi3ELi3ELi0EEEJSt10multipliesIfEEEEvT_T0_DpT1_
		.amdhsa_group_segment_fixed_size 0
		.amdhsa_private_segment_fixed_size 0
		.amdhsa_kernarg_size 3592
		.amdhsa_user_sgpr_count 6
		.amdhsa_user_sgpr_private_segment_buffer 1
		.amdhsa_user_sgpr_dispatch_ptr 0
		.amdhsa_user_sgpr_queue_ptr 0
		.amdhsa_user_sgpr_kernarg_segment_ptr 1
		.amdhsa_user_sgpr_dispatch_id 0
		.amdhsa_user_sgpr_flat_scratch_init 0
		.amdhsa_user_sgpr_private_segment_size 0
		.amdhsa_uses_dynamic_stack 0
		.amdhsa_system_sgpr_private_segment_wavefront_offset 0
		.amdhsa_system_sgpr_workgroup_id_x 1
		.amdhsa_system_sgpr_workgroup_id_y 0
		.amdhsa_system_sgpr_workgroup_id_z 0
		.amdhsa_system_sgpr_workgroup_info 0
		.amdhsa_system_vgpr_workitem_id 0
		.amdhsa_next_free_vgpr 47
		.amdhsa_next_free_sgpr 35
		.amdhsa_reserve_vcc 1
		.amdhsa_reserve_flat_scratch 0
		.amdhsa_float_round_mode_32 0
		.amdhsa_float_round_mode_16_64 0
		.amdhsa_float_denorm_mode_32 3
		.amdhsa_float_denorm_mode_16_64 3
		.amdhsa_dx10_clamp 1
		.amdhsa_ieee_mode 1
		.amdhsa_fp16_overflow 0
		.amdhsa_exception_fp_ieee_invalid_op 0
		.amdhsa_exception_fp_denorm_src 0
		.amdhsa_exception_fp_ieee_div_zero 0
		.amdhsa_exception_fp_ieee_overflow 0
		.amdhsa_exception_fp_ieee_underflow 0
		.amdhsa_exception_fp_ieee_inexact 0
		.amdhsa_exception_int_div_zero 0
	.end_amdhsa_kernel
	.section	.text._ZN2at6native12_GLOBAL__N_125multi_tensor_apply_kernelINS1_28TensorListScalarListMetadataIfLi3EEENS1_28PointwiseOpScalarListFunctorIN3c108BFloat16ELi3ELi3ELi0EEEJSt10multipliesIfEEEEvT_T0_DpT1_,"axG",@progbits,_ZN2at6native12_GLOBAL__N_125multi_tensor_apply_kernelINS1_28TensorListScalarListMetadataIfLi3EEENS1_28PointwiseOpScalarListFunctorIN3c108BFloat16ELi3ELi3ELi0EEEJSt10multipliesIfEEEEvT_T0_DpT1_,comdat
.Lfunc_end109:
	.size	_ZN2at6native12_GLOBAL__N_125multi_tensor_apply_kernelINS1_28TensorListScalarListMetadataIfLi3EEENS1_28PointwiseOpScalarListFunctorIN3c108BFloat16ELi3ELi3ELi0EEEJSt10multipliesIfEEEEvT_T0_DpT1_, .Lfunc_end109-_ZN2at6native12_GLOBAL__N_125multi_tensor_apply_kernelINS1_28TensorListScalarListMetadataIfLi3EEENS1_28PointwiseOpScalarListFunctorIN3c108BFloat16ELi3ELi3ELi0EEEJSt10multipliesIfEEEEvT_T0_DpT1_
                                        ; -- End function
	.set _ZN2at6native12_GLOBAL__N_125multi_tensor_apply_kernelINS1_28TensorListScalarListMetadataIfLi3EEENS1_28PointwiseOpScalarListFunctorIN3c108BFloat16ELi3ELi3ELi0EEEJSt10multipliesIfEEEEvT_T0_DpT1_.num_vgpr, 47
	.set _ZN2at6native12_GLOBAL__N_125multi_tensor_apply_kernelINS1_28TensorListScalarListMetadataIfLi3EEENS1_28PointwiseOpScalarListFunctorIN3c108BFloat16ELi3ELi3ELi0EEEJSt10multipliesIfEEEEvT_T0_DpT1_.num_agpr, 0
	.set _ZN2at6native12_GLOBAL__N_125multi_tensor_apply_kernelINS1_28TensorListScalarListMetadataIfLi3EEENS1_28PointwiseOpScalarListFunctorIN3c108BFloat16ELi3ELi3ELi0EEEJSt10multipliesIfEEEEvT_T0_DpT1_.numbered_sgpr, 35
	.set _ZN2at6native12_GLOBAL__N_125multi_tensor_apply_kernelINS1_28TensorListScalarListMetadataIfLi3EEENS1_28PointwiseOpScalarListFunctorIN3c108BFloat16ELi3ELi3ELi0EEEJSt10multipliesIfEEEEvT_T0_DpT1_.num_named_barrier, 0
	.set _ZN2at6native12_GLOBAL__N_125multi_tensor_apply_kernelINS1_28TensorListScalarListMetadataIfLi3EEENS1_28PointwiseOpScalarListFunctorIN3c108BFloat16ELi3ELi3ELi0EEEJSt10multipliesIfEEEEvT_T0_DpT1_.private_seg_size, 0
	.set _ZN2at6native12_GLOBAL__N_125multi_tensor_apply_kernelINS1_28TensorListScalarListMetadataIfLi3EEENS1_28PointwiseOpScalarListFunctorIN3c108BFloat16ELi3ELi3ELi0EEEJSt10multipliesIfEEEEvT_T0_DpT1_.uses_vcc, 1
	.set _ZN2at6native12_GLOBAL__N_125multi_tensor_apply_kernelINS1_28TensorListScalarListMetadataIfLi3EEENS1_28PointwiseOpScalarListFunctorIN3c108BFloat16ELi3ELi3ELi0EEEJSt10multipliesIfEEEEvT_T0_DpT1_.uses_flat_scratch, 0
	.set _ZN2at6native12_GLOBAL__N_125multi_tensor_apply_kernelINS1_28TensorListScalarListMetadataIfLi3EEENS1_28PointwiseOpScalarListFunctorIN3c108BFloat16ELi3ELi3ELi0EEEJSt10multipliesIfEEEEvT_T0_DpT1_.has_dyn_sized_stack, 0
	.set _ZN2at6native12_GLOBAL__N_125multi_tensor_apply_kernelINS1_28TensorListScalarListMetadataIfLi3EEENS1_28PointwiseOpScalarListFunctorIN3c108BFloat16ELi3ELi3ELi0EEEJSt10multipliesIfEEEEvT_T0_DpT1_.has_recursion, 0
	.set _ZN2at6native12_GLOBAL__N_125multi_tensor_apply_kernelINS1_28TensorListScalarListMetadataIfLi3EEENS1_28PointwiseOpScalarListFunctorIN3c108BFloat16ELi3ELi3ELi0EEEJSt10multipliesIfEEEEvT_T0_DpT1_.has_indirect_call, 0
	.section	.AMDGPU.csdata,"",@progbits
; Kernel info:
; codeLenInByte = 2448
; TotalNumSgprs: 39
; NumVgprs: 47
; ScratchSize: 0
; MemoryBound: 0
; FloatMode: 240
; IeeeMode: 1
; LDSByteSize: 0 bytes/workgroup (compile time only)
; SGPRBlocks: 4
; VGPRBlocks: 11
; NumSGPRsForWavesPerEU: 39
; NumVGPRsForWavesPerEU: 47
; Occupancy: 5
; WaveLimiterHint : 0
; COMPUTE_PGM_RSRC2:SCRATCH_EN: 0
; COMPUTE_PGM_RSRC2:USER_SGPR: 6
; COMPUTE_PGM_RSRC2:TRAP_HANDLER: 0
; COMPUTE_PGM_RSRC2:TGID_X_EN: 1
; COMPUTE_PGM_RSRC2:TGID_Y_EN: 0
; COMPUTE_PGM_RSRC2:TGID_Z_EN: 0
; COMPUTE_PGM_RSRC2:TIDIG_COMP_CNT: 0
	.section	.text._ZN2at6native12_GLOBAL__N_125multi_tensor_apply_kernelINS1_28TensorListScalarListMetadataIhLi4EEENS1_28PointwiseOpScalarListFunctorIhLi4ELi3ELi3EEEJSt7dividesIhEEEEvT_T0_DpT1_,"axG",@progbits,_ZN2at6native12_GLOBAL__N_125multi_tensor_apply_kernelINS1_28TensorListScalarListMetadataIhLi4EEENS1_28PointwiseOpScalarListFunctorIhLi4ELi3ELi3EEEJSt7dividesIhEEEEvT_T0_DpT1_,comdat
	.globl	_ZN2at6native12_GLOBAL__N_125multi_tensor_apply_kernelINS1_28TensorListScalarListMetadataIhLi4EEENS1_28PointwiseOpScalarListFunctorIhLi4ELi3ELi3EEEJSt7dividesIhEEEEvT_T0_DpT1_ ; -- Begin function _ZN2at6native12_GLOBAL__N_125multi_tensor_apply_kernelINS1_28TensorListScalarListMetadataIhLi4EEENS1_28PointwiseOpScalarListFunctorIhLi4ELi3ELi3EEEJSt7dividesIhEEEEvT_T0_DpT1_
	.p2align	8
	.type	_ZN2at6native12_GLOBAL__N_125multi_tensor_apply_kernelINS1_28TensorListScalarListMetadataIhLi4EEENS1_28PointwiseOpScalarListFunctorIhLi4ELi3ELi3EEEJSt7dividesIhEEEEvT_T0_DpT1_,@function
_ZN2at6native12_GLOBAL__N_125multi_tensor_apply_kernelINS1_28TensorListScalarListMetadataIhLi4EEENS1_28PointwiseOpScalarListFunctorIhLi4ELi3ELi3EEEJSt7dividesIhEEEEvT_T0_DpT1_: ; @_ZN2at6native12_GLOBAL__N_125multi_tensor_apply_kernelINS1_28TensorListScalarListMetadataIhLi4EEENS1_28PointwiseOpScalarListFunctorIhLi4ELi3ELi3EEEJSt7dividesIhEEEEvT_T0_DpT1_
; %bb.0:
	v_mov_b32_e32 v1, s6
	global_load_ubyte v3, v1, s[4:5] offset:1476
	s_add_u32 s0, s4, s6
	s_addc_u32 s1, s5, 0
	s_mul_hi_u32 s2, s6, 3
	s_mul_i32 s6, s6, 3
	s_add_u32 s0, s0, s6
	s_addc_u32 s1, s1, s2
	v_mov_b32_e32 v2, s5
	s_load_dword s0, s[0:1], 0x704
	s_mov_b32 s17, 0
	s_waitcnt vmcnt(0)
	v_add_co_u32_e32 v1, vcc, s4, v3
	v_addc_co_u32_e32 v2, vcc, 0, v2, vcc
	global_load_ubyte v4, v[1:2], off offset:1440
	v_readfirstlane_b32 s1, v3
	s_lshl_b32 s14, s1, 3
	s_load_dwordx2 s[18:19], s[4:5], s14 offset:0x480
	s_load_dwordx2 s[6:7], s[4:5], s14 offset:0x0
	s_waitcnt lgkmcnt(0)
	s_ashr_i32 s1, s0, 31
	s_load_dwordx2 s[8:9], s[4:5], s14 offset:0x120
	s_load_dwordx2 s[10:11], s[4:5], s14 offset:0x240
	;; [unrolled: 1-line block ×3, first 2 shown]
	s_lshl_b64 s[2:3], s[0:1], 16
	s_add_u32 s0, s6, s2
	s_addc_u32 s1, s7, s3
	s_waitcnt lgkmcnt(0)
	s_add_u32 s14, s8, s2
	s_and_b32 s16, s14, 3
	s_cmp_eq_u64 s[16:17], 0
	s_cselect_b64 s[14:15], -1, 0
	s_add_u32 s16, s10, s2
	s_or_b32 s16, s12, s16
	s_and_b32 s16, s16, 3
	s_cmp_eq_u32 s16, 0
	s_cselect_b64 s[20:21], -1, 0
	s_and_b64 s[20:21], s[20:21], s[14:15]
	s_sub_u32 s14, s18, s2
	s_subb_u32 s15, s19, s3
	s_or_b64 s[0:1], s[18:19], s[0:1]
	s_and_b32 s16, s0, 3
	s_cmp_eq_u64 s[16:17], 0
	s_cselect_b64 s[0:1], -1, 0
	s_and_b64 s[16:17], s[20:21], s[0:1]
	s_mov_b64 s[0:1], -1
	s_and_b64 vcc, exec, s[16:17]
	s_cbranch_vccnz .LBB110_19
; %bb.1:
	v_cmp_lt_i64_e64 s[0:1], s[14:15], 1
	s_and_b64 vcc, exec, s[0:1]
	s_cbranch_vccnz .LBB110_18
; %bb.2:
	v_mov_b32_e32 v1, 0x10000
	s_load_dword s18, s[4:5], 0xc1c
	v_mov_b32_e32 v2, 0
	v_cmp_lt_i64_e32 vcc, s[14:15], v[1:2]
	v_mov_b32_e32 v5, s13
	s_and_b64 s[0:1], vcc, exec
	v_cmp_lt_u64_e32 vcc, s[14:15], v[1:2]
	s_cselect_b32 s17, s15, 0
	s_cselect_b32 s16, s14, 0x10000
	s_waitcnt lgkmcnt(0)
	s_and_b32 s22, s18, 0xffff
	s_and_b64 s[0:1], vcc, exec
	s_cselect_b32 s19, s15, 0
	s_cselect_b32 s18, s14, 0x10000
	s_lshl_b32 s23, s22, 1
	s_mul_i32 s0, s22, 3
	s_lshl_b32 s24, s22, 2
	s_add_u32 s1, s2, s0
	s_addc_u32 s20, s3, 0
	v_mov_b32_e32 v1, s20
	v_add_co_u32_e32 v10, vcc, s1, v0
	v_addc_co_u32_e32 v11, vcc, 0, v1, vcc
	v_mov_b32_e32 v2, s13
	v_add_co_u32_e32 v1, vcc, s12, v10
	s_add_u32 s1, s2, s23
	v_addc_co_u32_e32 v2, vcc, v2, v11, vcc
	s_addc_u32 s20, s3, 0
	v_mov_b32_e32 v3, s20
	v_add_co_u32_e32 v16, vcc, s1, v0
	v_addc_co_u32_e32 v17, vcc, 0, v3, vcc
	v_add_co_u32_e32 v3, vcc, s12, v16
	v_addc_co_u32_e32 v5, vcc, v5, v17, vcc
	v_mov_b32_e32 v7, s7
	v_add_co_u32_e32 v6, vcc, s6, v10
	v_addc_co_u32_e32 v7, vcc, v7, v11, vcc
	v_mov_b32_e32 v9, s9
	;; [unrolled: 3-line block ×11, first 2 shown]
	v_add_co_u32_e32 v24, vcc, s12, v26
	v_addc_co_u32_e32 v25, vcc, v25, v27, vcc
	v_add_co_u32_e32 v32, vcc, s22, v26
	v_addc_co_u32_e32 v33, vcc, 0, v27, vcc
	v_mov_b32_e32 v27, s13
	v_add_co_u32_e32 v26, vcc, s12, v32
	v_addc_co_u32_e32 v27, vcc, v27, v33, vcc
	v_mov_b32_e32 v29, s7
	;; [unrolled: 3-line block ×4, first 2 shown]
	v_add_co_u32_e32 v32, vcc, s10, v32
	v_addc_co_u32_e32 v33, vcc, v34, v33, vcc
	v_add_co_u32_e32 v34, vcc, s0, v0
	v_addc_co_u32_e64 v35, s[0:1], 0, 0, vcc
	v_add_co_u32_e32 v36, vcc, s23, v0
	v_addc_co_u32_e64 v37, s[0:1], 0, 0, vcc
	v_add_co_u32_e32 v38, vcc, s22, v0
	s_mov_b64 s[20:21], 0
	v_addc_co_u32_e64 v39, s[0:1], 0, 0, vcc
	s_branch .LBB110_4
.LBB110_3:                              ;   in Loop: Header=BB110_4 Depth=1
	s_or_b64 exec, exec, s[0:1]
	v_add_co_u32_e32 v51, vcc, s20, v10
	v_mov_b32_e32 v53, s21
	v_addc_co_u32_e32 v52, vcc, v11, v53, vcc
	global_load_ubyte v51, v[51:52], off
	s_waitcnt vmcnt(1)
	v_cvt_f32_ubyte0_e32 v46, v46
	v_rcp_iflag_f32_e32 v52, v46
	v_cvt_f32_ubyte0_e32 v43, v43
	v_cvt_f32_ubyte0_e32 v42, v42
	;; [unrolled: 1-line block ×3, first 2 shown]
	v_mul_f32_e32 v52, v43, v52
	v_trunc_f32_e32 v52, v52
	v_mad_f32 v43, -v52, v46, v43
	v_cvt_u32_f32_e32 v52, v52
	v_cmp_ge_f32_e64 vcc, |v43|, v46
	v_addc_co_u32_e32 v43, vcc, 0, v52, vcc
	v_mad_legacy_u16 v43, v43, v4, v44
	v_cvt_f32_ubyte0_e32 v44, v45
	v_cvt_f32_ubyte0_e32 v45, v49
	v_rcp_iflag_f32_e32 v46, v45
	v_mul_f32_e32 v46, v44, v46
	v_trunc_f32_e32 v46, v46
	v_mad_f32 v44, -v46, v45, v44
	v_cvt_u32_f32_e32 v46, v46
	v_cmp_ge_f32_e64 vcc, |v44|, v45
	v_cvt_f32_ubyte0_e32 v45, v48
	v_addc_co_u32_e32 v44, vcc, 0, v46, vcc
	v_mad_legacy_u16 v44, v44, v4, v47
	s_waitcnt vmcnt(0)
	v_cvt_f32_ubyte0_e32 v46, v51
	v_rcp_iflag_f32_e32 v47, v46
	v_mul_f32_e32 v47, v45, v47
	v_trunc_f32_e32 v47, v47
	v_mad_f32 v45, -v47, v46, v45
	v_cmp_ge_f32_e64 vcc, |v45|, v46
	v_rcp_iflag_f32_e32 v46, v42
	v_cvt_u32_f32_e32 v47, v47
	v_mul_f32_e32 v46, v41, v46
	v_trunc_f32_e32 v46, v46
	v_mad_f32 v41, -v46, v42, v41
	v_cvt_u32_f32_e32 v46, v46
	v_addc_co_u32_e32 v45, vcc, 0, v47, vcc
	v_cmp_ge_f32_e64 vcc, |v41|, v42
	v_addc_co_u32_e32 v41, vcc, 0, v46, vcc
	v_mad_legacy_u16 v42, v41, v4, v40
	v_add_co_u32_e32 v40, vcc, s20, v24
	v_addc_co_u32_e32 v41, vcc, v25, v53, vcc
	global_store_byte v[40:41], v42, off
	v_add_co_u32_e32 v40, vcc, s20, v26
	v_addc_co_u32_e32 v41, vcc, v27, v53, vcc
	global_store_byte v[40:41], v43, off
	;; [unrolled: 3-line block ×3, first 2 shown]
	v_add_co_u32_e32 v40, vcc, s20, v1
	v_mad_legacy_u16 v45, v45, v4, v50
	v_addc_co_u32_e32 v41, vcc, v2, v53, vcc
	global_store_byte v[40:41], v45, off
	s_add_u32 s20, s20, s24
	v_mov_b32_e32 v41, s17
	s_addc_u32 s21, s21, 0
	v_mov_b32_e32 v40, s16
	v_cmp_lt_i64_e32 vcc, s[20:21], v[40:41]
	s_cbranch_vccz .LBB110_18
.LBB110_4:                              ; =>This Inner Loop Header: Depth=1
	v_mov_b32_e32 v41, s21
	v_add_co_u32_e32 v40, vcc, s20, v0
	v_addc_co_u32_e32 v41, vcc, 0, v41, vcc
	v_cmp_gt_u64_e32 vcc, s[18:19], v[40:41]
	v_mov_b32_e32 v41, 0
	v_mov_b32_e32 v40, 0
	s_and_saveexec_b64 s[22:23], vcc
	s_cbranch_execz .LBB110_6
; %bb.5:                                ;   in Loop: Header=BB110_4 Depth=1
	v_mov_b32_e32 v40, s21
	v_add_co_u32_e64 v42, s[0:1], s20, v18
	v_addc_co_u32_e64 v43, s[0:1], v19, v40, s[0:1]
	v_add_co_u32_e64 v44, s[0:1], s20, v20
	v_addc_co_u32_e64 v45, s[0:1], v21, v40, s[0:1]
	global_load_ubyte v40, v[42:43], off
	global_load_ubyte v41, v[44:45], off
.LBB110_6:                              ;   in Loop: Header=BB110_4 Depth=1
	s_or_b64 exec, exec, s[22:23]
	v_mov_b32_e32 v43, 0
	v_mov_b32_e32 v42, 0
	s_and_saveexec_b64 s[0:1], vcc
	s_cbranch_execz .LBB110_8
; %bb.7:                                ;   in Loop: Header=BB110_4 Depth=1
	v_mov_b32_e32 v42, s21
	v_add_co_u32_e32 v44, vcc, s20, v22
	v_addc_co_u32_e32 v45, vcc, v23, v42, vcc
	global_load_ubyte v42, v[44:45], off
.LBB110_8:                              ;   in Loop: Header=BB110_4 Depth=1
	s_or_b64 exec, exec, s[0:1]
	v_mov_b32_e32 v45, s21
	v_add_co_u32_e32 v44, vcc, s20, v38
	v_addc_co_u32_e32 v45, vcc, v39, v45, vcc
	v_cmp_gt_u64_e32 vcc, s[18:19], v[44:45]
	v_mov_b32_e32 v44, 0
	s_and_saveexec_b64 s[22:23], vcc
	s_cbranch_execz .LBB110_10
; %bb.9:                                ;   in Loop: Header=BB110_4 Depth=1
	v_mov_b32_e32 v43, s21
	v_add_co_u32_e64 v45, s[0:1], s20, v30
	v_addc_co_u32_e64 v46, s[0:1], v31, v43, s[0:1]
	v_add_co_u32_e64 v47, s[0:1], s20, v28
	v_addc_co_u32_e64 v48, s[0:1], v29, v43, s[0:1]
	global_load_ubyte v44, v[47:48], off
	global_load_ubyte v43, v[45:46], off
.LBB110_10:                             ;   in Loop: Header=BB110_4 Depth=1
	s_or_b64 exec, exec, s[22:23]
	v_mov_b32_e32 v45, 0
	v_mov_b32_e32 v46, 0
	s_and_saveexec_b64 s[0:1], vcc
	s_cbranch_execz .LBB110_12
; %bb.11:                               ;   in Loop: Header=BB110_4 Depth=1
	v_mov_b32_e32 v47, s21
	v_add_co_u32_e32 v46, vcc, s20, v32
	v_addc_co_u32_e32 v47, vcc, v33, v47, vcc
	global_load_ubyte v46, v[46:47], off
.LBB110_12:                             ;   in Loop: Header=BB110_4 Depth=1
	s_or_b64 exec, exec, s[0:1]
	v_mov_b32_e32 v48, s21
	v_add_co_u32_e32 v47, vcc, s20, v36
	v_addc_co_u32_e32 v48, vcc, v37, v48, vcc
	v_cmp_gt_u64_e32 vcc, s[18:19], v[47:48]
	v_mov_b32_e32 v47, 0
	s_and_saveexec_b64 s[22:23], vcc
	s_cbranch_execz .LBB110_14
; %bb.13:                               ;   in Loop: Header=BB110_4 Depth=1
	v_mov_b32_e32 v45, s21
	v_add_co_u32_e64 v48, s[0:1], s20, v14
	v_addc_co_u32_e64 v49, s[0:1], v15, v45, s[0:1]
	v_add_co_u32_e64 v50, s[0:1], s20, v12
	v_addc_co_u32_e64 v51, s[0:1], v13, v45, s[0:1]
	global_load_ubyte v47, v[50:51], off
	global_load_ubyte v45, v[48:49], off
.LBB110_14:                             ;   in Loop: Header=BB110_4 Depth=1
	s_or_b64 exec, exec, s[22:23]
	v_mov_b32_e32 v48, 0
	v_mov_b32_e32 v49, 0
	s_and_saveexec_b64 s[0:1], vcc
	s_cbranch_execz .LBB110_16
; %bb.15:                               ;   in Loop: Header=BB110_4 Depth=1
	v_mov_b32_e32 v50, s21
	v_add_co_u32_e32 v49, vcc, s20, v16
	v_addc_co_u32_e32 v50, vcc, v17, v50, vcc
	global_load_ubyte v49, v[49:50], off
.LBB110_16:                             ;   in Loop: Header=BB110_4 Depth=1
	s_or_b64 exec, exec, s[0:1]
	v_mov_b32_e32 v51, s21
	v_add_co_u32_e32 v50, vcc, s20, v34
	v_addc_co_u32_e32 v51, vcc, v35, v51, vcc
	v_cmp_gt_u64_e32 vcc, s[18:19], v[50:51]
	v_mov_b32_e32 v50, 0
	s_and_saveexec_b64 s[0:1], vcc
	s_cbranch_execz .LBB110_3
; %bb.17:                               ;   in Loop: Header=BB110_4 Depth=1
	v_mov_b32_e32 v48, s21
	v_add_co_u32_e32 v51, vcc, s20, v8
	v_addc_co_u32_e32 v52, vcc, v9, v48, vcc
	v_add_co_u32_e32 v53, vcc, s20, v6
	v_addc_co_u32_e32 v54, vcc, v7, v48, vcc
	global_load_ubyte v50, v[53:54], off
	global_load_ubyte v48, v[51:52], off
	s_branch .LBB110_3
.LBB110_18:
	s_mov_b64 s[0:1], 0
.LBB110_19:
	s_andn2_b64 vcc, exec, s[0:1]
	s_cbranch_vccnz .LBB110_23
; %bb.20:
	v_mov_b32_e32 v1, 0x10000
	v_mov_b32_e32 v2, 0
	v_cmp_lt_i64_e32 vcc, s[14:15], v[1:2]
	v_mov_b32_e32 v3, 0
	s_and_b64 s[0:1], vcc, exec
	s_cselect_b32 s15, s15, 0
	s_cselect_b32 s14, s14, 0x10000
	v_lshlrev_b32_e32 v2, 2, v0
	v_cmp_gt_i64_e32 vcc, s[14:15], v[2:3]
	s_and_saveexec_b64 s[0:1], vcc
	s_cbranch_execz .LBB110_23
; %bb.21:
	s_load_dword s0, s[4:5], 0xc1c
	v_mov_b32_e32 v1, v3
	v_mov_b32_e32 v3, s3
	v_add_co_u32_e32 v2, vcc, s2, v2
	s_waitcnt lgkmcnt(0)
	s_and_b32 s18, s0, 0xffff
	v_addc_co_u32_e32 v3, vcc, 0, v3, vcc
	s_lshl_b32 s19, s18, 2
	s_mov_b64 s[16:17], 0
	v_mov_b32_e32 v5, s7
	v_mov_b32_e32 v6, s9
	;; [unrolled: 1-line block ×3, first 2 shown]
	s_mov_b32 s7, 0x6050400
	v_mov_b32_e32 v8, s13
.LBB110_22:                             ; =>This Inner Loop Header: Depth=1
	v_add_co_u32_e32 v9, vcc, s6, v2
	v_addc_co_u32_e32 v10, vcc, v5, v3, vcc
	v_add_co_u32_e32 v11, vcc, s8, v2
	v_addc_co_u32_e32 v12, vcc, v6, v3, vcc
	v_add_co_u32_e32 v13, vcc, s10, v2
	v_addc_co_u32_e32 v14, vcc, v7, v3, vcc
	global_load_dword v15, v[11:12], off
	global_load_dword v16, v[13:14], off
	;; [unrolled: 1-line block ×3, first 2 shown]
	v_add_co_u32_e32 v9, vcc, s12, v2
	v_addc_co_u32_e32 v10, vcc, v8, v3, vcc
	v_add_co_u32_e32 v0, vcc, s18, v0
	v_addc_co_u32_e32 v1, vcc, 0, v1, vcc
	v_add_co_u32_e32 v2, vcc, s19, v2
	v_lshlrev_b64 v[11:12], 2, v[0:1]
	v_addc_co_u32_e32 v3, vcc, 0, v3, vcc
	v_cmp_le_i64_e32 vcc, s[14:15], v[11:12]
	s_or_b64 s[16:17], vcc, s[16:17]
	s_waitcnt vmcnt(2)
	v_cvt_f32_ubyte1_e32 v14, v15
	s_waitcnt vmcnt(1)
	v_cvt_f32_ubyte1_e32 v18, v16
	v_cvt_f32_ubyte2_e32 v21, v16
	v_cvt_f32_ubyte0_e32 v12, v16
	v_cvt_f32_ubyte3_e32 v16, v16
	v_rcp_iflag_f32_e32 v24, v18
	v_rcp_iflag_f32_e32 v25, v21
	;; [unrolled: 1-line block ×4, first 2 shown]
	v_cvt_f32_ubyte2_e32 v20, v15
	v_cvt_f32_ubyte0_e32 v11, v15
	v_cvt_f32_ubyte3_e32 v15, v15
	v_mul_f32_e32 v24, v14, v24
	v_mul_f32_e32 v25, v20, v25
	;; [unrolled: 1-line block ×4, first 2 shown]
	v_trunc_f32_e32 v24, v24
	v_trunc_f32_e32 v25, v25
	;; [unrolled: 1-line block ×4, first 2 shown]
	v_mad_f32 v14, -v24, v18, v14
	v_cvt_u32_f32_e32 v24, v24
	v_mad_f32 v20, -v25, v21, v20
	v_cvt_u32_f32_e32 v25, v25
	;; [unrolled: 2-line block ×4, first 2 shown]
	v_cmp_ge_f32_e64 vcc, |v14|, v18
	v_cmp_ge_f32_e64 s[0:1], |v20|, v21
	s_waitcnt vmcnt(0)
	v_lshrrev_b32_e32 v13, 8, v17
	v_lshrrev_b32_e32 v19, 16, v17
	v_cmp_ge_f32_e64 s[2:3], |v15|, v16
	v_cmp_ge_f32_e64 s[4:5], |v11|, v12
	v_addc_co_u32_e32 v12, vcc, 0, v24, vcc
	v_addc_co_u32_e64 v14, vcc, 0, v25, s[0:1]
	v_lshrrev_b32_e32 v22, 24, v17
	v_addc_co_u32_e64 v11, s[4:5], 0, v23, s[4:5]
	v_addc_co_u32_e64 v15, vcc, 0, v26, s[2:3]
	v_mad_legacy_u16 v12, v12, v4, v13
	v_mad_legacy_u16 v13, v14, v4, v19
	;; [unrolled: 1-line block ×4, first 2 shown]
	v_and_b32_e32 v12, 0xff, v12
	v_and_b32_e32 v13, 0xff, v13
	v_lshlrev_b32_e32 v14, 24, v14
	v_perm_b32 v11, v12, v11, s7
	v_lshlrev_b32_e32 v12, 16, v13
	v_or3_b32 v11, v11, v12, v14
	global_store_dword v[9:10], v11, off
	s_andn2_b64 exec, exec, s[16:17]
	s_cbranch_execnz .LBB110_22
.LBB110_23:
	s_endpgm
	.section	.rodata,"a",@progbits
	.p2align	6, 0x0
	.amdhsa_kernel _ZN2at6native12_GLOBAL__N_125multi_tensor_apply_kernelINS1_28TensorListScalarListMetadataIhLi4EEENS1_28PointwiseOpScalarListFunctorIhLi4ELi3ELi3EEEJSt7dividesIhEEEEvT_T0_DpT1_
		.amdhsa_group_segment_fixed_size 0
		.amdhsa_private_segment_fixed_size 0
		.amdhsa_kernarg_size 3344
		.amdhsa_user_sgpr_count 6
		.amdhsa_user_sgpr_private_segment_buffer 1
		.amdhsa_user_sgpr_dispatch_ptr 0
		.amdhsa_user_sgpr_queue_ptr 0
		.amdhsa_user_sgpr_kernarg_segment_ptr 1
		.amdhsa_user_sgpr_dispatch_id 0
		.amdhsa_user_sgpr_flat_scratch_init 0
		.amdhsa_user_sgpr_private_segment_size 0
		.amdhsa_uses_dynamic_stack 0
		.amdhsa_system_sgpr_private_segment_wavefront_offset 0
		.amdhsa_system_sgpr_workgroup_id_x 1
		.amdhsa_system_sgpr_workgroup_id_y 0
		.amdhsa_system_sgpr_workgroup_id_z 0
		.amdhsa_system_sgpr_workgroup_info 0
		.amdhsa_system_vgpr_workitem_id 0
		.amdhsa_next_free_vgpr 55
		.amdhsa_next_free_sgpr 25
		.amdhsa_reserve_vcc 1
		.amdhsa_reserve_flat_scratch 0
		.amdhsa_float_round_mode_32 0
		.amdhsa_float_round_mode_16_64 0
		.amdhsa_float_denorm_mode_32 3
		.amdhsa_float_denorm_mode_16_64 3
		.amdhsa_dx10_clamp 1
		.amdhsa_ieee_mode 1
		.amdhsa_fp16_overflow 0
		.amdhsa_exception_fp_ieee_invalid_op 0
		.amdhsa_exception_fp_denorm_src 0
		.amdhsa_exception_fp_ieee_div_zero 0
		.amdhsa_exception_fp_ieee_overflow 0
		.amdhsa_exception_fp_ieee_underflow 0
		.amdhsa_exception_fp_ieee_inexact 0
		.amdhsa_exception_int_div_zero 0
	.end_amdhsa_kernel
	.section	.text._ZN2at6native12_GLOBAL__N_125multi_tensor_apply_kernelINS1_28TensorListScalarListMetadataIhLi4EEENS1_28PointwiseOpScalarListFunctorIhLi4ELi3ELi3EEEJSt7dividesIhEEEEvT_T0_DpT1_,"axG",@progbits,_ZN2at6native12_GLOBAL__N_125multi_tensor_apply_kernelINS1_28TensorListScalarListMetadataIhLi4EEENS1_28PointwiseOpScalarListFunctorIhLi4ELi3ELi3EEEJSt7dividesIhEEEEvT_T0_DpT1_,comdat
.Lfunc_end110:
	.size	_ZN2at6native12_GLOBAL__N_125multi_tensor_apply_kernelINS1_28TensorListScalarListMetadataIhLi4EEENS1_28PointwiseOpScalarListFunctorIhLi4ELi3ELi3EEEJSt7dividesIhEEEEvT_T0_DpT1_, .Lfunc_end110-_ZN2at6native12_GLOBAL__N_125multi_tensor_apply_kernelINS1_28TensorListScalarListMetadataIhLi4EEENS1_28PointwiseOpScalarListFunctorIhLi4ELi3ELi3EEEJSt7dividesIhEEEEvT_T0_DpT1_
                                        ; -- End function
	.set _ZN2at6native12_GLOBAL__N_125multi_tensor_apply_kernelINS1_28TensorListScalarListMetadataIhLi4EEENS1_28PointwiseOpScalarListFunctorIhLi4ELi3ELi3EEEJSt7dividesIhEEEEvT_T0_DpT1_.num_vgpr, 55
	.set _ZN2at6native12_GLOBAL__N_125multi_tensor_apply_kernelINS1_28TensorListScalarListMetadataIhLi4EEENS1_28PointwiseOpScalarListFunctorIhLi4ELi3ELi3EEEJSt7dividesIhEEEEvT_T0_DpT1_.num_agpr, 0
	.set _ZN2at6native12_GLOBAL__N_125multi_tensor_apply_kernelINS1_28TensorListScalarListMetadataIhLi4EEENS1_28PointwiseOpScalarListFunctorIhLi4ELi3ELi3EEEJSt7dividesIhEEEEvT_T0_DpT1_.numbered_sgpr, 25
	.set _ZN2at6native12_GLOBAL__N_125multi_tensor_apply_kernelINS1_28TensorListScalarListMetadataIhLi4EEENS1_28PointwiseOpScalarListFunctorIhLi4ELi3ELi3EEEJSt7dividesIhEEEEvT_T0_DpT1_.num_named_barrier, 0
	.set _ZN2at6native12_GLOBAL__N_125multi_tensor_apply_kernelINS1_28TensorListScalarListMetadataIhLi4EEENS1_28PointwiseOpScalarListFunctorIhLi4ELi3ELi3EEEJSt7dividesIhEEEEvT_T0_DpT1_.private_seg_size, 0
	.set _ZN2at6native12_GLOBAL__N_125multi_tensor_apply_kernelINS1_28TensorListScalarListMetadataIhLi4EEENS1_28PointwiseOpScalarListFunctorIhLi4ELi3ELi3EEEJSt7dividesIhEEEEvT_T0_DpT1_.uses_vcc, 1
	.set _ZN2at6native12_GLOBAL__N_125multi_tensor_apply_kernelINS1_28TensorListScalarListMetadataIhLi4EEENS1_28PointwiseOpScalarListFunctorIhLi4ELi3ELi3EEEJSt7dividesIhEEEEvT_T0_DpT1_.uses_flat_scratch, 0
	.set _ZN2at6native12_GLOBAL__N_125multi_tensor_apply_kernelINS1_28TensorListScalarListMetadataIhLi4EEENS1_28PointwiseOpScalarListFunctorIhLi4ELi3ELi3EEEJSt7dividesIhEEEEvT_T0_DpT1_.has_dyn_sized_stack, 0
	.set _ZN2at6native12_GLOBAL__N_125multi_tensor_apply_kernelINS1_28TensorListScalarListMetadataIhLi4EEENS1_28PointwiseOpScalarListFunctorIhLi4ELi3ELi3EEEJSt7dividesIhEEEEvT_T0_DpT1_.has_recursion, 0
	.set _ZN2at6native12_GLOBAL__N_125multi_tensor_apply_kernelINS1_28TensorListScalarListMetadataIhLi4EEENS1_28PointwiseOpScalarListFunctorIhLi4ELi3ELi3EEEJSt7dividesIhEEEEvT_T0_DpT1_.has_indirect_call, 0
	.section	.AMDGPU.csdata,"",@progbits
; Kernel info:
; codeLenInByte = 1916
; TotalNumSgprs: 29
; NumVgprs: 55
; ScratchSize: 0
; MemoryBound: 0
; FloatMode: 240
; IeeeMode: 1
; LDSByteSize: 0 bytes/workgroup (compile time only)
; SGPRBlocks: 3
; VGPRBlocks: 13
; NumSGPRsForWavesPerEU: 29
; NumVGPRsForWavesPerEU: 55
; Occupancy: 4
; WaveLimiterHint : 0
; COMPUTE_PGM_RSRC2:SCRATCH_EN: 0
; COMPUTE_PGM_RSRC2:USER_SGPR: 6
; COMPUTE_PGM_RSRC2:TRAP_HANDLER: 0
; COMPUTE_PGM_RSRC2:TGID_X_EN: 1
; COMPUTE_PGM_RSRC2:TGID_Y_EN: 0
; COMPUTE_PGM_RSRC2:TGID_Z_EN: 0
; COMPUTE_PGM_RSRC2:TIDIG_COMP_CNT: 0
	.section	.text._ZN2at6native12_GLOBAL__N_125multi_tensor_apply_kernelINS1_28TensorListScalarListMetadataIaLi4EEENS1_28PointwiseOpScalarListFunctorIaLi4ELi3ELi3EEEJSt7dividesIaEEEEvT_T0_DpT1_,"axG",@progbits,_ZN2at6native12_GLOBAL__N_125multi_tensor_apply_kernelINS1_28TensorListScalarListMetadataIaLi4EEENS1_28PointwiseOpScalarListFunctorIaLi4ELi3ELi3EEEJSt7dividesIaEEEEvT_T0_DpT1_,comdat
	.globl	_ZN2at6native12_GLOBAL__N_125multi_tensor_apply_kernelINS1_28TensorListScalarListMetadataIaLi4EEENS1_28PointwiseOpScalarListFunctorIaLi4ELi3ELi3EEEJSt7dividesIaEEEEvT_T0_DpT1_ ; -- Begin function _ZN2at6native12_GLOBAL__N_125multi_tensor_apply_kernelINS1_28TensorListScalarListMetadataIaLi4EEENS1_28PointwiseOpScalarListFunctorIaLi4ELi3ELi3EEEJSt7dividesIaEEEEvT_T0_DpT1_
	.p2align	8
	.type	_ZN2at6native12_GLOBAL__N_125multi_tensor_apply_kernelINS1_28TensorListScalarListMetadataIaLi4EEENS1_28PointwiseOpScalarListFunctorIaLi4ELi3ELi3EEEJSt7dividesIaEEEEvT_T0_DpT1_,@function
_ZN2at6native12_GLOBAL__N_125multi_tensor_apply_kernelINS1_28TensorListScalarListMetadataIaLi4EEENS1_28PointwiseOpScalarListFunctorIaLi4ELi3ELi3EEEJSt7dividesIaEEEEvT_T0_DpT1_: ; @_ZN2at6native12_GLOBAL__N_125multi_tensor_apply_kernelINS1_28TensorListScalarListMetadataIaLi4EEENS1_28PointwiseOpScalarListFunctorIaLi4ELi3ELi3EEEJSt7dividesIaEEEEvT_T0_DpT1_
; %bb.0:
	v_mov_b32_e32 v1, s6
	global_load_ubyte v3, v1, s[4:5] offset:1476
	s_add_u32 s0, s4, s6
	s_addc_u32 s1, s5, 0
	s_mul_hi_u32 s2, s6, 3
	s_mul_i32 s6, s6, 3
	s_add_u32 s0, s0, s6
	s_addc_u32 s1, s1, s2
	v_mov_b32_e32 v2, s5
	s_load_dword s0, s[0:1], 0x704
	s_mov_b32 s3, 0
	s_waitcnt vmcnt(0)
	v_add_co_u32_e32 v1, vcc, s4, v3
	v_addc_co_u32_e32 v2, vcc, 0, v2, vcc
	global_load_ubyte v4, v[1:2], off offset:1440
	v_readfirstlane_b32 s1, v3
	s_lshl_b32 s2, s1, 3
	s_load_dwordx2 s[6:7], s[4:5], s2 offset:0x480
	s_load_dwordx2 s[14:15], s[4:5], s2 offset:0x0
	s_waitcnt lgkmcnt(0)
	s_ashr_i32 s1, s0, 31
	s_load_dwordx2 s[16:17], s[4:5], s2 offset:0x120
	s_load_dwordx2 s[18:19], s[4:5], s2 offset:0x240
	;; [unrolled: 1-line block ×3, first 2 shown]
	s_lshl_b64 s[22:23], s[0:1], 16
	s_add_u32 s0, s14, s22
	s_addc_u32 s1, s15, s23
	s_waitcnt lgkmcnt(0)
	s_add_u32 s2, s16, s22
	s_and_b32 s2, s2, 3
	s_cmp_eq_u64 s[2:3], 0
	s_cselect_b64 s[8:9], -1, 0
	s_add_u32 s2, s18, s22
	s_or_b32 s2, s20, s2
	s_and_b32 s2, s2, 3
	s_cmp_eq_u32 s2, 0
	s_cselect_b64 s[10:11], -1, 0
	s_and_b64 s[8:9], s[10:11], s[8:9]
	s_sub_u32 s24, s6, s22
	s_subb_u32 s25, s7, s23
	s_or_b64 s[0:1], s[6:7], s[0:1]
	s_and_b32 s2, s0, 3
	s_cmp_eq_u64 s[2:3], 0
	s_cselect_b64 s[0:1], -1, 0
	s_and_b64 s[2:3], s[8:9], s[0:1]
	s_mov_b64 s[0:1], -1
	s_and_b64 vcc, exec, s[2:3]
	s_cbranch_vccnz .LBB111_45
; %bb.1:
	v_cmp_lt_i64_e64 s[0:1], s[24:25], 1
	s_and_b64 vcc, exec, s[0:1]
	s_cbranch_vccnz .LBB111_44
; %bb.2:
	v_mov_b32_e32 v1, 0x10000
	s_load_dword s2, s[4:5], 0xc1c
	v_mov_b32_e32 v2, 0
	v_cmp_lt_i64_e32 vcc, s[24:25], v[1:2]
	v_mov_b32_e32 v5, s17
	s_and_b64 s[0:1], vcc, exec
	v_cmp_lt_u64_e32 vcc, s[24:25], v[1:2]
	s_cselect_b32 s27, s25, 0
	s_cselect_b32 s26, s24, 0x10000
	s_waitcnt lgkmcnt(0)
	s_and_b32 s2, s2, 0xffff
	s_and_b64 s[0:1], vcc, exec
	s_cselect_b32 s29, s25, 0
	s_cselect_b32 s28, s24, 0x10000
	s_lshl_b32 s3, s2, 1
	s_mul_i32 s0, s2, 3
	s_lshl_b32 s33, s2, 2
	s_add_u32 s1, s22, s0
	v_mov_b32_e32 v1, 1
	s_addc_u32 s6, s23, 0
	s_waitcnt vmcnt(0)
	v_cmp_ne_u32_sdwa s[30:31], v4, v1 src0_sel:BYTE_0 src1_sel:DWORD
	v_mov_b32_e32 v1, s6
	v_add_co_u32_e32 v8, vcc, s1, v0
	v_addc_co_u32_e32 v9, vcc, 0, v1, vcc
	v_mov_b32_e32 v2, s15
	v_add_co_u32_e32 v1, vcc, s14, v8
	v_addc_co_u32_e32 v2, vcc, v2, v9, vcc
	v_add_co_u32_e32 v3, vcc, s16, v8
	v_addc_co_u32_e32 v5, vcc, v5, v9, vcc
	v_mov_b32_e32 v7, s19
	v_add_co_u32_e32 v6, vcc, s18, v8
	v_addc_co_u32_e32 v7, vcc, v7, v9, vcc
	v_mov_b32_e32 v10, s21
	v_add_co_u32_e32 v8, vcc, s20, v8
	s_add_u32 s1, s22, s3
	v_addc_co_u32_e32 v9, vcc, v10, v9, vcc
	s_addc_u32 s6, s23, 0
	v_mov_b32_e32 v10, s6
	v_add_co_u32_e32 v16, vcc, s1, v0
	v_addc_co_u32_e32 v17, vcc, 0, v10, vcc
	v_mov_b32_e32 v11, s15
	v_add_co_u32_e32 v10, vcc, s14, v16
	v_addc_co_u32_e32 v11, vcc, v11, v17, vcc
	v_mov_b32_e32 v13, s17
	v_add_co_u32_e32 v12, vcc, s16, v16
	v_addc_co_u32_e32 v13, vcc, v13, v17, vcc
	v_mov_b32_e32 v15, s19
	v_add_co_u32_e32 v14, vcc, s18, v16
	v_addc_co_u32_e32 v15, vcc, v15, v17, vcc
	v_mov_b32_e32 v18, s21
	v_add_co_u32_e32 v16, vcc, s20, v16
	v_addc_co_u32_e32 v17, vcc, v18, v17, vcc
	v_mov_b32_e32 v18, s23
	v_add_co_u32_e32 v26, vcc, s22, v0
	v_addc_co_u32_e32 v27, vcc, 0, v18, vcc
	v_mov_b32_e32 v19, s15
	v_add_co_u32_e32 v18, vcc, s14, v26
	v_addc_co_u32_e32 v19, vcc, v19, v27, vcc
	v_mov_b32_e32 v21, s17
	v_add_co_u32_e32 v20, vcc, s16, v26
	v_addc_co_u32_e32 v21, vcc, v21, v27, vcc
	v_mov_b32_e32 v23, s19
	v_add_co_u32_e32 v22, vcc, s18, v26
	v_addc_co_u32_e32 v23, vcc, v23, v27, vcc
	v_mov_b32_e32 v25, s21
	v_add_co_u32_e32 v24, vcc, s20, v26
	v_addc_co_u32_e32 v25, vcc, v25, v27, vcc
	v_add_co_u32_e32 v32, vcc, s2, v26
	v_addc_co_u32_e32 v33, vcc, 0, v27, vcc
	v_mov_b32_e32 v27, s15
	v_add_co_u32_e32 v26, vcc, s14, v32
	v_addc_co_u32_e32 v27, vcc, v27, v33, vcc
	v_mov_b32_e32 v29, s17
	;; [unrolled: 3-line block ×4, first 2 shown]
	v_add_co_u32_e32 v32, vcc, s20, v32
	v_addc_co_u32_e32 v33, vcc, v34, v33, vcc
	v_add_co_u32_e32 v34, vcc, s0, v0
	v_addc_co_u32_e64 v35, s[0:1], 0, 0, vcc
	v_add_co_u32_e32 v36, vcc, s3, v0
	v_addc_co_u32_e64 v37, s[0:1], 0, 0, vcc
	v_add_co_u32_e32 v38, vcc, s2, v0
	s_mov_b64 s[34:35], 0
	v_addc_co_u32_e64 v39, s[0:1], 0, 0, vcc
	s_branch .LBB111_4
.LBB111_3:                              ;   in Loop: Header=BB111_4 Depth=1
	s_or_b64 exec, exec, s[0:1]
	s_add_u32 s34, s34, s33
	v_mov_b32_e32 v41, s27
	s_addc_u32 s35, s35, 0
	v_mov_b32_e32 v40, s26
	v_cmp_ge_i64_e32 vcc, s[34:35], v[40:41]
	s_cbranch_vccnz .LBB111_44
.LBB111_4:                              ; =>This Inner Loop Header: Depth=1
	v_mov_b32_e32 v41, s35
	v_add_co_u32_e32 v40, vcc, s34, v0
	v_addc_co_u32_e32 v41, vcc, 0, v41, vcc
	v_cmp_gt_u64_e64 s[0:1], s[28:29], v[40:41]
	v_mov_b32_e32 v47, 0
	v_mov_b32_e32 v41, 0
	s_and_saveexec_b64 s[2:3], s[0:1]
	s_cbranch_execz .LBB111_6
; %bb.5:                                ;   in Loop: Header=BB111_4 Depth=1
	v_mov_b32_e32 v40, s35
	v_add_co_u32_e32 v42, vcc, s34, v18
	v_addc_co_u32_e32 v43, vcc, v19, v40, vcc
	v_add_co_u32_e32 v44, vcc, s34, v20
	v_addc_co_u32_e32 v45, vcc, v21, v40, vcc
	global_load_ubyte v41, v[42:43], off
	global_load_ubyte v47, v[44:45], off
.LBB111_6:                              ;   in Loop: Header=BB111_4 Depth=1
	s_or_b64 exec, exec, s[2:3]
	v_mov_b32_e32 v45, 0
	v_mov_b32_e32 v51, 0
	s_and_saveexec_b64 s[2:3], s[0:1]
	s_cbranch_execz .LBB111_8
; %bb.7:                                ;   in Loop: Header=BB111_4 Depth=1
	v_mov_b32_e32 v40, s35
	v_add_co_u32_e32 v42, vcc, s34, v22
	v_addc_co_u32_e32 v43, vcc, v23, v40, vcc
	global_load_ubyte v51, v[42:43], off
.LBB111_8:                              ;   in Loop: Header=BB111_4 Depth=1
	s_or_b64 exec, exec, s[2:3]
	v_mov_b32_e32 v40, s35
	v_add_co_u32_e32 v42, vcc, s34, v38
	v_addc_co_u32_e32 v43, vcc, v39, v40, vcc
	v_cmp_gt_u64_e64 s[2:3], s[28:29], v[42:43]
	v_mov_b32_e32 v40, 0
	s_and_saveexec_b64 s[6:7], s[2:3]
	s_cbranch_execz .LBB111_10
; %bb.9:                                ;   in Loop: Header=BB111_4 Depth=1
	v_mov_b32_e32 v40, s35
	v_add_co_u32_e32 v42, vcc, s34, v28
	v_addc_co_u32_e32 v43, vcc, v29, v40, vcc
	v_add_co_u32_e32 v48, vcc, s34, v26
	v_addc_co_u32_e32 v49, vcc, v27, v40, vcc
	global_load_ubyte v40, v[48:49], off
	global_load_ubyte v45, v[42:43], off
.LBB111_10:                             ;   in Loop: Header=BB111_4 Depth=1
	s_or_b64 exec, exec, s[6:7]
	v_mov_b32_e32 v44, 0
	v_mov_b32_e32 v49, 0
	s_and_saveexec_b64 s[6:7], s[2:3]
	s_cbranch_execz .LBB111_12
; %bb.11:                               ;   in Loop: Header=BB111_4 Depth=1
	v_mov_b32_e32 v43, s35
	v_add_co_u32_e32 v42, vcc, s34, v30
	v_addc_co_u32_e32 v43, vcc, v31, v43, vcc
	global_load_ubyte v49, v[42:43], off
.LBB111_12:                             ;   in Loop: Header=BB111_4 Depth=1
	s_or_b64 exec, exec, s[6:7]
	v_mov_b32_e32 v43, s35
	v_add_co_u32_e32 v42, vcc, s34, v36
	v_addc_co_u32_e32 v43, vcc, v37, v43, vcc
	v_cmp_gt_u64_e64 s[6:7], s[28:29], v[42:43]
	v_mov_b32_e32 v42, 0
	s_and_saveexec_b64 s[8:9], s[6:7]
	s_cbranch_execz .LBB111_14
; %bb.13:                               ;   in Loop: Header=BB111_4 Depth=1
	v_mov_b32_e32 v42, s35
	v_add_co_u32_e32 v52, vcc, s34, v12
	v_addc_co_u32_e32 v53, vcc, v13, v42, vcc
	v_add_co_u32_e32 v54, vcc, s34, v10
	v_addc_co_u32_e32 v55, vcc, v11, v42, vcc
	global_load_ubyte v42, v[54:55], off
	global_load_ubyte v44, v[52:53], off
.LBB111_14:                             ;   in Loop: Header=BB111_4 Depth=1
	s_or_b64 exec, exec, s[8:9]
	v_mov_b32_e32 v46, 0
	v_mov_b32_e32 v48, 0
	s_and_saveexec_b64 s[8:9], s[6:7]
	s_cbranch_execz .LBB111_16
; %bb.15:                               ;   in Loop: Header=BB111_4 Depth=1
	v_mov_b32_e32 v43, s35
	v_add_co_u32_e32 v52, vcc, s34, v14
	v_addc_co_u32_e32 v53, vcc, v15, v43, vcc
	global_load_ubyte v48, v[52:53], off
.LBB111_16:                             ;   in Loop: Header=BB111_4 Depth=1
	s_or_b64 exec, exec, s[8:9]
	v_mov_b32_e32 v43, s35
	v_add_co_u32_e32 v52, vcc, s34, v34
	v_addc_co_u32_e32 v53, vcc, v35, v43, vcc
	v_cmp_gt_u64_e64 s[8:9], s[28:29], v[52:53]
	v_mov_b32_e32 v43, 0
	s_and_saveexec_b64 s[10:11], s[8:9]
	s_cbranch_execz .LBB111_18
; %bb.17:                               ;   in Loop: Header=BB111_4 Depth=1
	v_mov_b32_e32 v43, s35
	v_add_co_u32_e32 v52, vcc, s34, v3
	v_addc_co_u32_e32 v53, vcc, v5, v43, vcc
	v_add_co_u32_e32 v54, vcc, s34, v1
	v_addc_co_u32_e32 v55, vcc, v2, v43, vcc
	global_load_ubyte v43, v[54:55], off
	global_load_ubyte v46, v[52:53], off
.LBB111_18:                             ;   in Loop: Header=BB111_4 Depth=1
	s_or_b64 exec, exec, s[10:11]
	v_mov_b32_e32 v50, 0
	s_and_saveexec_b64 s[10:11], s[8:9]
	s_cbranch_execz .LBB111_20
; %bb.19:                               ;   in Loop: Header=BB111_4 Depth=1
	v_mov_b32_e32 v50, s35
	v_add_co_u32_e32 v52, vcc, s34, v6
	v_addc_co_u32_e32 v53, vcc, v7, v50, vcc
	global_load_ubyte v50, v[52:53], off
.LBB111_20:                             ;   in Loop: Header=BB111_4 Depth=1
	s_or_b64 exec, exec, s[10:11]
	s_waitcnt vmcnt(0)
	v_cvt_f32_i32_sdwa v52, sext(v51) dst_sel:DWORD dst_unused:UNUSED_PAD src0_sel:BYTE_0
	v_cvt_f32_i32_sdwa v53, sext(v47) dst_sel:DWORD dst_unused:UNUSED_PAD src0_sel:BYTE_0
	v_xor_b32_sdwa v51, sext(v47), sext(v51) dst_sel:DWORD dst_unused:UNUSED_PAD src0_sel:BYTE_0 src1_sel:BYTE_0
	v_ashrrev_i32_e32 v51, 30, v51
	v_rcp_iflag_f32_e32 v54, v52
	v_or_b32_e32 v51, 1, v51
	s_mov_b64 s[12:13], -1
	s_and_b64 vcc, exec, s[30:31]
	v_mul_f32_e32 v54, v53, v54
	v_trunc_f32_e32 v54, v54
	v_cvt_i32_f32_e32 v55, v54
	v_mad_f32 v53, -v54, v52, v53
	v_cmp_ge_f32_e64 s[10:11], |v53|, |v52|
	v_cndmask_b32_e64 v51, 0, v51, s[10:11]
	v_add_u32_e32 v51, v55, v51
	v_bfe_i32 v51, v51, 0, 8
                                        ; implicit-def: $vgpr47
	s_cbranch_vccz .LBB111_22
; %bb.21:                               ;   in Loop: Header=BB111_4 Depth=1
	v_mad_legacy_u16 v47, v4, v51, v41
	s_mov_b64 s[12:13], 0
.LBB111_22:                             ;   in Loop: Header=BB111_4 Depth=1
	s_andn2_b64 vcc, exec, s[12:13]
	s_cbranch_vccnz .LBB111_24
; %bb.23:                               ;   in Loop: Header=BB111_4 Depth=1
	v_add_u16_e32 v47, v41, v51
.LBB111_24:                             ;   in Loop: Header=BB111_4 Depth=1
	v_cvt_f32_i32_sdwa v41, sext(v49) dst_sel:DWORD dst_unused:UNUSED_PAD src0_sel:BYTE_0
	v_xor_b32_sdwa v49, sext(v45), sext(v49) dst_sel:DWORD dst_unused:UNUSED_PAD src0_sel:BYTE_0 src1_sel:BYTE_0
	v_cvt_f32_i32_sdwa v45, sext(v45) dst_sel:DWORD dst_unused:UNUSED_PAD src0_sel:BYTE_0
	v_cndmask_b32_e64 v51, 0, 1, s[30:31]
	v_rcp_iflag_f32_e32 v52, v41
	v_cmp_ne_u32_e64 s[10:11], 1, v51
	v_ashrrev_i32_e32 v49, 30, v49
	v_or_b32_e32 v49, 1, v49
	v_mul_f32_e32 v51, v45, v52
	v_trunc_f32_e32 v51, v51
	v_cvt_i32_f32_e32 v52, v51
	v_mad_f32 v45, -v51, v41, v45
	v_cmp_ge_f32_e64 vcc, |v45|, |v41|
	v_cndmask_b32_e32 v41, 0, v49, vcc
	v_add_u32_e32 v41, v52, v41
	v_bfe_i32 v45, v41, 0, 8
	s_andn2_b64 vcc, exec, s[30:31]
	s_mov_b64 s[12:13], -1
                                        ; implicit-def: $vgpr41
	s_cbranch_vccnz .LBB111_26
; %bb.25:                               ;   in Loop: Header=BB111_4 Depth=1
	v_mad_legacy_u16 v41, v4, v45, v40
	s_mov_b64 s[12:13], 0
.LBB111_26:                             ;   in Loop: Header=BB111_4 Depth=1
	s_andn2_b64 vcc, exec, s[12:13]
	s_cbranch_vccnz .LBB111_28
; %bb.27:                               ;   in Loop: Header=BB111_4 Depth=1
	v_add_u16_e32 v41, v40, v45
.LBB111_28:                             ;   in Loop: Header=BB111_4 Depth=1
	v_cvt_f32_i32_sdwa v40, sext(v48) dst_sel:DWORD dst_unused:UNUSED_PAD src0_sel:BYTE_0
	v_xor_b32_sdwa v45, sext(v44), sext(v48) dst_sel:DWORD dst_unused:UNUSED_PAD src0_sel:BYTE_0 src1_sel:BYTE_0
	v_cvt_f32_i32_sdwa v44, sext(v44) dst_sel:DWORD dst_unused:UNUSED_PAD src0_sel:BYTE_0
	v_ashrrev_i32_e32 v45, 30, v45
	v_rcp_iflag_f32_e32 v48, v40
	v_or_b32_e32 v45, 1, v45
	s_and_b64 vcc, exec, s[10:11]
	v_mul_f32_e32 v48, v44, v48
	v_trunc_f32_e32 v48, v48
	v_cvt_i32_f32_e32 v49, v48
	v_mad_f32 v44, -v48, v40, v44
	v_cmp_ge_f32_e64 s[12:13], |v44|, |v40|
	v_cndmask_b32_e64 v40, 0, v45, s[12:13]
	v_add_u32_e32 v40, v49, v40
	v_bfe_i32 v44, v40, 0, 8
	s_mov_b64 s[12:13], -1
                                        ; implicit-def: $vgpr40
	s_cbranch_vccnz .LBB111_30
; %bb.29:                               ;   in Loop: Header=BB111_4 Depth=1
	v_mad_legacy_u16 v40, v4, v44, v42
	s_mov_b64 s[12:13], 0
.LBB111_30:                             ;   in Loop: Header=BB111_4 Depth=1
	s_andn2_b64 vcc, exec, s[12:13]
	s_cbranch_vccnz .LBB111_32
; %bb.31:                               ;   in Loop: Header=BB111_4 Depth=1
	v_add_u16_e32 v40, v42, v44
.LBB111_32:                             ;   in Loop: Header=BB111_4 Depth=1
	v_cvt_f32_i32_sdwa v42, sext(v50) dst_sel:DWORD dst_unused:UNUSED_PAD src0_sel:BYTE_0
	v_xor_b32_sdwa v44, sext(v46), sext(v50) dst_sel:DWORD dst_unused:UNUSED_PAD src0_sel:BYTE_0 src1_sel:BYTE_0
	v_cvt_f32_i32_sdwa v45, sext(v46) dst_sel:DWORD dst_unused:UNUSED_PAD src0_sel:BYTE_0
	v_ashrrev_i32_e32 v44, 30, v44
	v_rcp_iflag_f32_e32 v46, v42
	s_and_b64 vcc, exec, s[10:11]
	v_or_b32_e32 v44, 1, v44
	v_mul_f32_e32 v46, v45, v46
	v_trunc_f32_e32 v46, v46
	v_cvt_i32_f32_e32 v48, v46
	v_mad_f32 v45, -v46, v42, v45
	v_cmp_ge_f32_e64 s[10:11], |v45|, |v42|
	v_cndmask_b32_e64 v42, 0, v44, s[10:11]
	v_add_u32_e32 v42, v48, v42
	v_bfe_i32 v44, v42, 0, 8
	s_mov_b64 s[10:11], -1
                                        ; implicit-def: $vgpr42
	s_cbranch_vccz .LBB111_38
; %bb.33:                               ;   in Loop: Header=BB111_4 Depth=1
	s_andn2_b64 vcc, exec, s[10:11]
	s_cbranch_vccz .LBB111_39
.LBB111_34:                             ;   in Loop: Header=BB111_4 Depth=1
	s_and_saveexec_b64 s[10:11], s[0:1]
	s_xor_b64 s[0:1], exec, s[10:11]
	s_cbranch_execnz .LBB111_40
.LBB111_35:                             ;   in Loop: Header=BB111_4 Depth=1
	s_or_b64 exec, exec, s[0:1]
	s_and_saveexec_b64 s[0:1], s[2:3]
	s_cbranch_execnz .LBB111_41
.LBB111_36:                             ;   in Loop: Header=BB111_4 Depth=1
	s_or_b64 exec, exec, s[0:1]
	s_and_saveexec_b64 s[0:1], s[6:7]
	s_cbranch_execnz .LBB111_42
.LBB111_37:                             ;   in Loop: Header=BB111_4 Depth=1
	s_or_b64 exec, exec, s[0:1]
	s_and_saveexec_b64 s[0:1], s[8:9]
	s_cbranch_execz .LBB111_3
	s_branch .LBB111_43
.LBB111_38:                             ;   in Loop: Header=BB111_4 Depth=1
	v_mad_legacy_u16 v42, v4, v44, v43
	s_cbranch_execnz .LBB111_34
.LBB111_39:                             ;   in Loop: Header=BB111_4 Depth=1
	v_add_u16_e32 v42, v43, v44
	s_and_saveexec_b64 s[10:11], s[0:1]
	s_xor_b64 s[0:1], exec, s[10:11]
	s_cbranch_execz .LBB111_35
.LBB111_40:                             ;   in Loop: Header=BB111_4 Depth=1
	v_mov_b32_e32 v44, s35
	v_add_co_u32_e32 v43, vcc, s34, v24
	v_addc_co_u32_e32 v44, vcc, v25, v44, vcc
	global_store_byte v[43:44], v47, off
	s_or_b64 exec, exec, s[0:1]
	s_and_saveexec_b64 s[0:1], s[2:3]
	s_cbranch_execz .LBB111_36
.LBB111_41:                             ;   in Loop: Header=BB111_4 Depth=1
	v_mov_b32_e32 v44, s35
	v_add_co_u32_e32 v43, vcc, s34, v32
	v_addc_co_u32_e32 v44, vcc, v33, v44, vcc
	global_store_byte v[43:44], v41, off
	s_or_b64 exec, exec, s[0:1]
	s_and_saveexec_b64 s[0:1], s[6:7]
	s_cbranch_execz .LBB111_37
.LBB111_42:                             ;   in Loop: Header=BB111_4 Depth=1
	v_mov_b32_e32 v41, s35
	v_add_co_u32_e32 v43, vcc, s34, v16
	v_addc_co_u32_e32 v44, vcc, v17, v41, vcc
	global_store_byte v[43:44], v40, off
	s_or_b64 exec, exec, s[0:1]
	s_and_saveexec_b64 s[0:1], s[8:9]
	s_cbranch_execz .LBB111_3
.LBB111_43:                             ;   in Loop: Header=BB111_4 Depth=1
	v_mov_b32_e32 v41, s35
	v_add_co_u32_e32 v40, vcc, s34, v8
	v_addc_co_u32_e32 v41, vcc, v9, v41, vcc
	global_store_byte v[40:41], v42, off
	s_branch .LBB111_3
.LBB111_44:
	s_mov_b64 s[0:1], 0
.LBB111_45:
	s_andn2_b64 vcc, exec, s[0:1]
	s_cbranch_vccnz .LBB111_49
; %bb.46:
	v_mov_b32_e32 v1, 0x10000
	v_mov_b32_e32 v2, 0
	v_cmp_lt_i64_e32 vcc, s[24:25], v[1:2]
	v_mov_b32_e32 v3, 0
	s_and_b64 s[0:1], vcc, exec
	s_cselect_b32 s1, s25, 0
	s_cselect_b32 s0, s24, 0x10000
	v_lshlrev_b32_e32 v2, 2, v0
	v_cmp_gt_i64_e32 vcc, s[0:1], v[2:3]
	s_and_saveexec_b64 s[2:3], vcc
	s_cbranch_execz .LBB111_49
; %bb.47:
	s_load_dword s2, s[4:5], 0xc1c
	v_mov_b32_e32 v1, v3
	v_mov_b32_e32 v3, s23
	v_add_co_u32_e32 v2, vcc, s22, v2
	s_waitcnt lgkmcnt(0)
	s_and_b32 s4, s2, 0xffff
	v_addc_co_u32_e32 v3, vcc, 0, v3, vcc
	s_lshl_b32 s5, s4, 2
	s_mov_b64 s[2:3], 0
	v_mov_b32_e32 v5, s15
	v_mov_b32_e32 v6, s17
	;; [unrolled: 1-line block ×3, first 2 shown]
	s_mov_b32 s6, 0x6050400
	v_mov_b32_e32 v8, s21
.LBB111_48:                             ; =>This Inner Loop Header: Depth=1
	v_add_co_u32_e32 v9, vcc, s14, v2
	v_addc_co_u32_e32 v10, vcc, v5, v3, vcc
	v_add_co_u32_e32 v11, vcc, s16, v2
	v_addc_co_u32_e32 v12, vcc, v6, v3, vcc
	;; [unrolled: 2-line block ×3, first 2 shown]
	global_load_dword v15, v[11:12], off
	global_load_dword v16, v[13:14], off
	;; [unrolled: 1-line block ×3, first 2 shown]
	v_add_co_u32_e32 v9, vcc, s20, v2
	v_addc_co_u32_e32 v10, vcc, v8, v3, vcc
	v_add_co_u32_e32 v0, vcc, s4, v0
	v_addc_co_u32_e32 v1, vcc, 0, v1, vcc
	v_add_co_u32_e32 v2, vcc, s5, v2
	v_lshlrev_b64 v[11:12], 2, v[0:1]
	v_addc_co_u32_e32 v3, vcc, 0, v3, vcc
	v_cmp_le_i64_e32 vcc, s[0:1], v[11:12]
	s_or_b64 s[2:3], vcc, s[2:3]
	s_waitcnt vmcnt(2)
	v_cvt_f32_i32_sdwa v12, sext(v15) dst_sel:DWORD dst_unused:UNUSED_PAD src0_sel:BYTE_0
	s_waitcnt vmcnt(1)
	v_cvt_f32_i32_sdwa v13, sext(v16) dst_sel:DWORD dst_unused:UNUSED_PAD src0_sel:BYTE_0
	v_cvt_f32_i32_sdwa v22, sext(v16) dst_sel:DWORD dst_unused:UNUSED_PAD src0_sel:BYTE_1
	v_cvt_f32_i32_sdwa v25, sext(v16) dst_sel:DWORD dst_unused:UNUSED_PAD src0_sel:BYTE_2
	v_xor_b32_sdwa v11, sext(v15), sext(v16) dst_sel:DWORD dst_unused:UNUSED_PAD src0_sel:BYTE_0 src1_sel:BYTE_0
	v_xor_b32_sdwa v20, sext(v15), sext(v16) dst_sel:DWORD dst_unused:UNUSED_PAD src0_sel:BYTE_1 src1_sel:BYTE_1
	v_xor_b32_sdwa v23, sext(v15), sext(v16) dst_sel:DWORD dst_unused:UNUSED_PAD src0_sel:BYTE_2 src1_sel:BYTE_2
	v_xor_b32_sdwa v26, sext(v15), sext(v16) dst_sel:DWORD dst_unused:UNUSED_PAD src0_sel:BYTE_3 src1_sel:BYTE_3
	v_cvt_f32_i32_sdwa v16, sext(v16) dst_sel:DWORD dst_unused:UNUSED_PAD src0_sel:BYTE_3
	v_cvt_f32_i32_sdwa v21, sext(v15) dst_sel:DWORD dst_unused:UNUSED_PAD src0_sel:BYTE_1
	v_rcp_iflag_f32_e32 v27, v13
	v_rcp_iflag_f32_e32 v28, v22
	v_cvt_f32_i32_sdwa v24, sext(v15) dst_sel:DWORD dst_unused:UNUSED_PAD src0_sel:BYTE_2
	v_rcp_iflag_f32_e32 v29, v25
	v_cvt_f32_i32_sdwa v15, sext(v15) dst_sel:DWORD dst_unused:UNUSED_PAD src0_sel:BYTE_3
	v_rcp_iflag_f32_e32 v30, v16
	v_mul_f32_e32 v27, v12, v27
	v_mul_f32_e32 v28, v21, v28
	;; [unrolled: 1-line block ×3, first 2 shown]
	v_trunc_f32_e32 v27, v27
	v_trunc_f32_e32 v28, v28
	v_ashrrev_i32_e32 v11, 30, v11
	v_trunc_f32_e32 v29, v29
	v_mad_f32 v12, -v27, v13, v12
	v_mad_f32 v21, -v28, v22, v21
	v_cvt_i32_f32_e32 v28, v28
	v_ashrrev_i32_e32 v20, 30, v20
	v_or_b32_e32 v11, 1, v11
	v_mul_f32_e32 v30, v15, v30
	v_cvt_i32_f32_e32 v27, v27
	v_mad_f32 v24, -v29, v25, v24
	v_cvt_i32_f32_e32 v29, v29
	v_cmp_ge_f32_e64 vcc, |v12|, |v13|
	v_ashrrev_i32_e32 v23, 30, v23
	v_or_b32_e32 v20, 1, v20
	v_trunc_f32_e32 v30, v30
	v_cndmask_b32_e32 v11, 0, v11, vcc
	v_cmp_ge_f32_e64 vcc, |v21|, |v22|
	v_or_b32_e32 v23, 1, v23
	v_mad_f32 v15, -v30, v16, v15
	v_cvt_i32_f32_e32 v30, v30
	v_cndmask_b32_e32 v12, 0, v20, vcc
	v_cmp_ge_f32_e64 vcc, |v24|, |v25|
	s_waitcnt vmcnt(0)
	v_lshrrev_b32_e32 v14, 8, v17
	v_ashrrev_i32_e32 v26, 30, v26
	v_cndmask_b32_e32 v13, 0, v23, vcc
	v_add_u32_e32 v12, v28, v12
	v_lshrrev_b32_e32 v18, 16, v17
	v_or_b32_e32 v26, 1, v26
	v_cmp_ge_f32_e64 vcc, |v15|, |v16|
	v_add_u32_e32 v11, v27, v11
	v_add_u32_e32 v13, v29, v13
	v_mad_legacy_u16 v12, v4, v12, v14
	v_cndmask_b32_e32 v15, 0, v26, vcc
	v_mad_legacy_u16 v11, v4, v11, v17
	v_mad_legacy_u16 v13, v4, v13, v18
	v_and_b32_e32 v12, 0xff, v12
	v_lshrrev_b32_e32 v19, 24, v17
	v_add_u32_e32 v15, v30, v15
	v_and_b32_e32 v13, 0xff, v13
	v_perm_b32 v11, v12, v11, s6
	v_mad_legacy_u16 v14, v4, v15, v19
	v_lshl_or_b32 v11, v13, 16, v11
	v_lshl_or_b32 v11, v14, 24, v11
	global_store_dword v[9:10], v11, off
	s_andn2_b64 exec, exec, s[2:3]
	s_cbranch_execnz .LBB111_48
.LBB111_49:
	s_endpgm
	.section	.rodata,"a",@progbits
	.p2align	6, 0x0
	.amdhsa_kernel _ZN2at6native12_GLOBAL__N_125multi_tensor_apply_kernelINS1_28TensorListScalarListMetadataIaLi4EEENS1_28PointwiseOpScalarListFunctorIaLi4ELi3ELi3EEEJSt7dividesIaEEEEvT_T0_DpT1_
		.amdhsa_group_segment_fixed_size 0
		.amdhsa_private_segment_fixed_size 0
		.amdhsa_kernarg_size 3344
		.amdhsa_user_sgpr_count 6
		.amdhsa_user_sgpr_private_segment_buffer 1
		.amdhsa_user_sgpr_dispatch_ptr 0
		.amdhsa_user_sgpr_queue_ptr 0
		.amdhsa_user_sgpr_kernarg_segment_ptr 1
		.amdhsa_user_sgpr_dispatch_id 0
		.amdhsa_user_sgpr_flat_scratch_init 0
		.amdhsa_user_sgpr_private_segment_size 0
		.amdhsa_uses_dynamic_stack 0
		.amdhsa_system_sgpr_private_segment_wavefront_offset 0
		.amdhsa_system_sgpr_workgroup_id_x 1
		.amdhsa_system_sgpr_workgroup_id_y 0
		.amdhsa_system_sgpr_workgroup_id_z 0
		.amdhsa_system_sgpr_workgroup_info 0
		.amdhsa_system_vgpr_workitem_id 0
		.amdhsa_next_free_vgpr 56
		.amdhsa_next_free_sgpr 36
		.amdhsa_reserve_vcc 1
		.amdhsa_reserve_flat_scratch 0
		.amdhsa_float_round_mode_32 0
		.amdhsa_float_round_mode_16_64 0
		.amdhsa_float_denorm_mode_32 3
		.amdhsa_float_denorm_mode_16_64 3
		.amdhsa_dx10_clamp 1
		.amdhsa_ieee_mode 1
		.amdhsa_fp16_overflow 0
		.amdhsa_exception_fp_ieee_invalid_op 0
		.amdhsa_exception_fp_denorm_src 0
		.amdhsa_exception_fp_ieee_div_zero 0
		.amdhsa_exception_fp_ieee_overflow 0
		.amdhsa_exception_fp_ieee_underflow 0
		.amdhsa_exception_fp_ieee_inexact 0
		.amdhsa_exception_int_div_zero 0
	.end_amdhsa_kernel
	.section	.text._ZN2at6native12_GLOBAL__N_125multi_tensor_apply_kernelINS1_28TensorListScalarListMetadataIaLi4EEENS1_28PointwiseOpScalarListFunctorIaLi4ELi3ELi3EEEJSt7dividesIaEEEEvT_T0_DpT1_,"axG",@progbits,_ZN2at6native12_GLOBAL__N_125multi_tensor_apply_kernelINS1_28TensorListScalarListMetadataIaLi4EEENS1_28PointwiseOpScalarListFunctorIaLi4ELi3ELi3EEEJSt7dividesIaEEEEvT_T0_DpT1_,comdat
.Lfunc_end111:
	.size	_ZN2at6native12_GLOBAL__N_125multi_tensor_apply_kernelINS1_28TensorListScalarListMetadataIaLi4EEENS1_28PointwiseOpScalarListFunctorIaLi4ELi3ELi3EEEJSt7dividesIaEEEEvT_T0_DpT1_, .Lfunc_end111-_ZN2at6native12_GLOBAL__N_125multi_tensor_apply_kernelINS1_28TensorListScalarListMetadataIaLi4EEENS1_28PointwiseOpScalarListFunctorIaLi4ELi3ELi3EEEJSt7dividesIaEEEEvT_T0_DpT1_
                                        ; -- End function
	.set _ZN2at6native12_GLOBAL__N_125multi_tensor_apply_kernelINS1_28TensorListScalarListMetadataIaLi4EEENS1_28PointwiseOpScalarListFunctorIaLi4ELi3ELi3EEEJSt7dividesIaEEEEvT_T0_DpT1_.num_vgpr, 56
	.set _ZN2at6native12_GLOBAL__N_125multi_tensor_apply_kernelINS1_28TensorListScalarListMetadataIaLi4EEENS1_28PointwiseOpScalarListFunctorIaLi4ELi3ELi3EEEJSt7dividesIaEEEEvT_T0_DpT1_.num_agpr, 0
	.set _ZN2at6native12_GLOBAL__N_125multi_tensor_apply_kernelINS1_28TensorListScalarListMetadataIaLi4EEENS1_28PointwiseOpScalarListFunctorIaLi4ELi3ELi3EEEJSt7dividesIaEEEEvT_T0_DpT1_.numbered_sgpr, 36
	.set _ZN2at6native12_GLOBAL__N_125multi_tensor_apply_kernelINS1_28TensorListScalarListMetadataIaLi4EEENS1_28PointwiseOpScalarListFunctorIaLi4ELi3ELi3EEEJSt7dividesIaEEEEvT_T0_DpT1_.num_named_barrier, 0
	.set _ZN2at6native12_GLOBAL__N_125multi_tensor_apply_kernelINS1_28TensorListScalarListMetadataIaLi4EEENS1_28PointwiseOpScalarListFunctorIaLi4ELi3ELi3EEEJSt7dividesIaEEEEvT_T0_DpT1_.private_seg_size, 0
	.set _ZN2at6native12_GLOBAL__N_125multi_tensor_apply_kernelINS1_28TensorListScalarListMetadataIaLi4EEENS1_28PointwiseOpScalarListFunctorIaLi4ELi3ELi3EEEJSt7dividesIaEEEEvT_T0_DpT1_.uses_vcc, 1
	.set _ZN2at6native12_GLOBAL__N_125multi_tensor_apply_kernelINS1_28TensorListScalarListMetadataIaLi4EEENS1_28PointwiseOpScalarListFunctorIaLi4ELi3ELi3EEEJSt7dividesIaEEEEvT_T0_DpT1_.uses_flat_scratch, 0
	.set _ZN2at6native12_GLOBAL__N_125multi_tensor_apply_kernelINS1_28TensorListScalarListMetadataIaLi4EEENS1_28PointwiseOpScalarListFunctorIaLi4ELi3ELi3EEEJSt7dividesIaEEEEvT_T0_DpT1_.has_dyn_sized_stack, 0
	.set _ZN2at6native12_GLOBAL__N_125multi_tensor_apply_kernelINS1_28TensorListScalarListMetadataIaLi4EEENS1_28PointwiseOpScalarListFunctorIaLi4ELi3ELi3EEEJSt7dividesIaEEEEvT_T0_DpT1_.has_recursion, 0
	.set _ZN2at6native12_GLOBAL__N_125multi_tensor_apply_kernelINS1_28TensorListScalarListMetadataIaLi4EEENS1_28PointwiseOpScalarListFunctorIaLi4ELi3ELi3EEEJSt7dividesIaEEEEvT_T0_DpT1_.has_indirect_call, 0
	.section	.AMDGPU.csdata,"",@progbits
; Kernel info:
; codeLenInByte = 2416
; TotalNumSgprs: 40
; NumVgprs: 56
; ScratchSize: 0
; MemoryBound: 0
; FloatMode: 240
; IeeeMode: 1
; LDSByteSize: 0 bytes/workgroup (compile time only)
; SGPRBlocks: 4
; VGPRBlocks: 13
; NumSGPRsForWavesPerEU: 40
; NumVGPRsForWavesPerEU: 56
; Occupancy: 4
; WaveLimiterHint : 0
; COMPUTE_PGM_RSRC2:SCRATCH_EN: 0
; COMPUTE_PGM_RSRC2:USER_SGPR: 6
; COMPUTE_PGM_RSRC2:TRAP_HANDLER: 0
; COMPUTE_PGM_RSRC2:TGID_X_EN: 1
; COMPUTE_PGM_RSRC2:TGID_Y_EN: 0
; COMPUTE_PGM_RSRC2:TGID_Z_EN: 0
; COMPUTE_PGM_RSRC2:TIDIG_COMP_CNT: 0
	.section	.text._ZN2at6native12_GLOBAL__N_125multi_tensor_apply_kernelINS1_28TensorListScalarListMetadataIiLi4EEENS1_28PointwiseOpScalarListFunctorIiLi4ELi3ELi3EEEJSt7dividesIiEEEEvT_T0_DpT1_,"axG",@progbits,_ZN2at6native12_GLOBAL__N_125multi_tensor_apply_kernelINS1_28TensorListScalarListMetadataIiLi4EEENS1_28PointwiseOpScalarListFunctorIiLi4ELi3ELi3EEEJSt7dividesIiEEEEvT_T0_DpT1_,comdat
	.globl	_ZN2at6native12_GLOBAL__N_125multi_tensor_apply_kernelINS1_28TensorListScalarListMetadataIiLi4EEENS1_28PointwiseOpScalarListFunctorIiLi4ELi3ELi3EEEJSt7dividesIiEEEEvT_T0_DpT1_ ; -- Begin function _ZN2at6native12_GLOBAL__N_125multi_tensor_apply_kernelINS1_28TensorListScalarListMetadataIiLi4EEENS1_28PointwiseOpScalarListFunctorIiLi4ELi3ELi3EEEJSt7dividesIiEEEEvT_T0_DpT1_
	.p2align	8
	.type	_ZN2at6native12_GLOBAL__N_125multi_tensor_apply_kernelINS1_28TensorListScalarListMetadataIiLi4EEENS1_28PointwiseOpScalarListFunctorIiLi4ELi3ELi3EEEJSt7dividesIiEEEEvT_T0_DpT1_,@function
_ZN2at6native12_GLOBAL__N_125multi_tensor_apply_kernelINS1_28TensorListScalarListMetadataIiLi4EEENS1_28PointwiseOpScalarListFunctorIiLi4ELi3ELi3EEEJSt7dividesIiEEEEvT_T0_DpT1_: ; @_ZN2at6native12_GLOBAL__N_125multi_tensor_apply_kernelINS1_28TensorListScalarListMetadataIiLi4EEENS1_28PointwiseOpScalarListFunctorIiLi4ELi3ELi3EEEJSt7dividesIiEEEEvT_T0_DpT1_
; %bb.0:
	v_mov_b32_e32 v1, s6
	global_load_ubyte v1, v1, s[4:5] offset:1584
	s_add_u32 s0, s4, s6
	s_mul_i32 s1, s6, 3
	s_addc_u32 s2, s5, 0
	s_mul_hi_u32 s3, s6, 3
	s_add_u32 s0, s0, s1
	s_addc_u32 s1, s2, s3
	s_load_dword s8, s[0:1], 0x770
	s_mov_b32 s11, 0
	s_mov_b32 s13, s11
	;; [unrolled: 1-line block ×3, first 2 shown]
	s_waitcnt lgkmcnt(0)
	s_ashr_i32 s9, s8, 31
	s_waitcnt vmcnt(0)
	v_readfirstlane_b32 s0, v1
	v_lshlrev_b32_e32 v1, 2, v1
	s_lshl_b32 s6, s0, 3
	v_sub_co_u32_e32 v1, vcc, 0, v1
	v_subb_co_u32_e64 v2, s[0:1], 0, 0, vcc
	s_add_u32 s10, s4, s6
	s_load_dwordx2 s[30:31], s[4:5], s6 offset:0x480
	s_load_dwordx2 s[14:15], s[4:5], s6 offset:0x0
	;; [unrolled: 1-line block ×5, first 2 shown]
	s_addc_u32 s12, s5, 0
	s_lshl_b64 s[6:7], s[8:9], 18
	v_mov_b32_e32 v3, s12
	v_add_co_u32_e32 v1, vcc, s10, v1
	v_addc_co_u32_e32 v2, vcc, v3, v2, vcc
	s_waitcnt lgkmcnt(0)
	s_add_u32 s18, s14, s6
	v_readfirstlane_b32 s20, v1
	v_readfirstlane_b32 s21, v2
	s_addc_u32 s19, s15, s7
	s_and_b32 s10, s18, 15
	s_load_dword s20, s[20:21], 0x5a0
	s_add_u32 s21, s2, s6
	s_addc_u32 s22, s3, s7
	s_and_b32 s12, s21, 15
	s_cmp_eq_u64 s[12:13], 0
	s_cselect_b64 s[12:13], -1, 0
	s_add_u32 s23, s0, s6
	s_addc_u32 s24, s1, s7
	s_add_u32 s25, s16, s6
	s_addc_u32 s26, s17, s7
	s_or_b32 s27, s25, s23
	s_and_b32 s27, s27, 15
	s_cmp_eq_u32 s27, 0
	s_cselect_b64 s[34:35], -1, 0
	s_lshl_b64 s[8:9], s[8:9], 16
	s_and_b64 s[12:13], s[34:35], s[12:13]
	s_sub_u32 s8, s30, s8
	s_subb_u32 s9, s31, s9
	s_and_b32 s28, s30, 3
	s_or_b64 s[10:11], s[10:11], s[28:29]
	s_cmp_eq_u64 s[10:11], 0
	s_cselect_b64 s[10:11], -1, 0
	s_and_b64 s[12:13], s[12:13], s[10:11]
	s_mov_b64 s[10:11], -1
	s_and_b64 vcc, exec, s[12:13]
	s_cbranch_vccnz .LBB112_19
; %bb.1:
	v_cmp_lt_i64_e64 s[10:11], s[8:9], 1
	s_and_b64 vcc, exec, s[10:11]
	s_cbranch_vccnz .LBB112_18
; %bb.2:
	v_mov_b32_e32 v1, 0x10000
	s_load_dword s12, s[4:5], 0xc84
	v_mov_b32_e32 v2, 0
	v_cmp_lt_i64_e32 vcc, s[8:9], v[1:2]
	v_mov_b32_e32 v3, 0
	s_and_b64 s[10:11], vcc, exec
	s_cselect_b32 s11, s9, 0
	s_cselect_b32 s10, s8, 0x10000
	v_cmp_lt_u64_e32 vcc, s[8:9], v[1:2]
	s_waitcnt lgkmcnt(0)
	s_and_b32 s29, s12, 0xffff
	v_lshlrev_b32_e32 v2, 2, v0
	v_mad_u64_u32 v[3:4], s[30:31], s29, 12, v[2:3]
	s_and_b64 s[12:13], vcc, exec
	v_mov_b32_e32 v6, s17
	v_add_co_u32_e32 v5, vcc, s16, v3
	v_addc_co_u32_e32 v6, vcc, v6, v4, vcc
	v_mov_b32_e32 v8, s15
	v_add_co_u32_e32 v7, vcc, s14, v3
	v_addc_co_u32_e32 v8, vcc, v8, v4, vcc
	;; [unrolled: 3-line block ×3, first 2 shown]
	s_cselect_b32 s13, s9, 0
	s_cselect_b32 s12, s8, 0x10000
	s_lshl_b32 s33, s29, 1
	s_lshl_b32 s27, s29, 2
	;; [unrolled: 1-line block ×4, first 2 shown]
	v_mov_b32_e32 v12, s1
	v_add_co_u32_e32 v11, vcc, s0, v3
	s_add_u32 s34, s16, s27
	v_addc_co_u32_e32 v12, vcc, v12, v4, vcc
	s_addc_u32 s31, s17, 0
	v_add_co_u32_e32 v19, vcc, s30, v2
	v_mov_b32_e32 v3, s31
	v_addc_co_u32_e64 v20, s[30:31], 0, 0, vcc
	v_mov_b32_e32 v14, s17
	v_add_co_u32_e32 v13, vcc, s16, v19
	v_addc_co_u32_e32 v14, vcc, v14, v20, vcc
	v_mov_b32_e32 v16, s15
	v_add_co_u32_e32 v15, vcc, s14, v19
	v_addc_co_u32_e32 v16, vcc, v16, v20, vcc
	;; [unrolled: 3-line block ×7, first 2 shown]
	v_add_co_u32_e32 v27, vcc, s34, v2
	v_addc_co_u32_e32 v28, vcc, 0, v3, vcc
	v_mov_b32_e32 v4, s17
	v_add_co_u32_e32 v29, vcc, s16, v2
	v_addc_co_u32_e32 v30, vcc, 0, v4, vcc
	v_add_co_u32_e32 v31, vcc, s29, v0
	v_lshlrev_b32_e32 v1, 2, v31
	v_addc_co_u32_e64 v32, s[16:17], 0, 0, vcc
	v_mov_b32_e32 v2, s15
	v_add_co_u32_e32 v33, vcc, s14, v1
	v_addc_co_u32_e32 v34, vcc, 0, v2, vcc
	v_mov_b32_e32 v2, s3
	v_add_co_u32_e32 v35, vcc, s2, v1
	v_addc_co_u32_e32 v36, vcc, 0, v2, vcc
	v_mov_b32_e32 v2, s1
	v_add_co_u32_e32 v37, vcc, s0, v1
	s_mul_i32 s30, s29, 3
	v_addc_co_u32_e32 v38, vcc, 0, v2, vcc
	v_add_co_u32_e32 v39, vcc, s30, v0
	v_addc_co_u32_e64 v40, s[0:1], 0, 0, vcc
	v_add_co_u32_e32 v41, vcc, s33, v0
	s_mov_b64 s[14:15], 0
	v_addc_co_u32_e64 v42, s[0:1], 0, 0, vcc
	s_branch .LBB112_4
.LBB112_3:                              ;   in Loop: Header=BB112_4 Depth=1
	s_or_b64 exec, exec, s[0:1]
	v_mov_b32_e32 v52, s7
	v_add_co_u32_e32 v50, vcc, s6, v11
	v_addc_co_u32_e32 v51, vcc, v12, v52, vcc
	global_load_dword v50, v[50:51], off
	s_waitcnt vmcnt(1)
	v_sub_u32_e32 v57, 0, v49
	v_sub_u32_e32 v54, 0, v47
	v_xor_b32_e32 v55, v48, v49
	v_max_i32_e32 v49, v49, v57
	v_xor_b32_e32 v51, v45, v47
	v_sub_u32_e32 v56, 0, v48
	v_sub_u32_e32 v61, 0, v44
	v_max_i32_e32 v47, v47, v54
	v_cvt_f32_u32_e32 v57, v49
	v_sub_u32_e32 v53, 0, v45
	v_xor_b32_e32 v59, v43, v44
	v_max_i32_e32 v48, v48, v56
	v_max_i32_e32 v44, v44, v61
	v_cvt_f32_u32_e32 v56, v47
	v_max_i32_e32 v45, v45, v53
	v_ashrrev_i32_e32 v53, 31, v55
	v_ashrrev_i32_e32 v55, 31, v59
	v_cvt_f32_u32_e32 v59, v44
	v_rcp_iflag_f32_e32 v57, v57
	v_rcp_iflag_f32_e32 v56, v56
	v_sub_u32_e32 v58, 0, v46
	v_rcp_iflag_f32_e32 v59, v59
	v_mul_f32_e32 v57, 0x4f7ffffe, v57
	v_mul_f32_e32 v56, 0x4f7ffffe, v56
	v_cvt_u32_f32_e32 v57, v57
	v_cvt_u32_f32_e32 v56, v56
	v_mul_f32_e32 v59, 0x4f7ffffe, v59
	v_cvt_u32_f32_e32 v59, v59
	v_sub_u32_e32 v61, 0, v49
	v_max_i32_e32 v54, v46, v58
	v_sub_u32_e32 v58, 0, v47
	v_mul_lo_u32 v61, v61, v57
	v_mul_lo_u32 v58, v58, v56
	v_sub_u32_e32 v62, 0, v44
	v_mul_lo_u32 v62, v62, v59
	v_mul_hi_u32 v61, v57, v61
	v_sub_u32_e32 v60, 0, v43
	v_mul_hi_u32 v58, v56, v58
	v_max_i32_e32 v43, v43, v60
	v_mul_hi_u32 v60, v59, v62
	v_add_u32_e32 v57, v57, v61
	v_add_u32_e32 v56, v56, v58
	v_mul_hi_u32 v57, v48, v57
	v_mul_hi_u32 v56, v45, v56
	v_add_u32_e32 v58, v59, v60
	v_mul_hi_u32 v58, v43, v58
	v_mul_lo_u32 v61, v57, v49
	v_mul_lo_u32 v59, v56, v47
	v_add_u32_e32 v60, 1, v56
	v_mul_lo_u32 v62, v58, v44
	v_sub_u32_e32 v48, v48, v61
	v_sub_u32_e32 v45, v45, v59
	v_add_u32_e32 v59, 1, v57
	v_cmp_ge_u32_e64 s[0:1], v48, v49
	v_sub_u32_e32 v43, v43, v62
	v_cndmask_b32_e64 v57, v57, v59, s[0:1]
	v_sub_u32_e32 v59, v48, v49
	v_add_u32_e32 v61, 1, v58
	v_cmp_ge_u32_e64 s[2:3], v43, v44
	v_cndmask_b32_e64 v48, v48, v59, s[0:1]
	v_cndmask_b32_e64 v58, v58, v61, s[2:3]
	v_sub_u32_e32 v61, v43, v44
	v_cndmask_b32_e64 v43, v43, v61, s[2:3]
	v_cmp_ge_u32_e32 vcc, v45, v47
	v_cndmask_b32_e32 v56, v56, v60, vcc
	v_sub_u32_e32 v60, v45, v47
	v_cndmask_b32_e32 v45, v45, v60, vcc
	v_cmp_ge_u32_e32 vcc, v45, v47
	v_add_u32_e32 v60, 1, v56
	v_add_u32_e32 v62, 1, v57
	v_cndmask_b32_e32 v56, v56, v60, vcc
	v_cmp_ge_u32_e32 vcc, v48, v49
	v_cndmask_b32_e32 v48, v57, v62, vcc
	v_cmp_ge_u32_e32 vcc, v43, v44
	v_add_u32_e32 v45, 1, v58
	v_cndmask_b32_e32 v43, v58, v45, vcc
	v_xor_b32_e32 v43, v43, v55
	v_sub_u32_e32 v49, v43, v55
	v_ashrrev_i32_e32 v51, 31, v51
	s_waitcnt vmcnt(0)
	v_sub_u32_e32 v59, 0, v50
	v_max_i32_e32 v59, v50, v59
	v_cvt_f32_u32_e32 v61, v59
	v_sub_u32_e32 v44, 0, v59
	v_xor_b32_e32 v45, v56, v51
	v_xor_b32_e32 v48, v48, v53
	v_rcp_iflag_f32_e32 v47, v61
	v_sub_u32_e32 v45, v45, v51
	v_sub_u32_e32 v48, v48, v53
	s_add_u32 s14, s14, s27
	v_mul_f32_e32 v47, 0x4f7ffffe, v47
	v_cvt_u32_f32_e32 v47, v47
	s_addc_u32 s15, s15, 0
	v_mul_lo_u32 v44, v44, v47
	v_mul_hi_u32 v44, v47, v44
	v_add_u32_e32 v43, v47, v44
	v_mul_hi_u32 v47, v54, v43
	v_mad_u64_u32 v[43:44], s[0:1], v45, s20, v[2:3]
	v_mad_u64_u32 v[2:3], s[0:1], v48, s20, v[3:4]
	v_mul_lo_u32 v3, v47, v59
	v_xor_b32_e32 v44, v46, v50
	v_add_u32_e32 v45, 1, v47
	v_ashrrev_i32_e32 v44, 31, v44
	v_sub_u32_e32 v3, v54, v3
	v_cmp_ge_u32_e32 vcc, v3, v59
	v_sub_u32_e32 v46, v3, v59
	v_cndmask_b32_e32 v45, v47, v45, vcc
	v_cndmask_b32_e32 v3, v3, v46, vcc
	v_add_u32_e32 v46, 1, v45
	v_cmp_ge_u32_e32 vcc, v3, v59
	v_cndmask_b32_e32 v3, v45, v46, vcc
	v_xor_b32_e32 v3, v3, v44
	v_sub_u32_e32 v3, v3, v44
	v_mad_u64_u32 v[44:45], s[0:1], v49, s20, v[1:2]
	v_add_co_u32_e32 v45, vcc, s6, v29
	v_addc_co_u32_e32 v46, vcc, v30, v52, vcc
	global_store_dword v[45:46], v44, off
	v_add_co_u32_e32 v44, vcc, s6, v27
	v_addc_co_u32_e32 v45, vcc, v28, v52, vcc
	global_store_dword v[44:45], v43, off
	v_add_co_u32_e32 v43, vcc, s6, v13
	v_addc_co_u32_e32 v44, vcc, v14, v52, vcc
	v_add_co_u32_e32 v1, vcc, s6, v5
	global_store_dword v[43:44], v2, off
	v_addc_co_u32_e32 v2, vcc, v6, v52, vcc
	v_add_co_u32_e32 v21, vcc, s28, v21
	v_addc_co_u32_e32 v22, vcc, 0, v22, vcc
	v_add_co_u32_e32 v23, vcc, s28, v23
	;; [unrolled: 2-line block ×3, first 2 shown]
	v_addc_co_u32_e32 v26, vcc, 0, v26, vcc
	v_mad_u64_u32 v[3:4], s[0:1], v3, s20, v[4:5]
	v_add_co_u32_e32 v5, vcc, s28, v5
	v_addc_co_u32_e32 v6, vcc, 0, v6, vcc
	v_add_co_u32_e32 v13, vcc, s28, v13
	v_addc_co_u32_e32 v14, vcc, 0, v14, vcc
	;; [unrolled: 2-line block ×11, first 2 shown]
	global_store_dword v[1:2], v3, off
	v_add_co_u32_e32 v35, vcc, s28, v35
	v_mov_b32_e32 v1, s10
	v_addc_co_u32_e32 v36, vcc, 0, v36, vcc
	v_mov_b32_e32 v2, s11
	v_cmp_lt_i64_e32 vcc, s[14:15], v[1:2]
	v_add_co_u32_e64 v37, s[0:1], s28, v37
	v_addc_co_u32_e64 v38, s[0:1], 0, v38, s[0:1]
	s_cbranch_vccz .LBB112_18
.LBB112_4:                              ; =>This Inner Loop Header: Depth=1
	v_mov_b32_e32 v2, s15
	v_add_co_u32_e32 v1, vcc, s14, v0
	v_addc_co_u32_e32 v2, vcc, 0, v2, vcc
	v_cmp_gt_u64_e32 vcc, s[12:13], v[1:2]
	v_mov_b32_e32 v43, 0
	v_mov_b32_e32 v1, 0
	s_and_saveexec_b64 s[2:3], vcc
	s_cbranch_execz .LBB112_6
; %bb.5:                                ;   in Loop: Header=BB112_4 Depth=1
	v_mov_b32_e32 v1, s7
	v_add_co_u32_e64 v2, s[0:1], s6, v21
	v_addc_co_u32_e64 v3, s[0:1], v22, v1, s[0:1]
	v_add_co_u32_e64 v44, s[0:1], s6, v23
	v_addc_co_u32_e64 v45, s[0:1], v24, v1, s[0:1]
	global_load_dword v1, v[2:3], off
	global_load_dword v43, v[44:45], off
.LBB112_6:                              ;   in Loop: Header=BB112_4 Depth=1
	s_or_b64 exec, exec, s[2:3]
	v_mov_b32_e32 v45, 0
	v_mov_b32_e32 v44, 0
	s_and_saveexec_b64 s[0:1], vcc
	s_cbranch_execz .LBB112_8
; %bb.7:                                ;   in Loop: Header=BB112_4 Depth=1
	v_mov_b32_e32 v3, s7
	v_add_co_u32_e32 v2, vcc, s6, v25
	v_addc_co_u32_e32 v3, vcc, v26, v3, vcc
	global_load_dword v44, v[2:3], off
.LBB112_8:                              ;   in Loop: Header=BB112_4 Depth=1
	s_or_b64 exec, exec, s[0:1]
	v_mov_b32_e32 v3, s15
	v_add_co_u32_e32 v2, vcc, s14, v31
	v_addc_co_u32_e32 v3, vcc, v32, v3, vcc
	v_cmp_gt_u64_e32 vcc, s[12:13], v[2:3]
	v_mov_b32_e32 v2, 0
	s_and_saveexec_b64 s[2:3], vcc
	s_cbranch_execz .LBB112_10
; %bb.9:                                ;   in Loop: Header=BB112_4 Depth=1
	v_mov_b32_e32 v2, s7
	v_add_co_u32_e64 v3, s[0:1], s6, v33
	v_addc_co_u32_e64 v4, s[0:1], v34, v2, s[0:1]
	v_add_co_u32_e64 v46, s[0:1], s6, v35
	v_addc_co_u32_e64 v47, s[0:1], v36, v2, s[0:1]
	global_load_dword v2, v[3:4], off
	global_load_dword v45, v[46:47], off
.LBB112_10:                             ;   in Loop: Header=BB112_4 Depth=1
	s_or_b64 exec, exec, s[2:3]
	v_mov_b32_e32 v48, 0
	v_mov_b32_e32 v47, 0
	s_and_saveexec_b64 s[0:1], vcc
	s_cbranch_execz .LBB112_12
; %bb.11:                               ;   in Loop: Header=BB112_4 Depth=1
	v_mov_b32_e32 v4, s7
	v_add_co_u32_e32 v3, vcc, s6, v37
	v_addc_co_u32_e32 v4, vcc, v38, v4, vcc
	global_load_dword v47, v[3:4], off
.LBB112_12:                             ;   in Loop: Header=BB112_4 Depth=1
	s_or_b64 exec, exec, s[0:1]
	v_mov_b32_e32 v4, s15
	v_add_co_u32_e32 v3, vcc, s14, v41
	v_addc_co_u32_e32 v4, vcc, v42, v4, vcc
	v_cmp_gt_u64_e32 vcc, s[12:13], v[3:4]
	v_mov_b32_e32 v3, 0
	s_and_saveexec_b64 s[2:3], vcc
	s_cbranch_execz .LBB112_14
; %bb.13:                               ;   in Loop: Header=BB112_4 Depth=1
	v_mov_b32_e32 v3, s7
	v_add_co_u32_e64 v49, s[0:1], s6, v15
	v_addc_co_u32_e64 v50, s[0:1], v16, v3, s[0:1]
	v_add_co_u32_e64 v51, s[0:1], s6, v17
	v_addc_co_u32_e64 v52, s[0:1], v18, v3, s[0:1]
	global_load_dword v3, v[49:50], off
	global_load_dword v48, v[51:52], off
.LBB112_14:                             ;   in Loop: Header=BB112_4 Depth=1
	s_or_b64 exec, exec, s[2:3]
	v_mov_b32_e32 v46, 0
	v_mov_b32_e32 v49, 0
	s_and_saveexec_b64 s[0:1], vcc
	s_cbranch_execz .LBB112_16
; %bb.15:                               ;   in Loop: Header=BB112_4 Depth=1
	v_mov_b32_e32 v4, s7
	v_add_co_u32_e32 v49, vcc, s6, v19
	v_addc_co_u32_e32 v50, vcc, v20, v4, vcc
	global_load_dword v49, v[49:50], off
.LBB112_16:                             ;   in Loop: Header=BB112_4 Depth=1
	s_or_b64 exec, exec, s[0:1]
	v_mov_b32_e32 v4, s15
	v_add_co_u32_e32 v50, vcc, s14, v39
	v_addc_co_u32_e32 v51, vcc, v40, v4, vcc
	v_cmp_gt_u64_e32 vcc, s[12:13], v[50:51]
	v_mov_b32_e32 v4, 0
	s_and_saveexec_b64 s[0:1], vcc
	s_cbranch_execz .LBB112_3
; %bb.17:                               ;   in Loop: Header=BB112_4 Depth=1
	v_mov_b32_e32 v4, s7
	v_add_co_u32_e32 v50, vcc, s6, v7
	v_addc_co_u32_e32 v51, vcc, v8, v4, vcc
	v_add_co_u32_e32 v52, vcc, s6, v9
	v_addc_co_u32_e32 v53, vcc, v10, v4, vcc
	global_load_dword v4, v[50:51], off
	global_load_dword v46, v[52:53], off
	s_branch .LBB112_3
.LBB112_18:
	s_mov_b64 s[10:11], 0
.LBB112_19:
	s_andn2_b64 vcc, exec, s[10:11]
	s_cbranch_vccnz .LBB112_23
; %bb.20:
	v_mov_b32_e32 v1, 0x10000
	v_mov_b32_e32 v2, 0
	v_cmp_lt_i64_e32 vcc, s[8:9], v[1:2]
	v_mov_b32_e32 v2, 0
	s_and_b64 s[0:1], vcc, exec
	s_cselect_b32 s9, s9, 0
	s_cselect_b32 s8, s8, 0x10000
	v_lshlrev_b32_e32 v1, 2, v0
	v_cmp_gt_i64_e32 vcc, s[8:9], v[1:2]
	s_and_saveexec_b64 s[0:1], vcc
	s_cbranch_execz .LBB112_23
; %bb.21:
	s_load_dword s0, s[4:5], 0xc84
	v_mov_b32_e32 v1, v2
	v_lshlrev_b32_e32 v2, 4, v0
	s_mov_b64 s[10:11], 0
	s_waitcnt lgkmcnt(0)
	s_and_b32 s12, s0, 0xffff
	s_lshl_b32 s13, s12, 4
.LBB112_22:                             ; =>This Inner Loop Header: Depth=1
	v_add_co_u32_e64 v0, s[4:5], s12, v0
	v_mov_b32_e32 v4, s22
	v_add_co_u32_e32 v15, vcc, s21, v2
	v_addc_co_u32_e64 v1, s[4:5], 0, v1, s[4:5]
	v_mov_b32_e32 v3, s19
	v_mov_b32_e32 v5, s24
	v_add_co_u32_e64 v17, s[0:1], s23, v2
	v_mov_b32_e32 v6, s26
	v_add_co_u32_e64 v19, s[2:3], s25, v2
	v_add_co_u32_e64 v21, s[4:5], s18, v2
	v_addc_co_u32_e32 v16, vcc, 0, v4, vcc
	v_addc_co_u32_e64 v22, s[4:5], 0, v3, s[4:5]
	v_addc_co_u32_e64 v18, vcc, 0, v5, s[0:1]
	v_addc_co_u32_e64 v20, vcc, 0, v6, s[2:3]
	global_load_dwordx4 v[3:6], v[15:16], off
	global_load_dwordx4 v[7:10], v[17:18], off
	;; [unrolled: 1-line block ×3, first 2 shown]
	v_lshlrev_b64 v[23:24], 2, v[0:1]
	s_add_u32 s25, s25, s13
	v_cmp_le_i64_e32 vcc, s[8:9], v[23:24]
	s_addc_u32 s26, s26, 0
	s_add_u32 s18, s18, s13
	s_addc_u32 s19, s19, 0
	s_add_u32 s23, s23, s13
	;; [unrolled: 2-line block ×3, first 2 shown]
	s_addc_u32 s22, s22, 0
	s_or_b64 s[10:11], vcc, s[10:11]
	s_waitcnt vmcnt(2)
	v_sub_u32_e32 v22, 0, v4
	s_waitcnt vmcnt(1)
	v_sub_u32_e32 v18, 0, v7
	v_xor_b32_e32 v16, v3, v7
	v_sub_u32_e32 v23, 0, v8
	v_max_i32_e32 v7, v7, v18
	v_xor_b32_e32 v21, v4, v8
	v_xor_b32_e32 v24, v5, v9
	v_sub_u32_e32 v26, 0, v9
	v_max_i32_e32 v4, v4, v22
	v_max_i32_e32 v8, v8, v23
	v_cvt_f32_u32_e32 v22, v7
	v_sub_u32_e32 v29, 0, v10
	v_ashrrev_i32_e32 v18, 31, v24
	v_max_i32_e32 v9, v9, v26
	v_cvt_f32_u32_e32 v24, v8
	v_xor_b32_e32 v27, v6, v10
	v_sub_u32_e32 v28, 0, v6
	v_max_i32_e32 v10, v10, v29
	v_cvt_f32_u32_e32 v26, v9
	v_max_i32_e32 v6, v6, v28
	v_cvt_f32_u32_e32 v28, v10
	v_rcp_iflag_f32_e32 v22, v22
	v_rcp_iflag_f32_e32 v24, v24
	;; [unrolled: 1-line block ×4, first 2 shown]
	v_mul_f32_e32 v22, 0x4f7ffffe, v22
	v_mul_f32_e32 v24, 0x4f7ffffe, v24
	v_cvt_u32_f32_e32 v22, v22
	v_mul_f32_e32 v26, 0x4f7ffffe, v26
	v_cvt_u32_f32_e32 v24, v24
	;; [unrolled: 2-line block ×3, first 2 shown]
	v_sub_u32_e32 v25, 0, v5
	v_sub_u32_e32 v23, 0, v7
	v_cvt_u32_f32_e32 v28, v28
	v_sub_u32_e32 v17, 0, v3
	v_max_i32_e32 v5, v5, v25
	v_sub_u32_e32 v25, 0, v8
	v_mul_lo_u32 v23, v23, v22
	v_max_i32_e32 v3, v3, v17
	v_ashrrev_i32_e32 v17, 31, v21
	v_ashrrev_i32_e32 v21, 31, v27
	v_sub_u32_e32 v27, 0, v9
	v_mul_lo_u32 v25, v25, v24
	v_sub_u32_e32 v29, 0, v10
	v_mul_lo_u32 v27, v27, v26
	v_mul_lo_u32 v29, v29, v28
	v_mul_hi_u32 v23, v22, v23
	v_mul_hi_u32 v25, v24, v25
	;; [unrolled: 1-line block ×4, first 2 shown]
	v_add_u32_e32 v22, v22, v23
	v_add_u32_e32 v23, v24, v25
	v_mul_hi_u32 v22, v3, v22
	v_add_u32_e32 v24, v26, v27
	v_mul_hi_u32 v23, v4, v23
	;; [unrolled: 2-line block ×3, first 2 shown]
	v_mul_hi_u32 v25, v6, v25
	v_mul_lo_u32 v26, v22, v7
	v_mul_lo_u32 v28, v23, v8
	;; [unrolled: 1-line block ×4, first 2 shown]
	v_sub_u32_e32 v3, v3, v26
	v_add_u32_e32 v27, 1, v22
	v_sub_u32_e32 v4, v4, v28
	v_cmp_ge_u32_e64 s[0:1], v3, v7
	v_sub_u32_e32 v26, v3, v7
	v_add_u32_e32 v29, 1, v23
	v_sub_u32_e32 v5, v5, v30
	v_cndmask_b32_e64 v22, v22, v27, s[0:1]
	v_cmp_ge_u32_e64 s[2:3], v4, v8
	v_sub_u32_e32 v27, v4, v8
	v_cndmask_b32_e64 v3, v3, v26, s[0:1]
	v_add_u32_e32 v31, 1, v24
	v_sub_u32_e32 v6, v6, v32
	v_cndmask_b32_e64 v23, v23, v29, s[2:3]
	v_cmp_ge_u32_e64 s[4:5], v5, v9
	v_sub_u32_e32 v28, v5, v9
	v_add_u32_e32 v26, 1, v22
	v_cndmask_b32_e64 v4, v4, v27, s[2:3]
	v_cmp_ge_u32_e64 s[0:1], v3, v7
	v_add_u32_e32 v33, 1, v25
	v_cndmask_b32_e64 v24, v24, v31, s[4:5]
	v_cmp_ge_u32_e64 s[6:7], v6, v10
	v_sub_u32_e32 v29, v6, v10
	v_add_u32_e32 v27, 1, v23
	v_cndmask_b32_e64 v5, v5, v28, s[4:5]
	v_cndmask_b32_e64 v3, v22, v26, s[0:1]
	v_cmp_ge_u32_e64 s[0:1], v4, v8
	v_cndmask_b32_e64 v25, v25, v33, s[6:7]
	v_add_u32_e32 v28, 1, v24
	v_cndmask_b32_e64 v6, v6, v29, s[6:7]
	v_cndmask_b32_e64 v4, v23, v27, s[0:1]
	v_cmp_ge_u32_e64 s[0:1], v5, v9
	v_ashrrev_i32_e32 v16, 31, v16
	v_add_u32_e32 v29, 1, v25
	v_cndmask_b32_e64 v5, v24, v28, s[0:1]
	v_cmp_ge_u32_e64 s[0:1], v6, v10
	v_cndmask_b32_e64 v6, v25, v29, s[0:1]
	v_xor_b32_e32 v3, v3, v16
	v_xor_b32_e32 v4, v4, v17
	;; [unrolled: 1-line block ×4, first 2 shown]
	v_sub_u32_e32 v3, v3, v16
	s_waitcnt vmcnt(0)
	v_mov_b32_e32 v15, v14
	v_sub_u32_e32 v9, v4, v17
	v_sub_u32_e32 v10, v5, v18
	;; [unrolled: 1-line block ×3, first 2 shown]
	v_mad_u64_u32 v[3:4], s[0:1], v3, s20, v[11:12]
	v_mad_u64_u32 v[7:8], s[0:1], v5, s20, v[15:16]
	;; [unrolled: 1-line block ×4, first 2 shown]
	v_mov_b32_e32 v6, v7
	global_store_dwordx4 v[19:20], v[3:6], off
	s_andn2_b64 exec, exec, s[10:11]
	s_cbranch_execnz .LBB112_22
.LBB112_23:
	s_endpgm
	.section	.rodata,"a",@progbits
	.p2align	6, 0x0
	.amdhsa_kernel _ZN2at6native12_GLOBAL__N_125multi_tensor_apply_kernelINS1_28TensorListScalarListMetadataIiLi4EEENS1_28PointwiseOpScalarListFunctorIiLi4ELi3ELi3EEEJSt7dividesIiEEEEvT_T0_DpT1_
		.amdhsa_group_segment_fixed_size 0
		.amdhsa_private_segment_fixed_size 0
		.amdhsa_kernarg_size 3448
		.amdhsa_user_sgpr_count 6
		.amdhsa_user_sgpr_private_segment_buffer 1
		.amdhsa_user_sgpr_dispatch_ptr 0
		.amdhsa_user_sgpr_queue_ptr 0
		.amdhsa_user_sgpr_kernarg_segment_ptr 1
		.amdhsa_user_sgpr_dispatch_id 0
		.amdhsa_user_sgpr_flat_scratch_init 0
		.amdhsa_user_sgpr_private_segment_size 0
		.amdhsa_uses_dynamic_stack 0
		.amdhsa_system_sgpr_private_segment_wavefront_offset 0
		.amdhsa_system_sgpr_workgroup_id_x 1
		.amdhsa_system_sgpr_workgroup_id_y 0
		.amdhsa_system_sgpr_workgroup_id_z 0
		.amdhsa_system_sgpr_workgroup_info 0
		.amdhsa_system_vgpr_workitem_id 0
		.amdhsa_next_free_vgpr 63
		.amdhsa_next_free_sgpr 36
		.amdhsa_reserve_vcc 1
		.amdhsa_reserve_flat_scratch 0
		.amdhsa_float_round_mode_32 0
		.amdhsa_float_round_mode_16_64 0
		.amdhsa_float_denorm_mode_32 3
		.amdhsa_float_denorm_mode_16_64 3
		.amdhsa_dx10_clamp 1
		.amdhsa_ieee_mode 1
		.amdhsa_fp16_overflow 0
		.amdhsa_exception_fp_ieee_invalid_op 0
		.amdhsa_exception_fp_denorm_src 0
		.amdhsa_exception_fp_ieee_div_zero 0
		.amdhsa_exception_fp_ieee_overflow 0
		.amdhsa_exception_fp_ieee_underflow 0
		.amdhsa_exception_fp_ieee_inexact 0
		.amdhsa_exception_int_div_zero 0
	.end_amdhsa_kernel
	.section	.text._ZN2at6native12_GLOBAL__N_125multi_tensor_apply_kernelINS1_28TensorListScalarListMetadataIiLi4EEENS1_28PointwiseOpScalarListFunctorIiLi4ELi3ELi3EEEJSt7dividesIiEEEEvT_T0_DpT1_,"axG",@progbits,_ZN2at6native12_GLOBAL__N_125multi_tensor_apply_kernelINS1_28TensorListScalarListMetadataIiLi4EEENS1_28PointwiseOpScalarListFunctorIiLi4ELi3ELi3EEEJSt7dividesIiEEEEvT_T0_DpT1_,comdat
.Lfunc_end112:
	.size	_ZN2at6native12_GLOBAL__N_125multi_tensor_apply_kernelINS1_28TensorListScalarListMetadataIiLi4EEENS1_28PointwiseOpScalarListFunctorIiLi4ELi3ELi3EEEJSt7dividesIiEEEEvT_T0_DpT1_, .Lfunc_end112-_ZN2at6native12_GLOBAL__N_125multi_tensor_apply_kernelINS1_28TensorListScalarListMetadataIiLi4EEENS1_28PointwiseOpScalarListFunctorIiLi4ELi3ELi3EEEJSt7dividesIiEEEEvT_T0_DpT1_
                                        ; -- End function
	.set _ZN2at6native12_GLOBAL__N_125multi_tensor_apply_kernelINS1_28TensorListScalarListMetadataIiLi4EEENS1_28PointwiseOpScalarListFunctorIiLi4ELi3ELi3EEEJSt7dividesIiEEEEvT_T0_DpT1_.num_vgpr, 63
	.set _ZN2at6native12_GLOBAL__N_125multi_tensor_apply_kernelINS1_28TensorListScalarListMetadataIiLi4EEENS1_28PointwiseOpScalarListFunctorIiLi4ELi3ELi3EEEJSt7dividesIiEEEEvT_T0_DpT1_.num_agpr, 0
	.set _ZN2at6native12_GLOBAL__N_125multi_tensor_apply_kernelINS1_28TensorListScalarListMetadataIiLi4EEENS1_28PointwiseOpScalarListFunctorIiLi4ELi3ELi3EEEJSt7dividesIiEEEEvT_T0_DpT1_.numbered_sgpr, 36
	.set _ZN2at6native12_GLOBAL__N_125multi_tensor_apply_kernelINS1_28TensorListScalarListMetadataIiLi4EEENS1_28PointwiseOpScalarListFunctorIiLi4ELi3ELi3EEEJSt7dividesIiEEEEvT_T0_DpT1_.num_named_barrier, 0
	.set _ZN2at6native12_GLOBAL__N_125multi_tensor_apply_kernelINS1_28TensorListScalarListMetadataIiLi4EEENS1_28PointwiseOpScalarListFunctorIiLi4ELi3ELi3EEEJSt7dividesIiEEEEvT_T0_DpT1_.private_seg_size, 0
	.set _ZN2at6native12_GLOBAL__N_125multi_tensor_apply_kernelINS1_28TensorListScalarListMetadataIiLi4EEENS1_28PointwiseOpScalarListFunctorIiLi4ELi3ELi3EEEJSt7dividesIiEEEEvT_T0_DpT1_.uses_vcc, 1
	.set _ZN2at6native12_GLOBAL__N_125multi_tensor_apply_kernelINS1_28TensorListScalarListMetadataIiLi4EEENS1_28PointwiseOpScalarListFunctorIiLi4ELi3ELi3EEEJSt7dividesIiEEEEvT_T0_DpT1_.uses_flat_scratch, 0
	.set _ZN2at6native12_GLOBAL__N_125multi_tensor_apply_kernelINS1_28TensorListScalarListMetadataIiLi4EEENS1_28PointwiseOpScalarListFunctorIiLi4ELi3ELi3EEEJSt7dividesIiEEEEvT_T0_DpT1_.has_dyn_sized_stack, 0
	.set _ZN2at6native12_GLOBAL__N_125multi_tensor_apply_kernelINS1_28TensorListScalarListMetadataIiLi4EEENS1_28PointwiseOpScalarListFunctorIiLi4ELi3ELi3EEEJSt7dividesIiEEEEvT_T0_DpT1_.has_recursion, 0
	.set _ZN2at6native12_GLOBAL__N_125multi_tensor_apply_kernelINS1_28TensorListScalarListMetadataIiLi4EEENS1_28PointwiseOpScalarListFunctorIiLi4ELi3ELi3EEEJSt7dividesIiEEEEvT_T0_DpT1_.has_indirect_call, 0
	.section	.AMDGPU.csdata,"",@progbits
; Kernel info:
; codeLenInByte = 2864
; TotalNumSgprs: 40
; NumVgprs: 63
; ScratchSize: 0
; MemoryBound: 0
; FloatMode: 240
; IeeeMode: 1
; LDSByteSize: 0 bytes/workgroup (compile time only)
; SGPRBlocks: 4
; VGPRBlocks: 15
; NumSGPRsForWavesPerEU: 40
; NumVGPRsForWavesPerEU: 63
; Occupancy: 4
; WaveLimiterHint : 0
; COMPUTE_PGM_RSRC2:SCRATCH_EN: 0
; COMPUTE_PGM_RSRC2:USER_SGPR: 6
; COMPUTE_PGM_RSRC2:TRAP_HANDLER: 0
; COMPUTE_PGM_RSRC2:TGID_X_EN: 1
; COMPUTE_PGM_RSRC2:TGID_Y_EN: 0
; COMPUTE_PGM_RSRC2:TGID_Z_EN: 0
; COMPUTE_PGM_RSRC2:TIDIG_COMP_CNT: 0
	.section	.text._ZN2at6native12_GLOBAL__N_125multi_tensor_apply_kernelINS1_28TensorListScalarListMetadataIlLi4EEENS1_28PointwiseOpScalarListFunctorIlLi4ELi3ELi3EEEJSt7dividesIlEEEEvT_T0_DpT1_,"axG",@progbits,_ZN2at6native12_GLOBAL__N_125multi_tensor_apply_kernelINS1_28TensorListScalarListMetadataIlLi4EEENS1_28PointwiseOpScalarListFunctorIlLi4ELi3ELi3EEEJSt7dividesIlEEEEvT_T0_DpT1_,comdat
	.globl	_ZN2at6native12_GLOBAL__N_125multi_tensor_apply_kernelINS1_28TensorListScalarListMetadataIlLi4EEENS1_28PointwiseOpScalarListFunctorIlLi4ELi3ELi3EEEJSt7dividesIlEEEEvT_T0_DpT1_ ; -- Begin function _ZN2at6native12_GLOBAL__N_125multi_tensor_apply_kernelINS1_28TensorListScalarListMetadataIlLi4EEENS1_28PointwiseOpScalarListFunctorIlLi4ELi3ELi3EEEJSt7dividesIlEEEEvT_T0_DpT1_
	.p2align	8
	.type	_ZN2at6native12_GLOBAL__N_125multi_tensor_apply_kernelINS1_28TensorListScalarListMetadataIlLi4EEENS1_28PointwiseOpScalarListFunctorIlLi4ELi3ELi3EEEJSt7dividesIlEEEEvT_T0_DpT1_,@function
_ZN2at6native12_GLOBAL__N_125multi_tensor_apply_kernelINS1_28TensorListScalarListMetadataIlLi4EEENS1_28PointwiseOpScalarListFunctorIlLi4ELi3ELi3EEEJSt7dividesIlEEEEvT_T0_DpT1_: ; @_ZN2at6native12_GLOBAL__N_125multi_tensor_apply_kernelINS1_28TensorListScalarListMetadataIlLi4EEENS1_28PointwiseOpScalarListFunctorIlLi4ELi3ELi3EEEJSt7dividesIlEEEEvT_T0_DpT1_
; %bb.0:
	v_mov_b32_e32 v1, s6
	global_load_ubyte v1, v1, s[4:5] offset:1728
	s_add_u32 s0, s4, s6
	s_mul_hi_u32 s1, s6, 3
	s_mul_i32 s6, s6, 3
	s_addc_u32 s2, s5, 0
	s_add_u32 s0, s0, s6
	s_addc_u32 s1, s2, s1
	s_load_dword s28, s[0:1], 0x800
	s_mov_b32 s11, 0
	s_mov_b32 s9, s11
	;; [unrolled: 1-line block ×3, first 2 shown]
	s_waitcnt lgkmcnt(0)
	s_ashr_i32 s29, s28, 31
	s_waitcnt vmcnt(0)
	v_readfirstlane_b32 s0, v1
	s_lshl_b32 s6, s0, 3
	s_load_dwordx2 s[30:31], s[4:5], s6 offset:0x480
	s_load_dwordx2 s[2:3], s[4:5], s6 offset:0x5a0
	;; [unrolled: 1-line block ×6, first 2 shown]
	s_lshl_b64 s[6:7], s[28:29], 19
	s_waitcnt lgkmcnt(0)
	s_add_u32 s20, s16, s6
	s_addc_u32 s21, s17, s7
	s_and_b32 s10, s20, 31
	s_add_u32 s22, s14, s6
	s_addc_u32 s23, s15, s7
	s_and_b32 s8, s22, 31
	s_cmp_eq_u64 s[8:9], 0
	s_cselect_b64 s[8:9], -1, 0
	s_add_u32 s24, s0, s6
	s_addc_u32 s25, s1, s7
	s_add_u32 s26, s18, s6
	s_addc_u32 s27, s19, s7
	s_or_b32 s12, s26, s24
	s_and_b32 s12, s12, 31
	s_cmp_eq_u32 s12, 0
	s_cselect_b64 s[34:35], -1, 0
	s_lshl_b64 s[28:29], s[28:29], 16
	s_and_b64 s[34:35], s[34:35], s[8:9]
	s_sub_u32 s8, s30, s28
	s_subb_u32 s9, s31, s29
	s_and_b32 s12, s30, 3
	s_or_b64 s[10:11], s[10:11], s[12:13]
	s_cmp_eq_u64 s[10:11], 0
	s_cselect_b64 s[10:11], -1, 0
	s_and_b64 s[12:13], s[34:35], s[10:11]
	s_mov_b64 s[10:11], -1
	s_and_b64 vcc, exec, s[12:13]
	s_cbranch_vccnz .LBB113_35
; %bb.1:
	v_cmp_lt_i64_e64 s[10:11], s[8:9], 1
	s_and_b64 vcc, exec, s[10:11]
	s_cbranch_vccnz .LBB113_34
; %bb.2:
	v_mov_b32_e32 v2, 0x10000
	s_load_dword s12, s[4:5], 0xd14
	v_mov_b32_e32 v3, 0
	v_cmp_lt_i64_e32 vcc, s[8:9], v[2:3]
	v_mov_b32_e32 v1, 0
	s_and_b64 s[10:11], vcc, exec
	s_cselect_b32 s11, s9, 0
	s_cselect_b32 s10, s8, 0x10000
	v_cmp_lt_u64_e32 vcc, s[8:9], v[2:3]
	s_waitcnt lgkmcnt(0)
	s_and_b32 s33, s12, 0xffff
	v_lshlrev_b32_e32 v2, 3, v0
	v_mov_b32_e32 v3, v1
	v_mad_u64_u32 v[3:4], s[30:31], s33, 24, v[2:3]
	s_and_b64 s[12:13], vcc, exec
	v_mov_b32_e32 v7, s19
	v_add_co_u32_e32 v29, vcc, s18, v3
	v_addc_co_u32_e32 v30, vcc, v7, v4, vcc
	v_mov_b32_e32 v7, s17
	v_add_co_u32_e32 v31, vcc, s16, v3
	v_addc_co_u32_e32 v32, vcc, v7, v4, vcc
	;; [unrolled: 3-line block ×3, first 2 shown]
	s_cselect_b32 s13, s9, 0
	s_cselect_b32 s12, s8, 0x10000
	s_lshl_b32 s34, s33, 1
	s_lshl_b32 s28, s33, 2
	;; [unrolled: 1-line block ×3, first 2 shown]
	v_mov_b32_e32 v7, s1
	v_add_co_u32_e32 v35, vcc, s0, v3
	s_lshl_b32 s30, s33, 4
	s_lshl_b32 s31, s33, 3
	v_addc_co_u32_e32 v36, vcc, v7, v4, vcc
	s_add_u32 s35, s18, s31
	s_addc_u32 s31, s19, 0
	v_add_co_u32_e32 v8, vcc, s30, v2
	v_mov_b32_e32 v4, s31
	v_addc_co_u32_e64 v9, s[30:31], 0, 0, vcc
	v_mov_b32_e32 v10, s19
	v_add_co_u32_e32 v37, vcc, s18, v8
	v_addc_co_u32_e32 v38, vcc, v10, v9, vcc
	v_mov_b32_e32 v10, s17
	v_add_co_u32_e32 v39, vcc, s16, v8
	v_addc_co_u32_e32 v40, vcc, v10, v9, vcc
	;; [unrolled: 3-line block ×7, first 2 shown]
	v_add_co_u32_e32 v51, vcc, s35, v2
	v_addc_co_u32_e32 v52, vcc, 0, v4, vcc
	v_mov_b32_e32 v7, s19
	v_add_co_u32_e32 v53, vcc, s18, v2
	v_addc_co_u32_e32 v54, vcc, 0, v7, vcc
	v_add_co_u32_e32 v55, vcc, s33, v0
	v_lshlrev_b32_e32 v2, 3, v55
	v_addc_co_u32_e64 v56, s[18:19], 0, 0, vcc
	v_mov_b32_e32 v3, s17
	v_add_co_u32_e32 v57, vcc, s16, v2
	v_addc_co_u32_e32 v58, vcc, 0, v3, vcc
	v_mov_b32_e32 v3, s15
	v_add_co_u32_e32 v59, vcc, s14, v2
	v_addc_co_u32_e32 v60, vcc, 0, v3, vcc
	v_mov_b32_e32 v3, s1
	v_add_co_u32_e32 v61, vcc, s0, v2
	s_mul_i32 s30, s33, 3
	v_addc_co_u32_e32 v62, vcc, 0, v3, vcc
	v_add_co_u32_e32 v63, vcc, s30, v0
	v_addc_co_u32_e64 v64, s[0:1], 0, 0, vcc
	v_add_co_u32_e32 v65, vcc, s34, v0
	s_mov_b64 s[14:15], 0
	v_addc_co_u32_e64 v66, s[0:1], 0, 0, vcc
	s_branch .LBB113_4
.LBB113_3:                              ;   in Loop: Header=BB113_4 Depth=1
	s_or_b64 exec, exec, s[0:1]
	v_mad_u64_u32 v[7:8], s[0:1], v23, s2, v[13:14]
	v_mul_lo_u32 v2, v23, s3
	v_mul_lo_u32 v11, v24, s2
	v_mad_u64_u32 v[5:6], s[0:1], v15, s2, v[5:6]
	v_mul_lo_u32 v15, v15, s3
	v_add3_u32 v8, v11, v8, v2
	v_mad_u64_u32 v[2:3], s[0:1], v17, s2, v[3:4]
	v_mul_lo_u32 v4, v17, s3
	v_mul_lo_u32 v17, v18, s2
	;; [unrolled: 1-line block ×3, first 2 shown]
	v_mov_b32_e32 v13, s7
	v_add_co_u32_e32 v11, vcc, s6, v53
	v_mad_u64_u32 v[9:10], s[0:1], v21, s2, v[9:10]
	v_mul_lo_u32 v14, v21, s3
	v_mul_lo_u32 v19, v22, s2
	v_addc_co_u32_e32 v12, vcc, v54, v13, vcc
	v_add3_u32 v3, v17, v3, v4
	global_store_dwordx2 v[11:12], v[2:3], off
	v_add_co_u32_e32 v2, vcc, s6, v51
	v_add3_u32 v6, v16, v6, v15
	v_addc_co_u32_e32 v3, vcc, v52, v13, vcc
	global_store_dwordx2 v[2:3], v[5:6], off
	v_add_co_u32_e32 v2, vcc, s6, v37
	v_add3_u32 v10, v19, v10, v14
	v_addc_co_u32_e32 v3, vcc, v38, v13, vcc
	global_store_dwordx2 v[2:3], v[9:10], off
	v_add_co_u32_e32 v2, vcc, s6, v29
	v_addc_co_u32_e32 v3, vcc, v30, v13, vcc
	v_add_co_u32_e32 v45, vcc, s29, v45
	v_addc_co_u32_e32 v46, vcc, 0, v46, vcc
	;; [unrolled: 2-line block ×15, first 2 shown]
	global_store_dwordx2 v[2:3], v[7:8], off
	s_add_u32 s14, s14, s28
	v_add_co_u32_e32 v59, vcc, s29, v59
	v_mov_b32_e32 v2, s10
	s_addc_u32 s15, s15, 0
	v_addc_co_u32_e32 v60, vcc, 0, v60, vcc
	v_mov_b32_e32 v3, s11
	v_cmp_lt_i64_e32 vcc, s[14:15], v[2:3]
	v_add_co_u32_e64 v61, s[0:1], s29, v61
	v_addc_co_u32_e64 v62, s[0:1], 0, v62, s[0:1]
	s_cbranch_vccz .LBB113_34
.LBB113_4:                              ; =>This Inner Loop Header: Depth=1
	v_mov_b32_e32 v3, s15
	v_add_co_u32_e32 v2, vcc, s14, v0
	v_addc_co_u32_e32 v3, vcc, 0, v3, vcc
	v_cmp_gt_u64_e32 vcc, s[12:13], v[2:3]
	v_mov_b32_e32 v11, 0
	v_mov_b32_e32 v7, 0
	;; [unrolled: 1-line block ×6, first 2 shown]
	s_and_saveexec_b64 s[16:17], vcc
	s_cbranch_execz .LBB113_6
; %bb.5:                                ;   in Loop: Header=BB113_4 Depth=1
	v_mov_b32_e32 v2, s7
	v_add_co_u32_e64 v5, s[0:1], s6, v45
	v_addc_co_u32_e64 v6, s[0:1], v46, v2, s[0:1]
	v_add_co_u32_e64 v9, s[0:1], s6, v47
	v_addc_co_u32_e64 v10, s[0:1], v48, v2, s[0:1]
	global_load_dwordx2 v[3:4], v[5:6], off
	global_load_dwordx2 v[7:8], v[9:10], off
.LBB113_6:                              ;   in Loop: Header=BB113_4 Depth=1
	s_or_b64 exec, exec, s[16:17]
	s_and_saveexec_b64 s[0:1], vcc
	s_cbranch_execz .LBB113_8
; %bb.7:                                ;   in Loop: Header=BB113_4 Depth=1
	v_mov_b32_e32 v2, s7
	v_add_co_u32_e32 v5, vcc, s6, v49
	v_addc_co_u32_e32 v6, vcc, v50, v2, vcc
	global_load_dwordx2 v[11:12], v[5:6], off
.LBB113_8:                              ;   in Loop: Header=BB113_4 Depth=1
	s_or_b64 exec, exec, s[0:1]
	v_mov_b32_e32 v2, s15
	v_add_co_u32_e32 v5, vcc, s14, v55
	v_addc_co_u32_e32 v6, vcc, v56, v2, vcc
	v_cmp_gt_u64_e32 vcc, s[12:13], v[5:6]
	v_mov_b32_e32 v27, 0
	v_mov_b32_e32 v21, 0
	;; [unrolled: 1-line block ×6, first 2 shown]
	s_and_saveexec_b64 s[16:17], vcc
	s_cbranch_execz .LBB113_10
; %bb.9:                                ;   in Loop: Header=BB113_4 Depth=1
	v_mov_b32_e32 v2, s7
	v_add_co_u32_e64 v9, s[0:1], s6, v57
	v_addc_co_u32_e64 v10, s[0:1], v58, v2, s[0:1]
	v_add_co_u32_e64 v13, s[0:1], s6, v59
	v_addc_co_u32_e64 v14, s[0:1], v60, v2, s[0:1]
	global_load_dwordx2 v[5:6], v[9:10], off
	global_load_dwordx2 v[21:22], v[13:14], off
.LBB113_10:                             ;   in Loop: Header=BB113_4 Depth=1
	s_or_b64 exec, exec, s[16:17]
	s_and_saveexec_b64 s[0:1], vcc
	s_cbranch_execz .LBB113_12
; %bb.11:                               ;   in Loop: Header=BB113_4 Depth=1
	v_mov_b32_e32 v2, s7
	v_add_co_u32_e32 v9, vcc, s6, v61
	v_addc_co_u32_e32 v10, vcc, v62, v2, vcc
	global_load_dwordx2 v[27:28], v[9:10], off
.LBB113_12:                             ;   in Loop: Header=BB113_4 Depth=1
	s_or_b64 exec, exec, s[0:1]
	v_mov_b32_e32 v2, s15
	v_add_co_u32_e32 v9, vcc, s14, v65
	v_addc_co_u32_e32 v10, vcc, v66, v2, vcc
	v_cmp_gt_u64_e32 vcc, s[12:13], v[9:10]
	v_mov_b32_e32 v25, 0
	v_mov_b32_e32 v23, 0
	;; [unrolled: 1-line block ×6, first 2 shown]
	s_and_saveexec_b64 s[16:17], vcc
	s_cbranch_execz .LBB113_14
; %bb.13:                               ;   in Loop: Header=BB113_4 Depth=1
	v_mov_b32_e32 v2, s7
	v_add_co_u32_e64 v13, s[0:1], s6, v39
	v_addc_co_u32_e64 v14, s[0:1], v40, v2, s[0:1]
	v_add_co_u32_e64 v15, s[0:1], s6, v41
	v_addc_co_u32_e64 v16, s[0:1], v42, v2, s[0:1]
	global_load_dwordx2 v[9:10], v[13:14], off
	global_load_dwordx2 v[23:24], v[15:16], off
.LBB113_14:                             ;   in Loop: Header=BB113_4 Depth=1
	s_or_b64 exec, exec, s[16:17]
	s_and_saveexec_b64 s[0:1], vcc
	s_cbranch_execz .LBB113_16
; %bb.15:                               ;   in Loop: Header=BB113_4 Depth=1
	v_mov_b32_e32 v2, s7
	v_add_co_u32_e32 v13, vcc, s6, v43
	v_addc_co_u32_e32 v14, vcc, v44, v2, vcc
	global_load_dwordx2 v[25:26], v[13:14], off
.LBB113_16:                             ;   in Loop: Header=BB113_4 Depth=1
	s_or_b64 exec, exec, s[0:1]
	v_mov_b32_e32 v2, s15
	v_add_co_u32_e32 v13, vcc, s14, v63
	v_addc_co_u32_e32 v14, vcc, v64, v2, vcc
	v_cmp_gt_u64_e32 vcc, s[12:13], v[13:14]
	v_mov_b32_e32 v17, 0
	v_mov_b32_e32 v13, 0
	;; [unrolled: 1-line block ×4, first 2 shown]
	s_and_saveexec_b64 s[0:1], vcc
	s_cbranch_execz .LBB113_18
; %bb.17:                               ;   in Loop: Header=BB113_4 Depth=1
	v_mov_b32_e32 v2, s7
	v_add_co_u32_e32 v13, vcc, s6, v31
	v_addc_co_u32_e32 v14, vcc, v32, v2, vcc
	v_add_co_u32_e32 v15, vcc, s6, v33
	v_addc_co_u32_e32 v16, vcc, v34, v2, vcc
	global_load_dwordx2 v[13:14], v[13:14], off
	s_nop 0
	global_load_dwordx2 v[17:18], v[15:16], off
.LBB113_18:                             ;   in Loop: Header=BB113_4 Depth=1
	s_or_b64 exec, exec, s[0:1]
	v_mov_b32_e32 v2, s7
	v_add_co_u32_e32 v15, vcc, s6, v35
	v_addc_co_u32_e32 v16, vcc, v36, v2, vcc
	global_load_dwordx2 v[19:20], v[15:16], off
	s_waitcnt vmcnt(1)
	v_or_b32_e32 v2, v22, v28
	v_cmp_ne_u64_e32 vcc, 0, v[1:2]
                                        ; implicit-def: $vgpr15_vgpr16
	s_and_saveexec_b64 s[0:1], vcc
	s_xor_b64 s[16:17], exec, s[0:1]
	s_cbranch_execz .LBB113_20
; %bb.19:                               ;   in Loop: Header=BB113_4 Depth=1
	v_ashrrev_i32_e32 v2, 31, v28
	v_add_co_u32_e32 v15, vcc, v27, v2
	v_addc_co_u32_e32 v16, vcc, v28, v2, vcc
	v_xor_b32_e32 v69, v16, v2
	v_xor_b32_e32 v70, v15, v2
	v_cvt_f32_u32_e32 v15, v70
	v_cvt_f32_u32_e32 v16, v69
	v_sub_co_u32_e32 v68, vcc, 0, v70
	v_subb_co_u32_e32 v71, vcc, 0, v69, vcc
	v_mac_f32_e32 v15, 0x4f800000, v16
	v_rcp_f32_e32 v15, v15
	v_mul_f32_e32 v15, 0x5f7ffffc, v15
	v_mul_f32_e32 v16, 0x2f800000, v15
	v_trunc_f32_e32 v16, v16
	v_mac_f32_e32 v15, 0xcf800000, v16
	v_cvt_u32_f32_e32 v67, v15
	v_cvt_u32_f32_e32 v72, v16
	v_mul_lo_u32 v27, v71, v67
	v_mad_u64_u32 v[15:16], s[0:1], v68, v67, 0
	v_mul_lo_u32 v28, v68, v72
	v_add3_u32 v73, v16, v28, v27
	v_mad_u64_u32 v[27:28], s[0:1], v67, v73, 0
	v_mul_hi_u32 v16, v67, v15
	v_add_co_u32_e32 v74, vcc, v16, v27
	v_mad_u64_u32 v[15:16], s[0:1], v72, v15, 0
	v_addc_co_u32_e32 v75, vcc, 0, v28, vcc
	v_mad_u64_u32 v[27:28], s[0:1], v72, v73, 0
	v_add_co_u32_e32 v15, vcc, v74, v15
	v_addc_co_u32_e32 v15, vcc, v75, v16, vcc
	v_addc_co_u32_e32 v16, vcc, 0, v28, vcc
	v_add_co_u32_e32 v15, vcc, v15, v27
	v_addc_co_u32_e32 v16, vcc, 0, v16, vcc
	v_add_co_u32_e32 v73, vcc, v67, v15
	v_addc_co_u32_e32 v72, vcc, v72, v16, vcc
	v_mul_lo_u32 v27, v68, v72
	v_mul_lo_u32 v28, v71, v73
	v_mad_u64_u32 v[15:16], s[0:1], v68, v73, 0
	v_add3_u32 v16, v16, v27, v28
	v_mad_u64_u32 v[67:68], s[0:1], v73, v16, 0
	v_mul_hi_u32 v71, v73, v15
	v_mad_u64_u32 v[27:28], s[0:1], v72, v16, 0
	v_mad_u64_u32 v[15:16], s[0:1], v72, v15, 0
	v_add_co_u32_e32 v67, vcc, v71, v67
	v_addc_co_u32_e32 v68, vcc, 0, v68, vcc
	v_add_co_u32_e32 v15, vcc, v67, v15
	v_addc_co_u32_e32 v15, vcc, v68, v16, vcc
	v_addc_co_u32_e32 v16, vcc, 0, v28, vcc
	v_add_co_u32_e32 v15, vcc, v15, v27
	v_addc_co_u32_e32 v16, vcc, 0, v16, vcc
	v_add_co_u32_e32 v27, vcc, v73, v15
	v_addc_co_u32_e32 v28, vcc, v72, v16, vcc
	v_ashrrev_i32_e32 v67, 31, v22
	v_add_co_u32_e32 v15, vcc, v21, v67
	v_xor_b32_e32 v68, v15, v67
	v_addc_co_u32_e32 v21, vcc, v22, v67, vcc
	v_mad_u64_u32 v[15:16], s[0:1], v68, v28, 0
	v_mul_hi_u32 v22, v68, v27
	v_xor_b32_e32 v71, v21, v67
	v_xor_b32_e32 v2, v67, v2
	v_add_co_u32_e32 v72, vcc, v22, v15
	v_addc_co_u32_e32 v73, vcc, 0, v16, vcc
	v_mad_u64_u32 v[15:16], s[0:1], v71, v27, 0
	v_mad_u64_u32 v[21:22], s[0:1], v71, v28, 0
	v_add_co_u32_e32 v15, vcc, v72, v15
	v_addc_co_u32_e32 v15, vcc, v73, v16, vcc
	v_addc_co_u32_e32 v16, vcc, 0, v22, vcc
	v_add_co_u32_e32 v21, vcc, v15, v21
	v_addc_co_u32_e32 v22, vcc, 0, v16, vcc
	v_mul_lo_u32 v27, v69, v21
	v_mul_lo_u32 v28, v70, v22
	v_mad_u64_u32 v[15:16], s[0:1], v70, v21, 0
	v_add3_u32 v16, v16, v28, v27
	v_sub_u32_e32 v27, v71, v16
	v_sub_co_u32_e32 v15, vcc, v68, v15
	v_subb_co_u32_e64 v27, s[0:1], v27, v69, vcc
	v_sub_co_u32_e64 v28, s[0:1], v15, v70
	v_subbrev_co_u32_e64 v27, s[0:1], 0, v27, s[0:1]
	v_cmp_ge_u32_e64 s[0:1], v27, v69
	v_cndmask_b32_e64 v68, 0, -1, s[0:1]
	v_cmp_ge_u32_e64 s[0:1], v28, v70
	v_cndmask_b32_e64 v28, 0, -1, s[0:1]
	v_cmp_eq_u32_e64 s[0:1], v27, v69
	v_cndmask_b32_e64 v27, v68, v28, s[0:1]
	v_add_co_u32_e64 v28, s[0:1], 2, v21
	v_addc_co_u32_e64 v68, s[0:1], 0, v22, s[0:1]
	v_add_co_u32_e64 v72, s[0:1], 1, v21
	v_addc_co_u32_e64 v73, s[0:1], 0, v22, s[0:1]
	v_subb_co_u32_e32 v16, vcc, v71, v16, vcc
	v_cmp_ne_u32_e64 s[0:1], 0, v27
	v_cmp_ge_u32_e32 vcc, v16, v69
	v_cndmask_b32_e64 v27, v73, v68, s[0:1]
	v_cndmask_b32_e64 v68, 0, -1, vcc
	v_cmp_ge_u32_e32 vcc, v15, v70
	v_cndmask_b32_e64 v15, 0, -1, vcc
	v_cmp_eq_u32_e32 vcc, v16, v69
	v_cndmask_b32_e32 v15, v68, v15, vcc
	v_cmp_ne_u32_e32 vcc, 0, v15
	v_cndmask_b32_e64 v16, v72, v28, s[0:1]
	v_cndmask_b32_e32 v15, v22, v27, vcc
	v_cndmask_b32_e32 v16, v21, v16, vcc
	v_xor_b32_e32 v21, v15, v2
	v_xor_b32_e32 v15, v16, v2
	v_sub_co_u32_e32 v15, vcc, v15, v2
	v_subb_co_u32_e32 v16, vcc, v21, v2, vcc
                                        ; implicit-def: $vgpr27_vgpr28
                                        ; implicit-def: $vgpr21_vgpr22
.LBB113_20:                             ;   in Loop: Header=BB113_4 Depth=1
	s_andn2_saveexec_b64 s[0:1], s[16:17]
	s_cbranch_execz .LBB113_22
; %bb.21:                               ;   in Loop: Header=BB113_4 Depth=1
	v_cvt_f32_u32_e32 v2, v27
	v_sub_u32_e32 v15, 0, v27
	v_rcp_iflag_f32_e32 v2, v2
	v_mul_f32_e32 v2, 0x4f7ffffe, v2
	v_cvt_u32_f32_e32 v2, v2
	v_mul_lo_u32 v15, v15, v2
	v_mul_hi_u32 v15, v2, v15
	v_add_u32_e32 v2, v2, v15
	v_mul_hi_u32 v2, v21, v2
	v_mul_lo_u32 v15, v2, v27
	v_add_u32_e32 v16, 1, v2
	v_sub_u32_e32 v15, v21, v15
	v_sub_u32_e32 v21, v15, v27
	v_cmp_ge_u32_e32 vcc, v15, v27
	v_cndmask_b32_e32 v15, v15, v21, vcc
	v_cndmask_b32_e32 v2, v2, v16, vcc
	v_add_u32_e32 v16, 1, v2
	v_cmp_ge_u32_e32 vcc, v15, v27
	v_cndmask_b32_e32 v15, v2, v16, vcc
	v_mov_b32_e32 v16, v1
.LBB113_22:                             ;   in Loop: Header=BB113_4 Depth=1
	s_or_b64 exec, exec, s[0:1]
	v_or_b32_e32 v2, v24, v26
	v_cmp_ne_u64_e32 vcc, 0, v[1:2]
                                        ; implicit-def: $vgpr21_vgpr22
	s_and_saveexec_b64 s[0:1], vcc
	s_xor_b64 s[16:17], exec, s[0:1]
	s_cbranch_execz .LBB113_24
; %bb.23:                               ;   in Loop: Header=BB113_4 Depth=1
	v_ashrrev_i32_e32 v2, 31, v26
	v_add_co_u32_e32 v21, vcc, v25, v2
	v_addc_co_u32_e32 v22, vcc, v26, v2, vcc
	v_xor_b32_e32 v67, v22, v2
	v_xor_b32_e32 v68, v21, v2
	v_cvt_f32_u32_e32 v21, v68
	v_cvt_f32_u32_e32 v22, v67
	v_sub_co_u32_e32 v28, vcc, 0, v68
	v_subb_co_u32_e32 v69, vcc, 0, v67, vcc
	v_mac_f32_e32 v21, 0x4f800000, v22
	v_rcp_f32_e32 v21, v21
	v_mul_f32_e32 v21, 0x5f7ffffc, v21
	v_mul_f32_e32 v22, 0x2f800000, v21
	v_trunc_f32_e32 v22, v22
	v_mac_f32_e32 v21, 0xcf800000, v22
	v_cvt_u32_f32_e32 v27, v21
	v_cvt_u32_f32_e32 v70, v22
	v_mul_lo_u32 v25, v69, v27
	v_mad_u64_u32 v[21:22], s[0:1], v28, v27, 0
	v_mul_lo_u32 v26, v28, v70
	v_add3_u32 v71, v22, v26, v25
	v_mad_u64_u32 v[25:26], s[0:1], v27, v71, 0
	v_mul_hi_u32 v22, v27, v21
	v_add_co_u32_e32 v72, vcc, v22, v25
	v_mad_u64_u32 v[21:22], s[0:1], v70, v21, 0
	v_addc_co_u32_e32 v73, vcc, 0, v26, vcc
	v_mad_u64_u32 v[25:26], s[0:1], v70, v71, 0
	v_add_co_u32_e32 v21, vcc, v72, v21
	v_addc_co_u32_e32 v21, vcc, v73, v22, vcc
	v_addc_co_u32_e32 v22, vcc, 0, v26, vcc
	v_add_co_u32_e32 v21, vcc, v21, v25
	v_addc_co_u32_e32 v22, vcc, 0, v22, vcc
	v_add_co_u32_e32 v71, vcc, v27, v21
	v_addc_co_u32_e32 v70, vcc, v70, v22, vcc
	v_mul_lo_u32 v25, v28, v70
	v_mul_lo_u32 v26, v69, v71
	v_mad_u64_u32 v[21:22], s[0:1], v28, v71, 0
	v_add3_u32 v22, v22, v25, v26
	v_mad_u64_u32 v[27:28], s[0:1], v71, v22, 0
	v_mul_hi_u32 v69, v71, v21
	v_mad_u64_u32 v[25:26], s[0:1], v70, v22, 0
	v_mad_u64_u32 v[21:22], s[0:1], v70, v21, 0
	v_add_co_u32_e32 v27, vcc, v69, v27
	v_addc_co_u32_e32 v28, vcc, 0, v28, vcc
	v_add_co_u32_e32 v21, vcc, v27, v21
	v_addc_co_u32_e32 v21, vcc, v28, v22, vcc
	v_addc_co_u32_e32 v22, vcc, 0, v26, vcc
	v_add_co_u32_e32 v21, vcc, v21, v25
	v_addc_co_u32_e32 v22, vcc, 0, v22, vcc
	v_add_co_u32_e32 v25, vcc, v71, v21
	v_addc_co_u32_e32 v26, vcc, v70, v22, vcc
	v_ashrrev_i32_e32 v27, 31, v24
	v_add_co_u32_e32 v21, vcc, v23, v27
	v_xor_b32_e32 v28, v21, v27
	v_addc_co_u32_e32 v23, vcc, v24, v27, vcc
	v_mad_u64_u32 v[21:22], s[0:1], v28, v26, 0
	v_mul_hi_u32 v24, v28, v25
	v_xor_b32_e32 v69, v23, v27
	v_xor_b32_e32 v2, v27, v2
	v_add_co_u32_e32 v70, vcc, v24, v21
	v_addc_co_u32_e32 v71, vcc, 0, v22, vcc
	v_mad_u64_u32 v[21:22], s[0:1], v69, v25, 0
	v_mad_u64_u32 v[23:24], s[0:1], v69, v26, 0
	v_add_co_u32_e32 v21, vcc, v70, v21
	v_addc_co_u32_e32 v21, vcc, v71, v22, vcc
	v_addc_co_u32_e32 v22, vcc, 0, v24, vcc
	v_add_co_u32_e32 v23, vcc, v21, v23
	v_addc_co_u32_e32 v24, vcc, 0, v22, vcc
	v_mul_lo_u32 v25, v67, v23
	v_mul_lo_u32 v26, v68, v24
	v_mad_u64_u32 v[21:22], s[0:1], v68, v23, 0
	v_add3_u32 v22, v22, v26, v25
	v_sub_u32_e32 v25, v69, v22
	v_sub_co_u32_e32 v21, vcc, v28, v21
	v_subb_co_u32_e64 v25, s[0:1], v25, v67, vcc
	v_sub_co_u32_e64 v26, s[0:1], v21, v68
	v_subbrev_co_u32_e64 v25, s[0:1], 0, v25, s[0:1]
	v_cmp_ge_u32_e64 s[0:1], v25, v67
	v_cndmask_b32_e64 v28, 0, -1, s[0:1]
	v_cmp_ge_u32_e64 s[0:1], v26, v68
	v_cndmask_b32_e64 v26, 0, -1, s[0:1]
	v_cmp_eq_u32_e64 s[0:1], v25, v67
	v_cndmask_b32_e64 v25, v28, v26, s[0:1]
	v_add_co_u32_e64 v26, s[0:1], 2, v23
	v_addc_co_u32_e64 v28, s[0:1], 0, v24, s[0:1]
	v_add_co_u32_e64 v70, s[0:1], 1, v23
	v_addc_co_u32_e64 v71, s[0:1], 0, v24, s[0:1]
	v_subb_co_u32_e32 v22, vcc, v69, v22, vcc
	v_cmp_ne_u32_e64 s[0:1], 0, v25
	v_cmp_ge_u32_e32 vcc, v22, v67
	v_cndmask_b32_e64 v25, v71, v28, s[0:1]
	v_cndmask_b32_e64 v28, 0, -1, vcc
	v_cmp_ge_u32_e32 vcc, v21, v68
	v_cndmask_b32_e64 v21, 0, -1, vcc
	v_cmp_eq_u32_e32 vcc, v22, v67
	v_cndmask_b32_e32 v21, v28, v21, vcc
	v_cmp_ne_u32_e32 vcc, 0, v21
	v_cndmask_b32_e64 v22, v70, v26, s[0:1]
	v_cndmask_b32_e32 v21, v24, v25, vcc
	v_cndmask_b32_e32 v22, v23, v22, vcc
	v_xor_b32_e32 v23, v21, v2
	v_xor_b32_e32 v21, v22, v2
	v_sub_co_u32_e32 v21, vcc, v21, v2
	v_subb_co_u32_e32 v22, vcc, v23, v2, vcc
                                        ; implicit-def: $vgpr25_vgpr26
                                        ; implicit-def: $vgpr23_vgpr24
.LBB113_24:                             ;   in Loop: Header=BB113_4 Depth=1
	s_andn2_saveexec_b64 s[0:1], s[16:17]
	s_cbranch_execz .LBB113_26
; %bb.25:                               ;   in Loop: Header=BB113_4 Depth=1
	v_cvt_f32_u32_e32 v2, v25
	v_sub_u32_e32 v21, 0, v25
	v_rcp_iflag_f32_e32 v2, v2
	v_mul_f32_e32 v2, 0x4f7ffffe, v2
	v_cvt_u32_f32_e32 v2, v2
	v_mul_lo_u32 v21, v21, v2
	v_mul_hi_u32 v21, v2, v21
	v_add_u32_e32 v2, v2, v21
	v_mul_hi_u32 v2, v23, v2
	v_mul_lo_u32 v21, v2, v25
	v_add_u32_e32 v22, 1, v2
	v_sub_u32_e32 v21, v23, v21
	v_sub_u32_e32 v23, v21, v25
	v_cmp_ge_u32_e32 vcc, v21, v25
	v_cndmask_b32_e32 v21, v21, v23, vcc
	v_cndmask_b32_e32 v2, v2, v22, vcc
	v_add_u32_e32 v22, 1, v2
	v_cmp_ge_u32_e32 vcc, v21, v25
	v_cndmask_b32_e32 v21, v2, v22, vcc
	v_mov_b32_e32 v22, v1
.LBB113_26:                             ;   in Loop: Header=BB113_4 Depth=1
	s_or_b64 exec, exec, s[0:1]
	s_waitcnt vmcnt(0)
	v_or_b32_e32 v2, v18, v20
	v_cmp_ne_u64_e32 vcc, 0, v[1:2]
                                        ; implicit-def: $vgpr23_vgpr24
	s_and_saveexec_b64 s[0:1], vcc
	s_xor_b64 s[16:17], exec, s[0:1]
	s_cbranch_execz .LBB113_28
; %bb.27:                               ;   in Loop: Header=BB113_4 Depth=1
	v_ashrrev_i32_e32 v2, 31, v20
	v_add_co_u32_e32 v19, vcc, v19, v2
	v_addc_co_u32_e32 v20, vcc, v20, v2, vcc
	v_xor_b32_e32 v27, v20, v2
	v_xor_b32_e32 v28, v19, v2
	v_cvt_f32_u32_e32 v19, v28
	v_cvt_f32_u32_e32 v20, v27
	v_sub_co_u32_e32 v26, vcc, 0, v28
	v_subb_co_u32_e32 v67, vcc, 0, v27, vcc
	v_mac_f32_e32 v19, 0x4f800000, v20
	v_rcp_f32_e32 v19, v19
	v_mul_f32_e32 v19, 0x5f7ffffc, v19
	v_mul_f32_e32 v20, 0x2f800000, v19
	v_trunc_f32_e32 v20, v20
	v_mac_f32_e32 v19, 0xcf800000, v20
	v_cvt_u32_f32_e32 v25, v19
	v_cvt_u32_f32_e32 v68, v20
	v_mul_lo_u32 v23, v67, v25
	v_mad_u64_u32 v[19:20], s[0:1], v26, v25, 0
	v_mul_lo_u32 v24, v26, v68
	v_add3_u32 v69, v20, v24, v23
	v_mad_u64_u32 v[23:24], s[0:1], v25, v69, 0
	v_mul_hi_u32 v20, v25, v19
	v_add_co_u32_e32 v70, vcc, v20, v23
	v_mad_u64_u32 v[19:20], s[0:1], v68, v19, 0
	v_addc_co_u32_e32 v71, vcc, 0, v24, vcc
	v_mad_u64_u32 v[23:24], s[0:1], v68, v69, 0
	v_add_co_u32_e32 v19, vcc, v70, v19
	v_addc_co_u32_e32 v19, vcc, v71, v20, vcc
	v_addc_co_u32_e32 v20, vcc, 0, v24, vcc
	v_add_co_u32_e32 v19, vcc, v19, v23
	v_addc_co_u32_e32 v20, vcc, 0, v20, vcc
	v_add_co_u32_e32 v69, vcc, v25, v19
	v_addc_co_u32_e32 v68, vcc, v68, v20, vcc
	v_mul_lo_u32 v23, v26, v68
	v_mul_lo_u32 v24, v67, v69
	v_mad_u64_u32 v[19:20], s[0:1], v26, v69, 0
	v_add3_u32 v20, v20, v23, v24
	v_mad_u64_u32 v[25:26], s[0:1], v69, v20, 0
	v_mul_hi_u32 v67, v69, v19
	v_mad_u64_u32 v[23:24], s[0:1], v68, v20, 0
	v_mad_u64_u32 v[19:20], s[0:1], v68, v19, 0
	v_add_co_u32_e32 v25, vcc, v67, v25
	v_addc_co_u32_e32 v26, vcc, 0, v26, vcc
	v_add_co_u32_e32 v19, vcc, v25, v19
	v_addc_co_u32_e32 v19, vcc, v26, v20, vcc
	v_addc_co_u32_e32 v20, vcc, 0, v24, vcc
	v_add_co_u32_e32 v19, vcc, v19, v23
	v_addc_co_u32_e32 v20, vcc, 0, v20, vcc
	v_add_co_u32_e32 v19, vcc, v69, v19
	v_addc_co_u32_e32 v20, vcc, v68, v20, vcc
	v_ashrrev_i32_e32 v23, 31, v18
	v_add_co_u32_e32 v17, vcc, v17, v23
	v_xor_b32_e32 v25, v17, v23
	v_addc_co_u32_e32 v24, vcc, v18, v23, vcc
	v_mad_u64_u32 v[17:18], s[0:1], v25, v20, 0
	v_mul_hi_u32 v26, v25, v19
	v_xor_b32_e32 v24, v24, v23
	v_xor_b32_e32 v2, v23, v2
	v_add_co_u32_e32 v26, vcc, v26, v17
	v_addc_co_u32_e32 v67, vcc, 0, v18, vcc
	v_mad_u64_u32 v[17:18], s[0:1], v24, v19, 0
	v_mad_u64_u32 v[19:20], s[0:1], v24, v20, 0
	v_add_co_u32_e32 v17, vcc, v26, v17
	v_addc_co_u32_e32 v17, vcc, v67, v18, vcc
	v_addc_co_u32_e32 v18, vcc, 0, v20, vcc
	v_add_co_u32_e32 v19, vcc, v17, v19
	v_addc_co_u32_e32 v20, vcc, 0, v18, vcc
	v_mul_lo_u32 v26, v27, v19
	v_mul_lo_u32 v67, v28, v20
	v_mad_u64_u32 v[17:18], s[0:1], v28, v19, 0
	v_add3_u32 v18, v18, v67, v26
	v_sub_u32_e32 v26, v24, v18
	v_sub_co_u32_e32 v17, vcc, v25, v17
	v_subb_co_u32_e64 v25, s[0:1], v26, v27, vcc
	v_sub_co_u32_e64 v26, s[0:1], v17, v28
	v_subbrev_co_u32_e64 v25, s[0:1], 0, v25, s[0:1]
	v_cmp_ge_u32_e64 s[0:1], v25, v27
	v_cndmask_b32_e64 v67, 0, -1, s[0:1]
	v_cmp_ge_u32_e64 s[0:1], v26, v28
	v_cndmask_b32_e64 v26, 0, -1, s[0:1]
	v_cmp_eq_u32_e64 s[0:1], v25, v27
	v_cndmask_b32_e64 v25, v67, v26, s[0:1]
	v_add_co_u32_e64 v26, s[0:1], 2, v19
	v_subb_co_u32_e32 v18, vcc, v24, v18, vcc
	v_addc_co_u32_e64 v67, s[0:1], 0, v20, s[0:1]
	v_cmp_ge_u32_e32 vcc, v18, v27
	v_add_co_u32_e64 v68, s[0:1], 1, v19
	v_cndmask_b32_e64 v24, 0, -1, vcc
	v_cmp_ge_u32_e32 vcc, v17, v28
	v_addc_co_u32_e64 v69, s[0:1], 0, v20, s[0:1]
	v_cndmask_b32_e64 v17, 0, -1, vcc
	v_cmp_eq_u32_e32 vcc, v18, v27
	v_cmp_ne_u32_e64 s[0:1], 0, v25
	v_cndmask_b32_e32 v17, v24, v17, vcc
	v_cmp_ne_u32_e32 vcc, 0, v17
	v_cndmask_b32_e64 v18, v68, v26, s[0:1]
	v_cndmask_b32_e64 v25, v69, v67, s[0:1]
	v_cndmask_b32_e32 v18, v19, v18, vcc
	v_cndmask_b32_e32 v17, v20, v25, vcc
	v_xor_b32_e32 v18, v18, v2
	v_xor_b32_e32 v17, v17, v2
	v_sub_co_u32_e32 v23, vcc, v18, v2
	v_subb_co_u32_e32 v24, vcc, v17, v2, vcc
                                        ; implicit-def: $vgpr19_vgpr20
                                        ; implicit-def: $vgpr17_vgpr18
.LBB113_28:                             ;   in Loop: Header=BB113_4 Depth=1
	s_andn2_saveexec_b64 s[0:1], s[16:17]
	s_cbranch_execz .LBB113_30
; %bb.29:                               ;   in Loop: Header=BB113_4 Depth=1
	v_cvt_f32_u32_e32 v2, v19
	v_sub_u32_e32 v18, 0, v19
	v_mov_b32_e32 v24, v1
	v_rcp_iflag_f32_e32 v2, v2
	v_mul_f32_e32 v2, 0x4f7ffffe, v2
	v_cvt_u32_f32_e32 v2, v2
	v_mul_lo_u32 v18, v18, v2
	v_mul_hi_u32 v18, v2, v18
	v_add_u32_e32 v2, v2, v18
	v_mul_hi_u32 v2, v17, v2
	v_mul_lo_u32 v18, v2, v19
	v_add_u32_e32 v20, 1, v2
	v_sub_u32_e32 v17, v17, v18
	v_sub_u32_e32 v18, v17, v19
	v_cmp_ge_u32_e32 vcc, v17, v19
	v_cndmask_b32_e32 v17, v17, v18, vcc
	v_cndmask_b32_e32 v2, v2, v20, vcc
	v_add_u32_e32 v18, 1, v2
	v_cmp_ge_u32_e32 vcc, v17, v19
	v_cndmask_b32_e32 v23, v2, v18, vcc
.LBB113_30:                             ;   in Loop: Header=BB113_4 Depth=1
	s_or_b64 exec, exec, s[0:1]
	v_or_b32_e32 v2, v8, v12
	v_cmp_ne_u64_e32 vcc, 0, v[1:2]
                                        ; implicit-def: $vgpr17_vgpr18
	s_and_saveexec_b64 s[0:1], vcc
	s_xor_b64 s[16:17], exec, s[0:1]
	s_cbranch_execz .LBB113_32
; %bb.31:                               ;   in Loop: Header=BB113_4 Depth=1
	v_ashrrev_i32_e32 v2, 31, v12
	v_add_co_u32_e32 v11, vcc, v11, v2
	v_addc_co_u32_e32 v12, vcc, v12, v2, vcc
	v_xor_b32_e32 v25, v12, v2
	v_xor_b32_e32 v26, v11, v2
	v_cvt_f32_u32_e32 v11, v26
	v_cvt_f32_u32_e32 v12, v25
	v_sub_co_u32_e32 v20, vcc, 0, v26
	v_subb_co_u32_e32 v27, vcc, 0, v25, vcc
	v_mac_f32_e32 v11, 0x4f800000, v12
	v_rcp_f32_e32 v11, v11
	v_mul_f32_e32 v11, 0x5f7ffffc, v11
	v_mul_f32_e32 v12, 0x2f800000, v11
	v_trunc_f32_e32 v12, v12
	v_mac_f32_e32 v11, 0xcf800000, v12
	v_cvt_u32_f32_e32 v19, v11
	v_cvt_u32_f32_e32 v28, v12
	v_mul_lo_u32 v17, v27, v19
	v_mad_u64_u32 v[11:12], s[0:1], v20, v19, 0
	v_mul_lo_u32 v18, v20, v28
	v_add3_u32 v67, v12, v18, v17
	v_mad_u64_u32 v[17:18], s[0:1], v19, v67, 0
	v_mul_hi_u32 v12, v19, v11
	v_add_co_u32_e32 v68, vcc, v12, v17
	v_mad_u64_u32 v[11:12], s[0:1], v28, v11, 0
	v_addc_co_u32_e32 v69, vcc, 0, v18, vcc
	v_mad_u64_u32 v[17:18], s[0:1], v28, v67, 0
	v_add_co_u32_e32 v11, vcc, v68, v11
	v_addc_co_u32_e32 v11, vcc, v69, v12, vcc
	v_addc_co_u32_e32 v12, vcc, 0, v18, vcc
	v_add_co_u32_e32 v11, vcc, v11, v17
	v_addc_co_u32_e32 v12, vcc, 0, v12, vcc
	v_add_co_u32_e32 v67, vcc, v19, v11
	v_addc_co_u32_e32 v28, vcc, v28, v12, vcc
	v_mul_lo_u32 v17, v20, v28
	v_mul_lo_u32 v18, v27, v67
	v_mad_u64_u32 v[11:12], s[0:1], v20, v67, 0
	v_add3_u32 v12, v12, v17, v18
	v_mad_u64_u32 v[19:20], s[0:1], v67, v12, 0
	v_mul_hi_u32 v27, v67, v11
	v_mad_u64_u32 v[17:18], s[0:1], v28, v12, 0
	v_mad_u64_u32 v[11:12], s[0:1], v28, v11, 0
	v_add_co_u32_e32 v19, vcc, v27, v19
	v_addc_co_u32_e32 v20, vcc, 0, v20, vcc
	v_add_co_u32_e32 v11, vcc, v19, v11
	v_addc_co_u32_e32 v11, vcc, v20, v12, vcc
	v_addc_co_u32_e32 v12, vcc, 0, v18, vcc
	v_add_co_u32_e32 v11, vcc, v11, v17
	v_addc_co_u32_e32 v12, vcc, 0, v12, vcc
	v_add_co_u32_e32 v11, vcc, v67, v11
	v_addc_co_u32_e32 v12, vcc, v28, v12, vcc
	v_ashrrev_i32_e32 v17, 31, v8
	v_add_co_u32_e32 v7, vcc, v7, v17
	v_xor_b32_e32 v19, v7, v17
	v_addc_co_u32_e32 v18, vcc, v8, v17, vcc
	v_mad_u64_u32 v[7:8], s[0:1], v19, v12, 0
	v_mul_hi_u32 v20, v19, v11
	v_xor_b32_e32 v18, v18, v17
	v_xor_b32_e32 v2, v17, v2
	v_add_co_u32_e32 v20, vcc, v20, v7
	v_addc_co_u32_e32 v27, vcc, 0, v8, vcc
	v_mad_u64_u32 v[7:8], s[0:1], v18, v11, 0
	v_mad_u64_u32 v[11:12], s[0:1], v18, v12, 0
	v_add_co_u32_e32 v7, vcc, v20, v7
	v_addc_co_u32_e32 v7, vcc, v27, v8, vcc
	v_addc_co_u32_e32 v8, vcc, 0, v12, vcc
	v_add_co_u32_e32 v11, vcc, v7, v11
	v_addc_co_u32_e32 v12, vcc, 0, v8, vcc
	v_mul_lo_u32 v20, v25, v11
	v_mul_lo_u32 v27, v26, v12
	v_mad_u64_u32 v[7:8], s[0:1], v26, v11, 0
	v_add3_u32 v8, v8, v27, v20
	v_sub_u32_e32 v20, v18, v8
	v_sub_co_u32_e32 v7, vcc, v19, v7
	v_subb_co_u32_e64 v19, s[0:1], v20, v25, vcc
	v_sub_co_u32_e64 v20, s[0:1], v7, v26
	v_subbrev_co_u32_e64 v19, s[0:1], 0, v19, s[0:1]
	v_cmp_ge_u32_e64 s[0:1], v19, v25
	v_cndmask_b32_e64 v27, 0, -1, s[0:1]
	v_cmp_ge_u32_e64 s[0:1], v20, v26
	v_cndmask_b32_e64 v20, 0, -1, s[0:1]
	v_cmp_eq_u32_e64 s[0:1], v19, v25
	v_cndmask_b32_e64 v19, v27, v20, s[0:1]
	v_add_co_u32_e64 v20, s[0:1], 2, v11
	v_subb_co_u32_e32 v8, vcc, v18, v8, vcc
	v_addc_co_u32_e64 v27, s[0:1], 0, v12, s[0:1]
	v_cmp_ge_u32_e32 vcc, v8, v25
	v_add_co_u32_e64 v28, s[0:1], 1, v11
	v_cndmask_b32_e64 v18, 0, -1, vcc
	v_cmp_ge_u32_e32 vcc, v7, v26
	v_addc_co_u32_e64 v67, s[0:1], 0, v12, s[0:1]
	v_cndmask_b32_e64 v7, 0, -1, vcc
	v_cmp_eq_u32_e32 vcc, v8, v25
	v_cmp_ne_u32_e64 s[0:1], 0, v19
	v_cndmask_b32_e32 v7, v18, v7, vcc
	v_cmp_ne_u32_e32 vcc, 0, v7
	v_cndmask_b32_e64 v8, v28, v20, s[0:1]
	v_cndmask_b32_e64 v19, v67, v27, s[0:1]
	v_cndmask_b32_e32 v8, v11, v8, vcc
	v_cndmask_b32_e32 v7, v12, v19, vcc
	v_xor_b32_e32 v8, v8, v2
	v_xor_b32_e32 v7, v7, v2
	v_sub_co_u32_e32 v17, vcc, v8, v2
	v_subb_co_u32_e32 v18, vcc, v7, v2, vcc
                                        ; implicit-def: $vgpr11_vgpr12
                                        ; implicit-def: $vgpr7_vgpr8
.LBB113_32:                             ;   in Loop: Header=BB113_4 Depth=1
	s_andn2_saveexec_b64 s[0:1], s[16:17]
	s_cbranch_execz .LBB113_3
; %bb.33:                               ;   in Loop: Header=BB113_4 Depth=1
	v_cvt_f32_u32_e32 v2, v11
	v_sub_u32_e32 v8, 0, v11
	v_mov_b32_e32 v18, v1
	v_rcp_iflag_f32_e32 v2, v2
	v_mul_f32_e32 v2, 0x4f7ffffe, v2
	v_cvt_u32_f32_e32 v2, v2
	v_mul_lo_u32 v8, v8, v2
	v_mul_hi_u32 v8, v2, v8
	v_add_u32_e32 v2, v2, v8
	v_mul_hi_u32 v2, v7, v2
	v_mul_lo_u32 v8, v2, v11
	v_add_u32_e32 v12, 1, v2
	v_sub_u32_e32 v7, v7, v8
	v_sub_u32_e32 v8, v7, v11
	v_cmp_ge_u32_e32 vcc, v7, v11
	v_cndmask_b32_e32 v7, v7, v8, vcc
	v_cndmask_b32_e32 v2, v2, v12, vcc
	v_add_u32_e32 v8, 1, v2
	v_cmp_ge_u32_e32 vcc, v7, v11
	v_cndmask_b32_e32 v17, v2, v8, vcc
	s_branch .LBB113_3
.LBB113_34:
	s_mov_b64 s[10:11], 0
.LBB113_35:
	s_andn2_b64 vcc, exec, s[10:11]
	s_cbranch_vccnz .LBB113_55
; %bb.36:
	v_mov_b32_e32 v1, 0x10000
	v_mov_b32_e32 v2, 0
	v_cmp_lt_i64_e32 vcc, s[8:9], v[1:2]
	v_mov_b32_e32 v26, 0
	s_and_b64 s[0:1], vcc, exec
	s_cselect_b32 s7, s9, 0
	s_cselect_b32 s6, s8, 0x10000
	v_lshlrev_b32_e32 v1, 2, v0
	v_mov_b32_e32 v2, v26
	v_cmp_gt_i64_e32 vcc, s[6:7], v[1:2]
	s_and_saveexec_b64 s[0:1], vcc
	s_cbranch_execz .LBB113_55
; %bb.37:
	s_load_dword s0, s[4:5], 0xd14
	v_mov_b32_e32 v1, v26
	v_lshlrev_b32_e32 v30, 5, v0
	s_mov_b64 s[4:5], 0
	s_waitcnt lgkmcnt(0)
	s_and_b32 s10, s0, 0xffff
	s_lshl_b32 s11, s10, 5
	s_branch .LBB113_39
.LBB113_38:                             ;   in Loop: Header=BB113_39 Depth=1
	s_or_b64 exec, exec, s[0:1]
	v_mul_lo_u32 v14, v18, s3
	s_waitcnt vmcnt(0)
	v_mad_u64_u32 v[8:9], s[0:1], v18, s2, v[8:9]
	v_mul_lo_u32 v18, v10, s3
	v_mul_lo_u32 v11, v11, s2
	v_mad_u64_u32 v[4:5], s[0:1], v10, s2, v[4:5]
	v_mul_lo_u32 v15, v19, s2
	v_mul_lo_u32 v16, v28, s3
	;; [unrolled: 1-line block ×3, first 2 shown]
	v_mad_u64_u32 v[6:7], s[0:1], v28, s2, v[6:7]
	v_add3_u32 v5, v11, v5, v18
	v_mov_b32_e32 v11, s27
	v_add_co_u32_e32 v10, vcc, s26, v30
	s_add_u32 s26, s26, s11
	v_addc_co_u32_e32 v11, vcc, 0, v11, vcc
	s_addc_u32 s27, s27, 0
	v_add_co_u32_e32 v0, vcc, s10, v0
	s_add_u32 s20, s20, s11
	v_add3_u32 v9, v15, v9, v14
	v_add3_u32 v7, v17, v7, v16
	v_addc_co_u32_e32 v1, vcc, 0, v1, vcc
	s_addc_u32 s21, s21, 0
	v_mul_lo_u32 v12, v20, s3
	v_mul_lo_u32 v13, v21, s2
	v_mad_u64_u32 v[2:3], s[0:1], v20, s2, v[2:3]
	global_store_dwordx4 v[10:11], v[6:9], off
	s_add_u32 s24, s24, s11
	v_lshlrev_b64 v[6:7], 2, v[0:1]
	s_addc_u32 s25, s25, 0
	s_add_u32 s22, s22, s11
	v_cmp_le_i64_e32 vcc, s[6:7], v[6:7]
	s_addc_u32 s23, s23, 0
	v_add3_u32 v3, v13, v3, v12
	s_or_b64 s[4:5], vcc, s[4:5]
	global_store_dwordx4 v[10:11], v[2:5], off offset:16
	s_andn2_b64 exec, exec, s[4:5]
	s_cbranch_execz .LBB113_55
.LBB113_39:                             ; =>This Inner Loop Header: Depth=1
	v_mov_b32_e32 v3, s23
	v_add_co_u32_e32 v2, vcc, s22, v30
	v_addc_co_u32_e32 v3, vcc, 0, v3, vcc
	global_load_dwordx4 v[10:13], v[2:3], off offset:16
	global_load_dwordx4 v[18:21], v[2:3], off
	v_mov_b32_e32 v3, s25
	v_add_co_u32_e32 v2, vcc, s24, v30
	v_addc_co_u32_e32 v3, vcc, 0, v3, vcc
	global_load_dwordx4 v[14:17], v[2:3], off offset:16
	global_load_dwordx4 v[22:25], v[2:3], off
	;; [unrolled: 5-line block ×3, first 2 shown]
                                        ; implicit-def: $vgpr28_vgpr29
	s_waitcnt vmcnt(2)
	v_or_b32_e32 v27, v19, v23
	v_cmp_ne_u64_e32 vcc, 0, v[26:27]
	s_and_saveexec_b64 s[0:1], vcc
	s_xor_b64 s[8:9], exec, s[0:1]
	s_cbranch_execz .LBB113_41
; %bb.40:                               ;   in Loop: Header=BB113_39 Depth=1
	v_ashrrev_i32_e32 v35, 31, v23
	v_add_co_u32_e32 v27, vcc, v22, v35
	v_addc_co_u32_e32 v23, vcc, v23, v35, vcc
	v_xor_b32_e32 v23, v23, v35
	v_xor_b32_e32 v36, v27, v35
	v_cvt_f32_u32_e32 v27, v36
	v_cvt_f32_u32_e32 v28, v23
	v_sub_co_u32_e32 v34, vcc, 0, v36
	v_subb_co_u32_e32 v37, vcc, 0, v23, vcc
	v_mac_f32_e32 v27, 0x4f800000, v28
	v_rcp_f32_e32 v27, v27
	v_mul_f32_e32 v27, 0x5f7ffffc, v27
	v_mul_f32_e32 v28, 0x2f800000, v27
	v_trunc_f32_e32 v28, v28
	v_mac_f32_e32 v27, 0xcf800000, v28
	v_cvt_u32_f32_e32 v33, v27
	v_cvt_u32_f32_e32 v38, v28
	v_mul_lo_u32 v29, v37, v33
	v_mad_u64_u32 v[27:28], s[0:1], v34, v33, 0
	v_mul_lo_u32 v31, v34, v38
	v_mul_hi_u32 v32, v33, v27
	v_add3_u32 v31, v28, v31, v29
	v_mad_u64_u32 v[28:29], s[0:1], v33, v31, 0
	v_add_co_u32_e32 v39, vcc, v32, v28
	v_mad_u64_u32 v[27:28], s[0:1], v38, v27, 0
	v_mad_u64_u32 v[31:32], s[0:1], v38, v31, 0
	v_addc_co_u32_e32 v29, vcc, 0, v29, vcc
	v_add_co_u32_e32 v27, vcc, v39, v27
	v_addc_co_u32_e32 v27, vcc, v29, v28, vcc
	v_addc_co_u32_e32 v28, vcc, 0, v32, vcc
	v_add_co_u32_e32 v27, vcc, v27, v31
	v_addc_co_u32_e32 v28, vcc, 0, v28, vcc
	v_add_co_u32_e32 v39, vcc, v33, v27
	v_addc_co_u32_e32 v38, vcc, v38, v28, vcc
	v_mul_lo_u32 v29, v34, v38
	v_mul_lo_u32 v31, v37, v39
	v_mad_u64_u32 v[27:28], s[0:1], v34, v39, 0
	v_add3_u32 v31, v28, v29, v31
	v_mad_u64_u32 v[28:29], s[0:1], v38, v31, 0
	v_mad_u64_u32 v[31:32], s[0:1], v39, v31, 0
	v_mul_hi_u32 v37, v39, v27
	v_mad_u64_u32 v[33:34], s[0:1], v38, v27, 0
	v_add_co_u32_e32 v27, vcc, v37, v31
	v_addc_co_u32_e32 v31, vcc, 0, v32, vcc
	v_add_co_u32_e32 v27, vcc, v27, v33
	v_addc_co_u32_e32 v27, vcc, v31, v34, vcc
	v_addc_co_u32_e32 v29, vcc, 0, v29, vcc
	v_add_co_u32_e32 v27, vcc, v27, v28
	v_addc_co_u32_e32 v28, vcc, 0, v29, vcc
	v_add_co_u32_e32 v29, vcc, v39, v27
	v_addc_co_u32_e32 v31, vcc, v38, v28, vcc
	v_ashrrev_i32_e32 v33, 31, v19
	v_add_co_u32_e32 v27, vcc, v18, v33
	v_xor_b32_e32 v34, v27, v33
	v_mad_u64_u32 v[27:28], s[0:1], v34, v31, 0
	v_mul_hi_u32 v32, v34, v29
	v_addc_co_u32_e32 v19, vcc, v19, v33, vcc
	v_xor_b32_e32 v19, v19, v33
	v_add_co_u32_e32 v37, vcc, v32, v27
	v_addc_co_u32_e32 v38, vcc, 0, v28, vcc
	v_mad_u64_u32 v[27:28], s[0:1], v19, v29, 0
	v_mad_u64_u32 v[31:32], s[0:1], v19, v31, 0
	v_add_co_u32_e32 v27, vcc, v37, v27
	v_addc_co_u32_e32 v27, vcc, v38, v28, vcc
	v_addc_co_u32_e32 v28, vcc, 0, v32, vcc
	v_add_co_u32_e32 v29, vcc, v27, v31
	v_addc_co_u32_e32 v31, vcc, 0, v28, vcc
	v_mul_lo_u32 v32, v23, v29
	v_mul_lo_u32 v37, v36, v31
	v_mad_u64_u32 v[27:28], s[0:1], v36, v29, 0
	v_add3_u32 v28, v28, v37, v32
	v_sub_u32_e32 v32, v19, v28
	v_sub_co_u32_e32 v27, vcc, v34, v27
	v_subb_co_u32_e64 v32, s[0:1], v32, v23, vcc
	v_sub_co_u32_e64 v34, s[0:1], v27, v36
	v_subbrev_co_u32_e64 v32, s[0:1], 0, v32, s[0:1]
	v_cmp_ge_u32_e64 s[0:1], v32, v23
	v_cndmask_b32_e64 v37, 0, -1, s[0:1]
	v_cmp_ge_u32_e64 s[0:1], v34, v36
	v_cndmask_b32_e64 v34, 0, -1, s[0:1]
	v_cmp_eq_u32_e64 s[0:1], v32, v23
	v_cndmask_b32_e64 v32, v37, v34, s[0:1]
	v_add_co_u32_e64 v34, s[0:1], 2, v29
	v_subb_co_u32_e32 v19, vcc, v19, v28, vcc
	v_addc_co_u32_e64 v37, s[0:1], 0, v31, s[0:1]
	v_cmp_ge_u32_e32 vcc, v19, v23
	v_add_co_u32_e64 v38, s[0:1], 1, v29
	v_cndmask_b32_e64 v28, 0, -1, vcc
	v_cmp_ge_u32_e32 vcc, v27, v36
	v_addc_co_u32_e64 v39, s[0:1], 0, v31, s[0:1]
	v_cndmask_b32_e64 v27, 0, -1, vcc
	v_cmp_eq_u32_e32 vcc, v19, v23
	v_cmp_ne_u32_e64 s[0:1], 0, v32
	v_cndmask_b32_e32 v19, v28, v27, vcc
	v_cmp_ne_u32_e32 vcc, 0, v19
	v_cndmask_b32_e64 v23, v38, v34, s[0:1]
	v_cndmask_b32_e64 v32, v39, v37, s[0:1]
	v_cndmask_b32_e32 v23, v29, v23, vcc
	v_xor_b32_e32 v27, v33, v35
	v_cndmask_b32_e32 v19, v31, v32, vcc
	v_xor_b32_e32 v23, v23, v27
	v_xor_b32_e32 v19, v19, v27
	v_sub_co_u32_e32 v28, vcc, v23, v27
	v_subb_co_u32_e32 v29, vcc, v19, v27, vcc
.LBB113_41:                             ;   in Loop: Header=BB113_39 Depth=1
	s_andn2_saveexec_b64 s[0:1], s[8:9]
	s_cbranch_execz .LBB113_43
; %bb.42:                               ;   in Loop: Header=BB113_39 Depth=1
	v_cvt_f32_u32_e32 v19, v22
	v_sub_u32_e32 v23, 0, v22
	v_mov_b32_e32 v29, v26
	v_rcp_iflag_f32_e32 v19, v19
	v_mul_f32_e32 v19, 0x4f7ffffe, v19
	v_cvt_u32_f32_e32 v19, v19
	v_mul_lo_u32 v23, v23, v19
	v_mul_hi_u32 v23, v19, v23
	v_add_u32_e32 v19, v19, v23
	v_mul_hi_u32 v19, v18, v19
	v_mul_lo_u32 v23, v19, v22
	v_add_u32_e32 v27, 1, v19
	v_sub_u32_e32 v18, v18, v23
	v_sub_u32_e32 v23, v18, v22
	v_cmp_ge_u32_e32 vcc, v18, v22
	v_cndmask_b32_e32 v18, v18, v23, vcc
	v_cndmask_b32_e32 v19, v19, v27, vcc
	v_add_u32_e32 v23, 1, v19
	v_cmp_ge_u32_e32 vcc, v18, v22
	v_cndmask_b32_e32 v28, v19, v23, vcc
.LBB113_43:                             ;   in Loop: Header=BB113_39 Depth=1
	s_or_b64 exec, exec, s[0:1]
	v_or_b32_e32 v27, v21, v25
	v_cmp_ne_u64_e32 vcc, 0, v[26:27]
                                        ; implicit-def: $vgpr18_vgpr19
	s_and_saveexec_b64 s[0:1], vcc
	s_xor_b64 s[8:9], exec, s[0:1]
	s_cbranch_execz .LBB113_45
; %bb.44:                               ;   in Loop: Header=BB113_39 Depth=1
	v_ashrrev_i32_e32 v27, 31, v25
	v_add_co_u32_e32 v18, vcc, v24, v27
	v_addc_co_u32_e32 v19, vcc, v25, v27, vcc
	v_xor_b32_e32 v31, v19, v27
	v_xor_b32_e32 v32, v18, v27
	v_cvt_f32_u32_e32 v18, v32
	v_cvt_f32_u32_e32 v19, v31
	v_sub_co_u32_e32 v25, vcc, 0, v32
	v_subb_co_u32_e32 v33, vcc, 0, v31, vcc
	v_mac_f32_e32 v18, 0x4f800000, v19
	v_rcp_f32_e32 v18, v18
	v_mul_f32_e32 v18, 0x5f7ffffc, v18
	v_mul_f32_e32 v19, 0x2f800000, v18
	v_trunc_f32_e32 v19, v19
	v_mac_f32_e32 v18, 0xcf800000, v19
	v_cvt_u32_f32_e32 v24, v18
	v_cvt_u32_f32_e32 v34, v19
	v_mul_lo_u32 v22, v33, v24
	v_mad_u64_u32 v[18:19], s[0:1], v25, v24, 0
	v_mul_lo_u32 v23, v25, v34
	v_add3_u32 v35, v19, v23, v22
	v_mad_u64_u32 v[22:23], s[0:1], v24, v35, 0
	v_mul_hi_u32 v19, v24, v18
	v_add_co_u32_e32 v36, vcc, v19, v22
	v_mad_u64_u32 v[18:19], s[0:1], v34, v18, 0
	v_addc_co_u32_e32 v37, vcc, 0, v23, vcc
	v_mad_u64_u32 v[22:23], s[0:1], v34, v35, 0
	v_add_co_u32_e32 v18, vcc, v36, v18
	v_addc_co_u32_e32 v18, vcc, v37, v19, vcc
	v_addc_co_u32_e32 v19, vcc, 0, v23, vcc
	v_add_co_u32_e32 v18, vcc, v18, v22
	v_addc_co_u32_e32 v19, vcc, 0, v19, vcc
	v_add_co_u32_e32 v35, vcc, v24, v18
	v_addc_co_u32_e32 v34, vcc, v34, v19, vcc
	v_mul_lo_u32 v22, v25, v34
	v_mul_lo_u32 v23, v33, v35
	v_mad_u64_u32 v[18:19], s[0:1], v25, v35, 0
	v_add3_u32 v19, v19, v22, v23
	v_mad_u64_u32 v[24:25], s[0:1], v35, v19, 0
	v_mul_hi_u32 v33, v35, v18
	v_mad_u64_u32 v[22:23], s[0:1], v34, v19, 0
	v_mad_u64_u32 v[18:19], s[0:1], v34, v18, 0
	v_add_co_u32_e32 v24, vcc, v33, v24
	v_addc_co_u32_e32 v25, vcc, 0, v25, vcc
	v_add_co_u32_e32 v18, vcc, v24, v18
	v_addc_co_u32_e32 v18, vcc, v25, v19, vcc
	v_addc_co_u32_e32 v19, vcc, 0, v23, vcc
	v_add_co_u32_e32 v18, vcc, v18, v22
	v_addc_co_u32_e32 v19, vcc, 0, v19, vcc
	v_add_co_u32_e32 v22, vcc, v35, v18
	v_addc_co_u32_e32 v23, vcc, v34, v19, vcc
	v_ashrrev_i32_e32 v24, 31, v21
	v_add_co_u32_e32 v18, vcc, v20, v24
	v_xor_b32_e32 v25, v18, v24
	v_addc_co_u32_e32 v20, vcc, v21, v24, vcc
	v_mad_u64_u32 v[18:19], s[0:1], v25, v23, 0
	v_mul_hi_u32 v21, v25, v22
	v_xor_b32_e32 v33, v20, v24
	v_add_co_u32_e32 v34, vcc, v21, v18
	v_addc_co_u32_e32 v35, vcc, 0, v19, vcc
	v_mad_u64_u32 v[18:19], s[0:1], v33, v22, 0
	v_mad_u64_u32 v[20:21], s[0:1], v33, v23, 0
	v_add_co_u32_e32 v18, vcc, v34, v18
	v_addc_co_u32_e32 v18, vcc, v35, v19, vcc
	v_addc_co_u32_e32 v19, vcc, 0, v21, vcc
	v_add_co_u32_e32 v20, vcc, v18, v20
	v_addc_co_u32_e32 v21, vcc, 0, v19, vcc
	v_mul_lo_u32 v22, v31, v20
	v_mul_lo_u32 v23, v32, v21
	v_mad_u64_u32 v[18:19], s[0:1], v32, v20, 0
	v_add3_u32 v19, v19, v23, v22
	v_sub_u32_e32 v22, v33, v19
	v_sub_co_u32_e32 v18, vcc, v25, v18
	v_subb_co_u32_e64 v22, s[0:1], v22, v31, vcc
	v_sub_co_u32_e64 v23, s[0:1], v18, v32
	v_subbrev_co_u32_e64 v22, s[0:1], 0, v22, s[0:1]
	v_cmp_ge_u32_e64 s[0:1], v22, v31
	v_cndmask_b32_e64 v25, 0, -1, s[0:1]
	v_cmp_ge_u32_e64 s[0:1], v23, v32
	v_cndmask_b32_e64 v23, 0, -1, s[0:1]
	v_cmp_eq_u32_e64 s[0:1], v22, v31
	v_cndmask_b32_e64 v22, v25, v23, s[0:1]
	v_add_co_u32_e64 v23, s[0:1], 2, v20
	v_addc_co_u32_e64 v25, s[0:1], 0, v21, s[0:1]
	v_add_co_u32_e64 v34, s[0:1], 1, v20
	v_addc_co_u32_e64 v35, s[0:1], 0, v21, s[0:1]
	v_subb_co_u32_e32 v19, vcc, v33, v19, vcc
	v_cmp_ne_u32_e64 s[0:1], 0, v22
	v_cmp_ge_u32_e32 vcc, v19, v31
	v_cndmask_b32_e64 v22, v35, v25, s[0:1]
	v_cndmask_b32_e64 v25, 0, -1, vcc
	v_cmp_ge_u32_e32 vcc, v18, v32
	v_cndmask_b32_e64 v18, 0, -1, vcc
	v_cmp_eq_u32_e32 vcc, v19, v31
	v_cndmask_b32_e32 v18, v25, v18, vcc
	v_cmp_ne_u32_e32 vcc, 0, v18
	v_cndmask_b32_e64 v19, v34, v23, s[0:1]
	v_cndmask_b32_e32 v18, v21, v22, vcc
	v_cndmask_b32_e32 v19, v20, v19, vcc
	v_xor_b32_e32 v20, v24, v27
	v_xor_b32_e32 v21, v18, v20
	;; [unrolled: 1-line block ×3, first 2 shown]
	v_sub_co_u32_e32 v18, vcc, v18, v20
	v_subb_co_u32_e32 v19, vcc, v21, v20, vcc
                                        ; implicit-def: $vgpr24_vgpr25
                                        ; implicit-def: $vgpr20_vgpr21
.LBB113_45:                             ;   in Loop: Header=BB113_39 Depth=1
	s_andn2_saveexec_b64 s[0:1], s[8:9]
	s_cbranch_execz .LBB113_47
; %bb.46:                               ;   in Loop: Header=BB113_39 Depth=1
	v_cvt_f32_u32_e32 v18, v24
	v_sub_u32_e32 v19, 0, v24
	v_rcp_iflag_f32_e32 v18, v18
	v_mul_f32_e32 v18, 0x4f7ffffe, v18
	v_cvt_u32_f32_e32 v18, v18
	v_mul_lo_u32 v19, v19, v18
	v_mul_hi_u32 v19, v18, v19
	v_add_u32_e32 v18, v18, v19
	v_mul_hi_u32 v18, v20, v18
	v_mul_lo_u32 v19, v18, v24
	v_add_u32_e32 v21, 1, v18
	v_sub_u32_e32 v19, v20, v19
	v_sub_u32_e32 v20, v19, v24
	v_cmp_ge_u32_e32 vcc, v19, v24
	v_cndmask_b32_e32 v19, v19, v20, vcc
	v_cndmask_b32_e32 v18, v18, v21, vcc
	v_add_u32_e32 v20, 1, v18
	v_cmp_ge_u32_e32 vcc, v19, v24
	v_cndmask_b32_e32 v18, v18, v20, vcc
	v_mov_b32_e32 v19, v26
.LBB113_47:                             ;   in Loop: Header=BB113_39 Depth=1
	s_or_b64 exec, exec, s[0:1]
	v_or_b32_e32 v27, v11, v15
	v_cmp_ne_u64_e32 vcc, 0, v[26:27]
                                        ; implicit-def: $vgpr20_vgpr21
	s_and_saveexec_b64 s[0:1], vcc
	s_xor_b64 s[8:9], exec, s[0:1]
	s_cbranch_execz .LBB113_49
; %bb.48:                               ;   in Loop: Header=BB113_39 Depth=1
	v_ashrrev_i32_e32 v25, 31, v15
	v_add_co_u32_e32 v20, vcc, v14, v25
	v_addc_co_u32_e32 v15, vcc, v15, v25, vcc
	v_xor_b32_e32 v15, v15, v25
	v_xor_b32_e32 v27, v20, v25
	v_cvt_f32_u32_e32 v20, v27
	v_cvt_f32_u32_e32 v21, v15
	v_sub_co_u32_e32 v31, vcc, 0, v27
	v_subb_co_u32_e32 v32, vcc, 0, v15, vcc
	v_mac_f32_e32 v20, 0x4f800000, v21
	v_rcp_f32_e32 v20, v20
	v_mul_f32_e32 v20, 0x5f7ffffc, v20
	v_mul_f32_e32 v21, 0x2f800000, v20
	v_trunc_f32_e32 v21, v21
	v_mac_f32_e32 v20, 0xcf800000, v21
	v_cvt_u32_f32_e32 v24, v20
	v_cvt_u32_f32_e32 v33, v21
	v_mul_lo_u32 v22, v32, v24
	v_mad_u64_u32 v[20:21], s[0:1], v31, v24, 0
	v_mul_lo_u32 v23, v31, v33
	v_mul_hi_u32 v34, v24, v20
	v_add3_u32 v23, v21, v23, v22
	v_mad_u64_u32 v[21:22], s[0:1], v24, v23, 0
	v_add_co_u32_e32 v34, vcc, v34, v21
	v_mad_u64_u32 v[20:21], s[0:1], v33, v20, 0
	v_addc_co_u32_e32 v35, vcc, 0, v22, vcc
	v_mad_u64_u32 v[22:23], s[0:1], v33, v23, 0
	v_add_co_u32_e32 v20, vcc, v34, v20
	v_addc_co_u32_e32 v20, vcc, v35, v21, vcc
	v_addc_co_u32_e32 v21, vcc, 0, v23, vcc
	v_add_co_u32_e32 v20, vcc, v20, v22
	v_addc_co_u32_e32 v21, vcc, 0, v21, vcc
	v_add_co_u32_e32 v34, vcc, v24, v20
	v_addc_co_u32_e32 v33, vcc, v33, v21, vcc
	v_mul_lo_u32 v22, v31, v33
	v_mul_lo_u32 v23, v32, v34
	v_mad_u64_u32 v[20:21], s[0:1], v31, v34, 0
	v_add3_u32 v23, v21, v22, v23
	v_mad_u64_u32 v[21:22], s[0:1], v33, v23, 0
	v_mad_u64_u32 v[23:24], s[0:1], v34, v23, 0
	v_mul_hi_u32 v35, v34, v20
	v_mad_u64_u32 v[31:32], s[0:1], v33, v20, 0
	v_add_co_u32_e32 v20, vcc, v35, v23
	v_addc_co_u32_e32 v23, vcc, 0, v24, vcc
	v_add_co_u32_e32 v20, vcc, v20, v31
	v_addc_co_u32_e32 v20, vcc, v23, v32, vcc
	v_addc_co_u32_e32 v22, vcc, 0, v22, vcc
	v_add_co_u32_e32 v20, vcc, v20, v21
	v_addc_co_u32_e32 v21, vcc, 0, v22, vcc
	v_add_co_u32_e32 v22, vcc, v34, v20
	v_addc_co_u32_e32 v23, vcc, v33, v21, vcc
	v_ashrrev_i32_e32 v24, 31, v11
	v_add_co_u32_e32 v20, vcc, v10, v24
	v_xor_b32_e32 v31, v20, v24
	v_mad_u64_u32 v[20:21], s[0:1], v31, v23, 0
	v_mul_hi_u32 v32, v31, v22
	v_addc_co_u32_e32 v11, vcc, v11, v24, vcc
	v_xor_b32_e32 v11, v11, v24
	v_add_co_u32_e32 v32, vcc, v32, v20
	v_addc_co_u32_e32 v33, vcc, 0, v21, vcc
	v_mad_u64_u32 v[20:21], s[0:1], v11, v22, 0
	v_mad_u64_u32 v[22:23], s[0:1], v11, v23, 0
	v_add_co_u32_e32 v20, vcc, v32, v20
	v_addc_co_u32_e32 v20, vcc, v33, v21, vcc
	v_addc_co_u32_e32 v21, vcc, 0, v23, vcc
	v_add_co_u32_e32 v22, vcc, v20, v22
	v_addc_co_u32_e32 v23, vcc, 0, v21, vcc
	v_mul_lo_u32 v32, v15, v22
	v_mul_lo_u32 v33, v27, v23
	v_mad_u64_u32 v[20:21], s[0:1], v27, v22, 0
	v_add3_u32 v21, v21, v33, v32
	v_sub_u32_e32 v32, v11, v21
	v_sub_co_u32_e32 v20, vcc, v31, v20
	v_subb_co_u32_e64 v31, s[0:1], v32, v15, vcc
	v_sub_co_u32_e64 v32, s[0:1], v20, v27
	v_subbrev_co_u32_e64 v31, s[0:1], 0, v31, s[0:1]
	v_cmp_ge_u32_e64 s[0:1], v31, v15
	v_cndmask_b32_e64 v33, 0, -1, s[0:1]
	v_cmp_ge_u32_e64 s[0:1], v32, v27
	v_cndmask_b32_e64 v32, 0, -1, s[0:1]
	v_cmp_eq_u32_e64 s[0:1], v31, v15
	v_cndmask_b32_e64 v31, v33, v32, s[0:1]
	v_add_co_u32_e64 v32, s[0:1], 2, v22
	v_subb_co_u32_e32 v11, vcc, v11, v21, vcc
	v_addc_co_u32_e64 v33, s[0:1], 0, v23, s[0:1]
	v_cmp_ge_u32_e32 vcc, v11, v15
	v_add_co_u32_e64 v34, s[0:1], 1, v22
	v_cndmask_b32_e64 v21, 0, -1, vcc
	v_cmp_ge_u32_e32 vcc, v20, v27
	v_addc_co_u32_e64 v35, s[0:1], 0, v23, s[0:1]
	v_cndmask_b32_e64 v20, 0, -1, vcc
	v_cmp_eq_u32_e32 vcc, v11, v15
	v_cmp_ne_u32_e64 s[0:1], 0, v31
	v_cndmask_b32_e32 v11, v21, v20, vcc
	v_cmp_ne_u32_e32 vcc, 0, v11
	v_cndmask_b32_e64 v15, v34, v32, s[0:1]
	v_cndmask_b32_e64 v31, v35, v33, s[0:1]
	v_cndmask_b32_e32 v15, v22, v15, vcc
	v_xor_b32_e32 v21, v24, v25
	v_cndmask_b32_e32 v11, v23, v31, vcc
	v_xor_b32_e32 v15, v15, v21
	v_xor_b32_e32 v11, v11, v21
	v_sub_co_u32_e32 v20, vcc, v15, v21
	v_subb_co_u32_e32 v21, vcc, v11, v21, vcc
.LBB113_49:                             ;   in Loop: Header=BB113_39 Depth=1
	s_andn2_saveexec_b64 s[0:1], s[8:9]
	s_cbranch_execz .LBB113_51
; %bb.50:                               ;   in Loop: Header=BB113_39 Depth=1
	v_cvt_f32_u32_e32 v11, v14
	v_sub_u32_e32 v15, 0, v14
	v_mov_b32_e32 v21, v26
	v_rcp_iflag_f32_e32 v11, v11
	v_mul_f32_e32 v11, 0x4f7ffffe, v11
	v_cvt_u32_f32_e32 v11, v11
	v_mul_lo_u32 v15, v15, v11
	v_mul_hi_u32 v15, v11, v15
	v_add_u32_e32 v11, v11, v15
	v_mul_hi_u32 v11, v10, v11
	v_mul_lo_u32 v15, v11, v14
	v_add_u32_e32 v20, 1, v11
	v_sub_u32_e32 v10, v10, v15
	v_sub_u32_e32 v15, v10, v14
	v_cmp_ge_u32_e32 vcc, v10, v14
	v_cndmask_b32_e32 v10, v10, v15, vcc
	v_cndmask_b32_e32 v11, v11, v20, vcc
	v_add_u32_e32 v15, 1, v11
	v_cmp_ge_u32_e32 vcc, v10, v14
	v_cndmask_b32_e32 v20, v11, v15, vcc
.LBB113_51:                             ;   in Loop: Header=BB113_39 Depth=1
	s_or_b64 exec, exec, s[0:1]
	v_or_b32_e32 v27, v13, v17
	v_cmp_ne_u64_e32 vcc, 0, v[26:27]
                                        ; implicit-def: $vgpr10_vgpr11
	s_and_saveexec_b64 s[0:1], vcc
	s_xor_b64 s[8:9], exec, s[0:1]
	s_cbranch_execz .LBB113_53
; %bb.52:                               ;   in Loop: Header=BB113_39 Depth=1
	v_ashrrev_i32_e32 v22, 31, v17
	v_add_co_u32_e32 v10, vcc, v16, v22
	v_addc_co_u32_e32 v11, vcc, v17, v22, vcc
	v_xor_b32_e32 v23, v11, v22
	v_xor_b32_e32 v24, v10, v22
	v_cvt_f32_u32_e32 v10, v24
	v_cvt_f32_u32_e32 v11, v23
	v_sub_co_u32_e32 v17, vcc, 0, v24
	v_subb_co_u32_e32 v25, vcc, 0, v23, vcc
	v_mac_f32_e32 v10, 0x4f800000, v11
	v_rcp_f32_e32 v10, v10
	v_mul_f32_e32 v10, 0x5f7ffffc, v10
	v_mul_f32_e32 v11, 0x2f800000, v10
	v_trunc_f32_e32 v11, v11
	v_mac_f32_e32 v10, 0xcf800000, v11
	v_cvt_u32_f32_e32 v16, v10
	v_cvt_u32_f32_e32 v27, v11
	v_mul_lo_u32 v14, v25, v16
	v_mad_u64_u32 v[10:11], s[0:1], v17, v16, 0
	v_mul_lo_u32 v15, v17, v27
	v_add3_u32 v31, v11, v15, v14
	v_mad_u64_u32 v[14:15], s[0:1], v16, v31, 0
	v_mul_hi_u32 v11, v16, v10
	v_add_co_u32_e32 v32, vcc, v11, v14
	v_mad_u64_u32 v[10:11], s[0:1], v27, v10, 0
	v_addc_co_u32_e32 v33, vcc, 0, v15, vcc
	v_mad_u64_u32 v[14:15], s[0:1], v27, v31, 0
	v_add_co_u32_e32 v10, vcc, v32, v10
	v_addc_co_u32_e32 v10, vcc, v33, v11, vcc
	v_addc_co_u32_e32 v11, vcc, 0, v15, vcc
	v_add_co_u32_e32 v10, vcc, v10, v14
	v_addc_co_u32_e32 v11, vcc, 0, v11, vcc
	v_add_co_u32_e32 v31, vcc, v16, v10
	v_addc_co_u32_e32 v27, vcc, v27, v11, vcc
	v_mul_lo_u32 v14, v17, v27
	v_mul_lo_u32 v15, v25, v31
	v_mad_u64_u32 v[10:11], s[0:1], v17, v31, 0
	v_add3_u32 v11, v11, v14, v15
	v_mad_u64_u32 v[16:17], s[0:1], v31, v11, 0
	v_mul_hi_u32 v25, v31, v10
	v_mad_u64_u32 v[14:15], s[0:1], v27, v11, 0
	v_mad_u64_u32 v[10:11], s[0:1], v27, v10, 0
	v_add_co_u32_e32 v16, vcc, v25, v16
	v_addc_co_u32_e32 v17, vcc, 0, v17, vcc
	v_add_co_u32_e32 v10, vcc, v16, v10
	v_addc_co_u32_e32 v10, vcc, v17, v11, vcc
	v_addc_co_u32_e32 v11, vcc, 0, v15, vcc
	v_add_co_u32_e32 v10, vcc, v10, v14
	v_addc_co_u32_e32 v11, vcc, 0, v11, vcc
	v_add_co_u32_e32 v14, vcc, v31, v10
	v_addc_co_u32_e32 v15, vcc, v27, v11, vcc
	v_ashrrev_i32_e32 v16, 31, v13
	v_add_co_u32_e32 v10, vcc, v12, v16
	v_xor_b32_e32 v17, v10, v16
	v_addc_co_u32_e32 v12, vcc, v13, v16, vcc
	v_mad_u64_u32 v[10:11], s[0:1], v17, v15, 0
	v_mul_hi_u32 v13, v17, v14
	v_xor_b32_e32 v25, v12, v16
	v_add_co_u32_e32 v27, vcc, v13, v10
	v_addc_co_u32_e32 v31, vcc, 0, v11, vcc
	v_mad_u64_u32 v[10:11], s[0:1], v25, v14, 0
	v_mad_u64_u32 v[12:13], s[0:1], v25, v15, 0
	v_add_co_u32_e32 v10, vcc, v27, v10
	v_addc_co_u32_e32 v10, vcc, v31, v11, vcc
	v_addc_co_u32_e32 v11, vcc, 0, v13, vcc
	v_add_co_u32_e32 v12, vcc, v10, v12
	v_addc_co_u32_e32 v13, vcc, 0, v11, vcc
	v_mul_lo_u32 v14, v23, v12
	v_mul_lo_u32 v15, v24, v13
	v_mad_u64_u32 v[10:11], s[0:1], v24, v12, 0
	v_add3_u32 v11, v11, v15, v14
	v_sub_u32_e32 v14, v25, v11
	v_sub_co_u32_e32 v10, vcc, v17, v10
	v_subb_co_u32_e64 v14, s[0:1], v14, v23, vcc
	v_sub_co_u32_e64 v15, s[0:1], v10, v24
	v_subbrev_co_u32_e64 v14, s[0:1], 0, v14, s[0:1]
	v_cmp_ge_u32_e64 s[0:1], v14, v23
	v_cndmask_b32_e64 v17, 0, -1, s[0:1]
	v_cmp_ge_u32_e64 s[0:1], v15, v24
	v_cndmask_b32_e64 v15, 0, -1, s[0:1]
	v_cmp_eq_u32_e64 s[0:1], v14, v23
	v_cndmask_b32_e64 v14, v17, v15, s[0:1]
	v_add_co_u32_e64 v15, s[0:1], 2, v12
	v_addc_co_u32_e64 v17, s[0:1], 0, v13, s[0:1]
	v_add_co_u32_e64 v27, s[0:1], 1, v12
	v_addc_co_u32_e64 v31, s[0:1], 0, v13, s[0:1]
	v_subb_co_u32_e32 v11, vcc, v25, v11, vcc
	v_cmp_ne_u32_e64 s[0:1], 0, v14
	v_cmp_ge_u32_e32 vcc, v11, v23
	v_cndmask_b32_e64 v14, v31, v17, s[0:1]
	v_cndmask_b32_e64 v17, 0, -1, vcc
	v_cmp_ge_u32_e32 vcc, v10, v24
	v_cndmask_b32_e64 v10, 0, -1, vcc
	v_cmp_eq_u32_e32 vcc, v11, v23
	v_cndmask_b32_e32 v10, v17, v10, vcc
	v_cmp_ne_u32_e32 vcc, 0, v10
	v_cndmask_b32_e64 v11, v27, v15, s[0:1]
	v_cndmask_b32_e32 v10, v13, v14, vcc
	v_cndmask_b32_e32 v11, v12, v11, vcc
	v_xor_b32_e32 v12, v16, v22
	v_xor_b32_e32 v13, v10, v12
	;; [unrolled: 1-line block ×3, first 2 shown]
	v_sub_co_u32_e32 v10, vcc, v10, v12
	v_subb_co_u32_e32 v11, vcc, v13, v12, vcc
                                        ; implicit-def: $vgpr16_vgpr17
                                        ; implicit-def: $vgpr12_vgpr13
.LBB113_53:                             ;   in Loop: Header=BB113_39 Depth=1
	s_andn2_saveexec_b64 s[0:1], s[8:9]
	s_cbranch_execz .LBB113_38
; %bb.54:                               ;   in Loop: Header=BB113_39 Depth=1
	v_cvt_f32_u32_e32 v10, v16
	v_sub_u32_e32 v11, 0, v16
	v_rcp_iflag_f32_e32 v10, v10
	v_mul_f32_e32 v10, 0x4f7ffffe, v10
	v_cvt_u32_f32_e32 v10, v10
	v_mul_lo_u32 v11, v11, v10
	v_mul_hi_u32 v11, v10, v11
	v_add_u32_e32 v10, v10, v11
	v_mul_hi_u32 v10, v12, v10
	v_mul_lo_u32 v11, v10, v16
	v_add_u32_e32 v13, 1, v10
	v_sub_u32_e32 v11, v12, v11
	v_sub_u32_e32 v12, v11, v16
	v_cmp_ge_u32_e32 vcc, v11, v16
	v_cndmask_b32_e32 v11, v11, v12, vcc
	v_cndmask_b32_e32 v10, v10, v13, vcc
	v_add_u32_e32 v12, 1, v10
	v_cmp_ge_u32_e32 vcc, v11, v16
	v_cndmask_b32_e32 v10, v10, v12, vcc
	v_mov_b32_e32 v11, v26
	s_branch .LBB113_38
.LBB113_55:
	s_endpgm
	.section	.rodata,"a",@progbits
	.p2align	6, 0x0
	.amdhsa_kernel _ZN2at6native12_GLOBAL__N_125multi_tensor_apply_kernelINS1_28TensorListScalarListMetadataIlLi4EEENS1_28PointwiseOpScalarListFunctorIlLi4ELi3ELi3EEEJSt7dividesIlEEEEvT_T0_DpT1_
		.amdhsa_group_segment_fixed_size 0
		.amdhsa_private_segment_fixed_size 0
		.amdhsa_kernarg_size 3592
		.amdhsa_user_sgpr_count 6
		.amdhsa_user_sgpr_private_segment_buffer 1
		.amdhsa_user_sgpr_dispatch_ptr 0
		.amdhsa_user_sgpr_queue_ptr 0
		.amdhsa_user_sgpr_kernarg_segment_ptr 1
		.amdhsa_user_sgpr_dispatch_id 0
		.amdhsa_user_sgpr_flat_scratch_init 0
		.amdhsa_user_sgpr_private_segment_size 0
		.amdhsa_uses_dynamic_stack 0
		.amdhsa_system_sgpr_private_segment_wavefront_offset 0
		.amdhsa_system_sgpr_workgroup_id_x 1
		.amdhsa_system_sgpr_workgroup_id_y 0
		.amdhsa_system_sgpr_workgroup_id_z 0
		.amdhsa_system_sgpr_workgroup_info 0
		.amdhsa_system_vgpr_workitem_id 0
		.amdhsa_next_free_vgpr 76
		.amdhsa_next_free_sgpr 36
		.amdhsa_reserve_vcc 1
		.amdhsa_reserve_flat_scratch 0
		.amdhsa_float_round_mode_32 0
		.amdhsa_float_round_mode_16_64 0
		.amdhsa_float_denorm_mode_32 3
		.amdhsa_float_denorm_mode_16_64 3
		.amdhsa_dx10_clamp 1
		.amdhsa_ieee_mode 1
		.amdhsa_fp16_overflow 0
		.amdhsa_exception_fp_ieee_invalid_op 0
		.amdhsa_exception_fp_denorm_src 0
		.amdhsa_exception_fp_ieee_div_zero 0
		.amdhsa_exception_fp_ieee_overflow 0
		.amdhsa_exception_fp_ieee_underflow 0
		.amdhsa_exception_fp_ieee_inexact 0
		.amdhsa_exception_int_div_zero 0
	.end_amdhsa_kernel
	.section	.text._ZN2at6native12_GLOBAL__N_125multi_tensor_apply_kernelINS1_28TensorListScalarListMetadataIlLi4EEENS1_28PointwiseOpScalarListFunctorIlLi4ELi3ELi3EEEJSt7dividesIlEEEEvT_T0_DpT1_,"axG",@progbits,_ZN2at6native12_GLOBAL__N_125multi_tensor_apply_kernelINS1_28TensorListScalarListMetadataIlLi4EEENS1_28PointwiseOpScalarListFunctorIlLi4ELi3ELi3EEEJSt7dividesIlEEEEvT_T0_DpT1_,comdat
.Lfunc_end113:
	.size	_ZN2at6native12_GLOBAL__N_125multi_tensor_apply_kernelINS1_28TensorListScalarListMetadataIlLi4EEENS1_28PointwiseOpScalarListFunctorIlLi4ELi3ELi3EEEJSt7dividesIlEEEEvT_T0_DpT1_, .Lfunc_end113-_ZN2at6native12_GLOBAL__N_125multi_tensor_apply_kernelINS1_28TensorListScalarListMetadataIlLi4EEENS1_28PointwiseOpScalarListFunctorIlLi4ELi3ELi3EEEJSt7dividesIlEEEEvT_T0_DpT1_
                                        ; -- End function
	.set _ZN2at6native12_GLOBAL__N_125multi_tensor_apply_kernelINS1_28TensorListScalarListMetadataIlLi4EEENS1_28PointwiseOpScalarListFunctorIlLi4ELi3ELi3EEEJSt7dividesIlEEEEvT_T0_DpT1_.num_vgpr, 76
	.set _ZN2at6native12_GLOBAL__N_125multi_tensor_apply_kernelINS1_28TensorListScalarListMetadataIlLi4EEENS1_28PointwiseOpScalarListFunctorIlLi4ELi3ELi3EEEJSt7dividesIlEEEEvT_T0_DpT1_.num_agpr, 0
	.set _ZN2at6native12_GLOBAL__N_125multi_tensor_apply_kernelINS1_28TensorListScalarListMetadataIlLi4EEENS1_28PointwiseOpScalarListFunctorIlLi4ELi3ELi3EEEJSt7dividesIlEEEEvT_T0_DpT1_.numbered_sgpr, 36
	.set _ZN2at6native12_GLOBAL__N_125multi_tensor_apply_kernelINS1_28TensorListScalarListMetadataIlLi4EEENS1_28PointwiseOpScalarListFunctorIlLi4ELi3ELi3EEEJSt7dividesIlEEEEvT_T0_DpT1_.num_named_barrier, 0
	.set _ZN2at6native12_GLOBAL__N_125multi_tensor_apply_kernelINS1_28TensorListScalarListMetadataIlLi4EEENS1_28PointwiseOpScalarListFunctorIlLi4ELi3ELi3EEEJSt7dividesIlEEEEvT_T0_DpT1_.private_seg_size, 0
	.set _ZN2at6native12_GLOBAL__N_125multi_tensor_apply_kernelINS1_28TensorListScalarListMetadataIlLi4EEENS1_28PointwiseOpScalarListFunctorIlLi4ELi3ELi3EEEJSt7dividesIlEEEEvT_T0_DpT1_.uses_vcc, 1
	.set _ZN2at6native12_GLOBAL__N_125multi_tensor_apply_kernelINS1_28TensorListScalarListMetadataIlLi4EEENS1_28PointwiseOpScalarListFunctorIlLi4ELi3ELi3EEEJSt7dividesIlEEEEvT_T0_DpT1_.uses_flat_scratch, 0
	.set _ZN2at6native12_GLOBAL__N_125multi_tensor_apply_kernelINS1_28TensorListScalarListMetadataIlLi4EEENS1_28PointwiseOpScalarListFunctorIlLi4ELi3ELi3EEEJSt7dividesIlEEEEvT_T0_DpT1_.has_dyn_sized_stack, 0
	.set _ZN2at6native12_GLOBAL__N_125multi_tensor_apply_kernelINS1_28TensorListScalarListMetadataIlLi4EEENS1_28PointwiseOpScalarListFunctorIlLi4ELi3ELi3EEEJSt7dividesIlEEEEvT_T0_DpT1_.has_recursion, 0
	.set _ZN2at6native12_GLOBAL__N_125multi_tensor_apply_kernelINS1_28TensorListScalarListMetadataIlLi4EEENS1_28PointwiseOpScalarListFunctorIlLi4ELi3ELi3EEEJSt7dividesIlEEEEvT_T0_DpT1_.has_indirect_call, 0
	.section	.AMDGPU.csdata,"",@progbits
; Kernel info:
; codeLenInByte = 7800
; TotalNumSgprs: 40
; NumVgprs: 76
; ScratchSize: 0
; MemoryBound: 1
; FloatMode: 240
; IeeeMode: 1
; LDSByteSize: 0 bytes/workgroup (compile time only)
; SGPRBlocks: 4
; VGPRBlocks: 18
; NumSGPRsForWavesPerEU: 40
; NumVGPRsForWavesPerEU: 76
; Occupancy: 3
; WaveLimiterHint : 1
; COMPUTE_PGM_RSRC2:SCRATCH_EN: 0
; COMPUTE_PGM_RSRC2:USER_SGPR: 6
; COMPUTE_PGM_RSRC2:TRAP_HANDLER: 0
; COMPUTE_PGM_RSRC2:TGID_X_EN: 1
; COMPUTE_PGM_RSRC2:TGID_Y_EN: 0
; COMPUTE_PGM_RSRC2:TGID_Z_EN: 0
; COMPUTE_PGM_RSRC2:TIDIG_COMP_CNT: 0
	.section	.text._ZN2at6native12_GLOBAL__N_125multi_tensor_apply_kernelINS1_28TensorListScalarListMetadataIsLi4EEENS1_28PointwiseOpScalarListFunctorIsLi4ELi3ELi3EEEJSt7dividesIsEEEEvT_T0_DpT1_,"axG",@progbits,_ZN2at6native12_GLOBAL__N_125multi_tensor_apply_kernelINS1_28TensorListScalarListMetadataIsLi4EEENS1_28PointwiseOpScalarListFunctorIsLi4ELi3ELi3EEEJSt7dividesIsEEEEvT_T0_DpT1_,comdat
	.globl	_ZN2at6native12_GLOBAL__N_125multi_tensor_apply_kernelINS1_28TensorListScalarListMetadataIsLi4EEENS1_28PointwiseOpScalarListFunctorIsLi4ELi3ELi3EEEJSt7dividesIsEEEEvT_T0_DpT1_ ; -- Begin function _ZN2at6native12_GLOBAL__N_125multi_tensor_apply_kernelINS1_28TensorListScalarListMetadataIsLi4EEENS1_28PointwiseOpScalarListFunctorIsLi4ELi3ELi3EEEJSt7dividesIsEEEEvT_T0_DpT1_
	.p2align	8
	.type	_ZN2at6native12_GLOBAL__N_125multi_tensor_apply_kernelINS1_28TensorListScalarListMetadataIsLi4EEENS1_28PointwiseOpScalarListFunctorIsLi4ELi3ELi3EEEJSt7dividesIsEEEEvT_T0_DpT1_,@function
_ZN2at6native12_GLOBAL__N_125multi_tensor_apply_kernelINS1_28TensorListScalarListMetadataIsLi4EEENS1_28PointwiseOpScalarListFunctorIsLi4ELi3ELi3EEEJSt7dividesIsEEEEvT_T0_DpT1_: ; @_ZN2at6native12_GLOBAL__N_125multi_tensor_apply_kernelINS1_28TensorListScalarListMetadataIsLi4EEENS1_28PointwiseOpScalarListFunctorIsLi4ELi3ELi3EEEJSt7dividesIsEEEEvT_T0_DpT1_
; %bb.0:
	v_mov_b32_e32 v1, s6
	global_load_ubyte v1, v1, s[4:5] offset:1512
	s_add_u32 s0, s4, s6
	s_mul_i32 s1, s6, 3
	s_addc_u32 s2, s5, 0
	s_mul_hi_u32 s3, s6, 3
	s_add_u32 s0, s0, s1
	s_addc_u32 s1, s2, s3
	s_load_dword s0, s[0:1], 0x728
	s_waitcnt vmcnt(0)
	v_readfirstlane_b32 s1, v1
	v_mul_hi_i32 v2, v1, -6
	v_mul_lo_u32 v1, v1, -6
	s_lshl_b32 s6, s1, 3
	s_waitcnt lgkmcnt(0)
	s_ashr_i32 s1, s0, 31
	s_add_u32 s7, s4, s6
	s_addc_u32 s8, s5, 0
	v_mov_b32_e32 v3, s8
	v_add_co_u32_e32 v1, vcc, s7, v1
	v_addc_co_u32_e32 v2, vcc, v3, v2, vcc
	s_load_dwordx2 s[2:3], s[4:5], s6 offset:0x480
	global_load_ushort v3, v[1:2], off offset:1440
	s_load_dwordx2 s[14:15], s[4:5], s6 offset:0x0
	s_load_dwordx2 s[16:17], s[4:5], s6 offset:0x120
	s_lshl_b64 s[22:23], s[0:1], 17
	s_load_dwordx2 s[18:19], s[4:5], s6 offset:0x240
	s_load_dwordx2 s[20:21], s[4:5], s6 offset:0x360
	s_mov_b32 s7, 0
	s_waitcnt lgkmcnt(0)
	s_and_b32 s6, s14, 7
	s_add_u32 s8, s16, s22
	s_and_b32 s8, s8, 7
	s_mov_b32 s9, s7
	s_cmp_eq_u64 s[8:9], 0
	s_cselect_b64 s[8:9], -1, 0
	s_add_u32 s10, s18, s22
	s_or_b32 s10, s20, s10
	s_and_b32 s10, s10, 7
	s_cmp_eq_u32 s10, 0
	s_cselect_b64 s[10:11], -1, 0
	s_and_b64 s[8:9], s[10:11], s[8:9]
	s_lshl_b64 s[0:1], s[0:1], 16
	s_sub_u32 s24, s2, s0
	s_subb_u32 s25, s3, s1
	s_and_b32 s0, s2, 3
	s_mov_b32 s1, s7
	s_or_b64 s[0:1], s[6:7], s[0:1]
	s_cmp_eq_u64 s[0:1], 0
	s_cselect_b64 s[0:1], -1, 0
	s_and_b64 s[2:3], s[8:9], s[0:1]
	s_mov_b64 s[0:1], -1
	s_and_b64 vcc, exec, s[2:3]
	s_cbranch_vccnz .LBB114_45
; %bb.1:
	v_cmp_lt_i64_e64 s[0:1], s[24:25], 1
	s_and_b64 vcc, exec, s[0:1]
	s_cbranch_vccnz .LBB114_44
; %bb.2:
	v_mov_b32_e32 v1, 0x10000
	s_load_dword s2, s[4:5], 0xc3c
	v_mov_b32_e32 v2, 0
	v_cmp_lt_i64_e32 vcc, s[24:25], v[1:2]
	v_mov_b32_e32 v25, 0
	s_and_b64 s[0:1], vcc, exec
	s_cselect_b32 s27, s25, 0
	s_cselect_b32 s26, s24, 0x10000
	s_waitcnt lgkmcnt(0)
	s_and_b32 s2, s2, 0xffff
	v_lshlrev_b32_e32 v24, 1, v0
	v_mad_u64_u32 v[8:9], s[0:1], s2, 6, v[24:25]
	v_cmp_lt_u64_e32 vcc, s[24:25], v[1:2]
	v_mov_b32_e32 v1, 1
	s_and_b64 s[0:1], vcc, exec
	s_waitcnt vmcnt(0)
	v_cmp_ne_u32_sdwa s[30:31], v3, v1 src0_sel:WORD_0 src1_sel:DWORD
	v_mov_b32_e32 v2, s15
	v_add_co_u32_e32 v1, vcc, s14, v8
	v_addc_co_u32_e32 v2, vcc, v2, v9, vcc
	v_mov_b32_e32 v5, s17
	v_add_co_u32_e32 v4, vcc, s16, v8
	v_addc_co_u32_e32 v5, vcc, v5, v9, vcc
	;; [unrolled: 3-line block ×3, first 2 shown]
	v_mov_b32_e32 v10, s21
	v_add_co_u32_e32 v8, vcc, s20, v8
	s_cselect_b32 s29, s25, 0
	s_cselect_b32 s28, s24, 0x10000
	s_lshl_b32 s33, s2, 2
	v_addc_co_u32_e32 v9, vcc, v10, v9, vcc
	v_add_co_u32_e32 v16, vcc, s33, v24
	v_addc_co_u32_e64 v17, s[0:1], 0, 0, vcc
	v_mov_b32_e32 v11, s15
	v_add_co_u32_e32 v10, vcc, s14, v16
	v_addc_co_u32_e32 v11, vcc, v11, v17, vcc
	v_mov_b32_e32 v13, s17
	v_add_co_u32_e32 v12, vcc, s16, v16
	v_addc_co_u32_e32 v13, vcc, v13, v17, vcc
	;; [unrolled: 3-line block ×8, first 2 shown]
	v_add_co_u32_e32 v26, vcc, s2, v0
	v_lshlrev_b32_e32 v34, 1, v26
	v_addc_co_u32_e64 v27, s[0:1], 0, 0, vcc
	v_mov_b32_e32 v29, s15
	v_add_co_u32_e32 v28, vcc, s14, v34
	v_addc_co_u32_e32 v29, vcc, 0, v29, vcc
	v_mov_b32_e32 v31, s17
	v_add_co_u32_e32 v30, vcc, s16, v34
	v_addc_co_u32_e32 v31, vcc, 0, v31, vcc
	;; [unrolled: 3-line block ×3, first 2 shown]
	v_mov_b32_e32 v35, s21
	v_add_co_u32_e32 v34, vcc, s20, v34
	s_mul_i32 s6, s2, 3
	v_addc_co_u32_e32 v35, vcc, 0, v35, vcc
	s_lshl_b32 s3, s2, 1
	v_add_co_u32_e32 v36, vcc, s6, v0
	v_addc_co_u32_e64 v37, s[0:1], 0, 0, vcc
	v_add_co_u32_e32 v38, vcc, s3, v0
	s_lshl_b32 s36, s2, 3
	s_mov_b64 s[34:35], 0
	v_addc_co_u32_e64 v39, s[0:1], 0, 0, vcc
	s_branch .LBB114_4
.LBB114_3:                              ;   in Loop: Header=BB114_4 Depth=1
	s_or_b64 exec, exec, s[0:1]
	v_add_co_u32_e32 v18, vcc, s36, v18
	v_addc_co_u32_e32 v19, vcc, 0, v19, vcc
	v_add_co_u32_e32 v20, vcc, s36, v20
	v_addc_co_u32_e32 v21, vcc, 0, v21, vcc
	;; [unrolled: 2-line block ×14, first 2 shown]
	s_add_u32 s34, s34, s33
	v_add_co_u32_e32 v32, vcc, s36, v32
	v_mov_b32_e32 v41, s27
	s_addc_u32 s35, s35, 0
	v_addc_co_u32_e32 v33, vcc, 0, v33, vcc
	v_mov_b32_e32 v40, s26
	v_cmp_ge_i64_e32 vcc, s[34:35], v[40:41]
	v_add_co_u32_e64 v34, s[0:1], s36, v34
	v_addc_co_u32_e64 v35, s[0:1], 0, v35, s[0:1]
	s_cbranch_vccnz .LBB114_44
.LBB114_4:                              ; =>This Inner Loop Header: Depth=1
	v_mov_b32_e32 v41, s35
	v_add_co_u32_e32 v40, vcc, s34, v0
	v_addc_co_u32_e32 v41, vcc, 0, v41, vcc
	v_cmp_gt_u64_e64 s[0:1], s[28:29], v[40:41]
	v_mov_b32_e32 v44, 0
	v_mov_b32_e32 v47, 0
	;; [unrolled: 1-line block ×3, first 2 shown]
	s_and_saveexec_b64 s[2:3], s[0:1]
	s_cbranch_execz .LBB114_6
; %bb.5:                                ;   in Loop: Header=BB114_4 Depth=1
	v_mov_b32_e32 v40, s23
	v_add_co_u32_e32 v42, vcc, s22, v18
	v_addc_co_u32_e32 v43, vcc, v19, v40, vcc
	v_add_co_u32_e32 v45, vcc, s22, v20
	v_addc_co_u32_e32 v46, vcc, v21, v40, vcc
	global_load_ushort v41, v[42:43], off
	global_load_sshort v47, v[45:46], off
.LBB114_6:                              ;   in Loop: Header=BB114_4 Depth=1
	s_or_b64 exec, exec, s[2:3]
	s_and_saveexec_b64 s[2:3], s[0:1]
	s_cbranch_execz .LBB114_8
; %bb.7:                                ;   in Loop: Header=BB114_4 Depth=1
	v_mov_b32_e32 v40, s23
	v_add_co_u32_e32 v42, vcc, s22, v22
	v_addc_co_u32_e32 v43, vcc, v23, v40, vcc
	global_load_sshort v44, v[42:43], off
.LBB114_8:                              ;   in Loop: Header=BB114_4 Depth=1
	s_or_b64 exec, exec, s[2:3]
	v_mov_b32_e32 v40, s35
	v_add_co_u32_e32 v42, vcc, s34, v26
	v_addc_co_u32_e32 v43, vcc, v27, v40, vcc
	v_cmp_gt_u64_e64 s[2:3], s[28:29], v[42:43]
	v_mov_b32_e32 v40, 0
	v_mov_b32_e32 v45, 0
	;; [unrolled: 1-line block ×3, first 2 shown]
	s_and_saveexec_b64 s[6:7], s[2:3]
	s_cbranch_execz .LBB114_10
; %bb.9:                                ;   in Loop: Header=BB114_4 Depth=1
	v_mov_b32_e32 v40, s23
	v_add_co_u32_e32 v42, vcc, s22, v30
	v_addc_co_u32_e32 v43, vcc, v31, v40, vcc
	v_add_co_u32_e32 v49, vcc, s22, v28
	v_addc_co_u32_e32 v50, vcc, v29, v40, vcc
	global_load_ushort v40, v[49:50], off
	global_load_sshort v48, v[42:43], off
.LBB114_10:                             ;   in Loop: Header=BB114_4 Depth=1
	s_or_b64 exec, exec, s[6:7]
	s_and_saveexec_b64 s[6:7], s[2:3]
	s_cbranch_execz .LBB114_12
; %bb.11:                               ;   in Loop: Header=BB114_4 Depth=1
	v_mov_b32_e32 v43, s23
	v_add_co_u32_e32 v42, vcc, s22, v32
	v_addc_co_u32_e32 v43, vcc, v33, v43, vcc
	global_load_sshort v45, v[42:43], off
.LBB114_12:                             ;   in Loop: Header=BB114_4 Depth=1
	s_or_b64 exec, exec, s[6:7]
	v_mov_b32_e32 v43, s35
	v_add_co_u32_e32 v42, vcc, s34, v38
	v_addc_co_u32_e32 v43, vcc, v39, v43, vcc
	v_cmp_gt_u64_e64 s[6:7], s[28:29], v[42:43]
	v_mov_b32_e32 v42, 0
	v_mov_b32_e32 v46, 0
	;; [unrolled: 1-line block ×3, first 2 shown]
	s_and_saveexec_b64 s[8:9], s[6:7]
	s_cbranch_execz .LBB114_14
; %bb.13:                               ;   in Loop: Header=BB114_4 Depth=1
	v_mov_b32_e32 v42, s23
	v_add_co_u32_e32 v50, vcc, s22, v12
	v_addc_co_u32_e32 v51, vcc, v13, v42, vcc
	v_add_co_u32_e32 v52, vcc, s22, v10
	v_addc_co_u32_e32 v53, vcc, v11, v42, vcc
	global_load_ushort v42, v[52:53], off
	global_load_sshort v49, v[50:51], off
.LBB114_14:                             ;   in Loop: Header=BB114_4 Depth=1
	s_or_b64 exec, exec, s[8:9]
	s_and_saveexec_b64 s[8:9], s[6:7]
	s_cbranch_execz .LBB114_16
; %bb.15:                               ;   in Loop: Header=BB114_4 Depth=1
	v_mov_b32_e32 v43, s23
	v_add_co_u32_e32 v50, vcc, s22, v14
	v_addc_co_u32_e32 v51, vcc, v15, v43, vcc
	global_load_sshort v46, v[50:51], off
.LBB114_16:                             ;   in Loop: Header=BB114_4 Depth=1
	s_or_b64 exec, exec, s[8:9]
	v_mov_b32_e32 v43, s35
	v_add_co_u32_e32 v50, vcc, s34, v36
	v_addc_co_u32_e32 v51, vcc, v37, v43, vcc
	v_cmp_gt_u64_e64 s[8:9], s[28:29], v[50:51]
	v_mov_b32_e32 v43, 0
	v_mov_b32_e32 v50, 0
	v_mov_b32_e32 v51, 0
	s_and_saveexec_b64 s[10:11], s[8:9]
	s_cbranch_execz .LBB114_18
; %bb.17:                               ;   in Loop: Header=BB114_4 Depth=1
	v_mov_b32_e32 v43, s23
	v_add_co_u32_e32 v52, vcc, s22, v4
	v_addc_co_u32_e32 v53, vcc, v5, v43, vcc
	v_add_co_u32_e32 v54, vcc, s22, v1
	v_addc_co_u32_e32 v55, vcc, v2, v43, vcc
	global_load_ushort v43, v[54:55], off
	global_load_sshort v51, v[52:53], off
.LBB114_18:                             ;   in Loop: Header=BB114_4 Depth=1
	s_or_b64 exec, exec, s[10:11]
	s_and_saveexec_b64 s[10:11], s[8:9]
	s_cbranch_execz .LBB114_20
; %bb.19:                               ;   in Loop: Header=BB114_4 Depth=1
	v_mov_b32_e32 v50, s23
	v_add_co_u32_e32 v52, vcc, s22, v6
	v_addc_co_u32_e32 v53, vcc, v7, v50, vcc
	global_load_sshort v50, v[52:53], off
.LBB114_20:                             ;   in Loop: Header=BB114_4 Depth=1
	s_or_b64 exec, exec, s[10:11]
	s_waitcnt vmcnt(0)
	v_cvt_f32_i32_e32 v52, v44
	v_xor_b32_e32 v53, v47, v44
	v_cvt_f32_i32_e32 v47, v47
	v_ashrrev_i32_e32 v53, 30, v53
	v_rcp_iflag_f32_e32 v54, v52
	v_or_b32_e32 v53, 1, v53
	s_mov_b64 s[12:13], -1
	s_and_b64 vcc, exec, s[30:31]
	v_mul_f32_e32 v54, v47, v54
	v_trunc_f32_e32 v54, v54
	v_cvt_i32_f32_e32 v55, v54
	v_mad_f32 v47, -v54, v52, v47
	v_cmp_ge_f32_e64 s[10:11], |v47|, |v52|
	v_cndmask_b32_e64 v47, 0, v53, s[10:11]
	v_add_u32_e32 v47, v55, v47
                                        ; implicit-def: $vgpr44
	s_cbranch_vccz .LBB114_22
; %bb.21:                               ;   in Loop: Header=BB114_4 Depth=1
	v_mad_legacy_u16 v44, v3, v47, v41
	s_mov_b64 s[12:13], 0
.LBB114_22:                             ;   in Loop: Header=BB114_4 Depth=1
	s_andn2_b64 vcc, exec, s[12:13]
	s_cbranch_vccnz .LBB114_24
; %bb.23:                               ;   in Loop: Header=BB114_4 Depth=1
	v_add_u16_e32 v44, v41, v47
.LBB114_24:                             ;   in Loop: Header=BB114_4 Depth=1
	v_cvt_f32_i32_e32 v41, v45
	v_cvt_f32_i32_e32 v47, v48
	v_xor_b32_e32 v45, v48, v45
	v_cndmask_b32_e64 v48, 0, 1, s[30:31]
	v_rcp_iflag_f32_e32 v52, v41
	v_cmp_ne_u32_e64 s[10:11], 1, v48
	v_ashrrev_i32_e32 v45, 30, v45
	v_or_b32_e32 v45, 1, v45
	v_mul_f32_e32 v48, v47, v52
	v_trunc_f32_e32 v48, v48
	v_cvt_i32_f32_e32 v52, v48
	v_mad_f32 v47, -v48, v41, v47
	v_cmp_ge_f32_e64 vcc, |v47|, |v41|
	v_cndmask_b32_e32 v41, 0, v45, vcc
	v_add_u32_e32 v45, v52, v41
	s_andn2_b64 vcc, exec, s[30:31]
	s_mov_b64 s[12:13], -1
                                        ; implicit-def: $vgpr41
	s_cbranch_vccnz .LBB114_26
; %bb.25:                               ;   in Loop: Header=BB114_4 Depth=1
	v_mad_legacy_u16 v41, v3, v45, v40
	s_mov_b64 s[12:13], 0
.LBB114_26:                             ;   in Loop: Header=BB114_4 Depth=1
	s_andn2_b64 vcc, exec, s[12:13]
	s_cbranch_vccnz .LBB114_28
; %bb.27:                               ;   in Loop: Header=BB114_4 Depth=1
	v_add_u16_e32 v41, v40, v45
.LBB114_28:                             ;   in Loop: Header=BB114_4 Depth=1
	v_cvt_f32_i32_e32 v40, v46
	v_xor_b32_e32 v45, v49, v46
	v_cvt_f32_i32_e32 v46, v49
	v_ashrrev_i32_e32 v45, 30, v45
	v_rcp_iflag_f32_e32 v47, v40
	v_or_b32_e32 v45, 1, v45
	s_and_b64 vcc, exec, s[10:11]
	v_mul_f32_e32 v47, v46, v47
	v_trunc_f32_e32 v47, v47
	v_cvt_i32_f32_e32 v48, v47
	v_mad_f32 v46, -v47, v40, v46
	v_cmp_ge_f32_e64 s[12:13], |v46|, |v40|
	v_cndmask_b32_e64 v40, 0, v45, s[12:13]
	v_add_u32_e32 v45, v48, v40
	s_mov_b64 s[12:13], -1
                                        ; implicit-def: $vgpr40
	s_cbranch_vccnz .LBB114_30
; %bb.29:                               ;   in Loop: Header=BB114_4 Depth=1
	v_mad_legacy_u16 v40, v3, v45, v42
	s_mov_b64 s[12:13], 0
.LBB114_30:                             ;   in Loop: Header=BB114_4 Depth=1
	s_andn2_b64 vcc, exec, s[12:13]
	s_cbranch_vccnz .LBB114_32
; %bb.31:                               ;   in Loop: Header=BB114_4 Depth=1
	v_add_u16_e32 v40, v42, v45
.LBB114_32:                             ;   in Loop: Header=BB114_4 Depth=1
	v_cvt_f32_i32_e32 v42, v50
	v_cvt_f32_i32_e32 v46, v51
	v_xor_b32_e32 v45, v51, v50
	v_ashrrev_i32_e32 v45, 30, v45
	v_rcp_iflag_f32_e32 v47, v42
	s_and_b64 vcc, exec, s[10:11]
	v_or_b32_e32 v45, 1, v45
	v_mul_f32_e32 v47, v46, v47
	v_trunc_f32_e32 v47, v47
	v_cvt_i32_f32_e32 v48, v47
	v_mad_f32 v46, -v47, v42, v46
	v_cmp_ge_f32_e64 s[10:11], |v46|, |v42|
	v_cndmask_b32_e64 v42, 0, v45, s[10:11]
	v_add_u32_e32 v45, v48, v42
	s_mov_b64 s[10:11], -1
                                        ; implicit-def: $vgpr42
	s_cbranch_vccz .LBB114_38
; %bb.33:                               ;   in Loop: Header=BB114_4 Depth=1
	s_andn2_b64 vcc, exec, s[10:11]
	s_cbranch_vccz .LBB114_39
.LBB114_34:                             ;   in Loop: Header=BB114_4 Depth=1
	s_and_saveexec_b64 s[10:11], s[0:1]
	s_xor_b64 s[0:1], exec, s[10:11]
	s_cbranch_execnz .LBB114_40
.LBB114_35:                             ;   in Loop: Header=BB114_4 Depth=1
	s_or_b64 exec, exec, s[0:1]
	s_and_saveexec_b64 s[0:1], s[2:3]
	s_cbranch_execnz .LBB114_41
.LBB114_36:                             ;   in Loop: Header=BB114_4 Depth=1
	s_or_b64 exec, exec, s[0:1]
	s_and_saveexec_b64 s[0:1], s[6:7]
	s_cbranch_execnz .LBB114_42
.LBB114_37:                             ;   in Loop: Header=BB114_4 Depth=1
	s_or_b64 exec, exec, s[0:1]
	s_and_saveexec_b64 s[0:1], s[8:9]
	s_cbranch_execz .LBB114_3
	s_branch .LBB114_43
.LBB114_38:                             ;   in Loop: Header=BB114_4 Depth=1
	v_mad_legacy_u16 v42, v3, v45, v43
	s_cbranch_execnz .LBB114_34
.LBB114_39:                             ;   in Loop: Header=BB114_4 Depth=1
	v_add_u16_e32 v42, v43, v45
	s_and_saveexec_b64 s[10:11], s[0:1]
	s_xor_b64 s[0:1], exec, s[10:11]
	s_cbranch_execz .LBB114_35
.LBB114_40:                             ;   in Loop: Header=BB114_4 Depth=1
	v_mov_b32_e32 v43, s23
	v_add_co_u32_e32 v45, vcc, s22, v24
	v_addc_co_u32_e32 v46, vcc, v25, v43, vcc
	global_store_short v[45:46], v44, off
	s_or_b64 exec, exec, s[0:1]
	s_and_saveexec_b64 s[0:1], s[2:3]
	s_cbranch_execz .LBB114_36
.LBB114_41:                             ;   in Loop: Header=BB114_4 Depth=1
	v_mov_b32_e32 v44, s23
	v_add_co_u32_e32 v43, vcc, s22, v34
	v_addc_co_u32_e32 v44, vcc, v35, v44, vcc
	global_store_short v[43:44], v41, off
	s_or_b64 exec, exec, s[0:1]
	s_and_saveexec_b64 s[0:1], s[6:7]
	s_cbranch_execz .LBB114_37
.LBB114_42:                             ;   in Loop: Header=BB114_4 Depth=1
	v_mov_b32_e32 v41, s23
	v_add_co_u32_e32 v43, vcc, s22, v16
	v_addc_co_u32_e32 v44, vcc, v17, v41, vcc
	global_store_short v[43:44], v40, off
	s_or_b64 exec, exec, s[0:1]
	s_and_saveexec_b64 s[0:1], s[8:9]
	s_cbranch_execz .LBB114_3
.LBB114_43:                             ;   in Loop: Header=BB114_4 Depth=1
	v_mov_b32_e32 v41, s23
	v_add_co_u32_e32 v40, vcc, s22, v8
	v_addc_co_u32_e32 v41, vcc, v9, v41, vcc
	global_store_short v[40:41], v42, off
	s_branch .LBB114_3
.LBB114_44:
	s_mov_b64 s[0:1], 0
.LBB114_45:
	s_andn2_b64 vcc, exec, s[0:1]
	s_cbranch_vccnz .LBB114_49
; %bb.46:
	v_mov_b32_e32 v1, 0x10000
	v_mov_b32_e32 v2, 0
	v_cmp_lt_i64_e32 vcc, s[24:25], v[1:2]
	v_mov_b32_e32 v2, 0
	s_and_b64 s[0:1], vcc, exec
	s_cselect_b32 s1, s25, 0
	s_cselect_b32 s0, s24, 0x10000
	v_lshlrev_b32_e32 v1, 2, v0
	v_cmp_gt_i64_e32 vcc, s[0:1], v[1:2]
	s_and_saveexec_b64 s[2:3], vcc
	s_cbranch_execz .LBB114_49
; %bb.47:
	s_load_dword s2, s[4:5], 0xc3c
	v_mov_b32_e32 v1, v2
	v_lshlrev_b32_e32 v2, 3, v0
	v_mov_b32_e32 v4, s23
	v_add_co_u32_e32 v2, vcc, s22, v2
	s_waitcnt lgkmcnt(0)
	s_and_b32 s4, s2, 0xffff
	v_addc_co_u32_e32 v4, vcc, 0, v4, vcc
	s_lshl_b32 s5, s4, 3
	s_mov_b64 s[2:3], 0
	v_mov_b32_e32 v5, s15
	v_mov_b32_e32 v6, s17
	v_mov_b32_e32 v7, s19
	v_mov_b32_e32 v8, s21
.LBB114_48:                             ; =>This Inner Loop Header: Depth=1
	v_add_co_u32_e32 v9, vcc, s14, v2
	v_addc_co_u32_e32 v10, vcc, v5, v4, vcc
	v_add_co_u32_e32 v11, vcc, s16, v2
	v_addc_co_u32_e32 v12, vcc, v6, v4, vcc
	;; [unrolled: 2-line block ×3, first 2 shown]
	global_load_dwordx2 v[15:16], v[11:12], off
	global_load_dwordx2 v[17:18], v[13:14], off
	;; [unrolled: 1-line block ×3, first 2 shown]
	v_add_co_u32_e32 v9, vcc, s20, v2
	v_addc_co_u32_e32 v10, vcc, v8, v4, vcc
	v_add_co_u32_e32 v0, vcc, s4, v0
	v_addc_co_u32_e32 v1, vcc, 0, v1, vcc
	v_add_co_u32_e32 v2, vcc, s5, v2
	v_lshlrev_b64 v[11:12], 2, v[0:1]
	v_addc_co_u32_e32 v4, vcc, 0, v4, vcc
	v_cmp_le_i64_e32 vcc, s[0:1], v[11:12]
	s_or_b64 s[2:3], vcc, s[2:3]
	s_waitcnt vmcnt(2)
	v_cvt_f32_i32_sdwa v12, sext(v15) dst_sel:DWORD dst_unused:UNUSED_PAD src0_sel:WORD_0
	s_waitcnt vmcnt(1)
	v_cvt_f32_i32_sdwa v13, sext(v17) dst_sel:DWORD dst_unused:UNUSED_PAD src0_sel:WORD_0
	v_cvt_f32_i32_sdwa v24, sext(v17) dst_sel:DWORD dst_unused:UNUSED_PAD src0_sel:WORD_1
	v_xor_b32_sdwa v11, sext(v15), sext(v17) dst_sel:DWORD dst_unused:UNUSED_PAD src0_sel:WORD_0 src1_sel:WORD_0
	v_xor_b32_sdwa v22, sext(v15), sext(v17) dst_sel:DWORD dst_unused:UNUSED_PAD src0_sel:WORD_1 src1_sel:WORD_1
	v_cvt_f32_i32_sdwa v23, sext(v15) dst_sel:DWORD dst_unused:UNUSED_PAD src0_sel:WORD_1
	v_alignbit_b32 v15, v16, v15, 16
	v_alignbit_b32 v17, v18, v17, 16
	v_xor_b32_sdwa v25, sext(v16), sext(v18) dst_sel:DWORD dst_unused:UNUSED_PAD src0_sel:WORD_1 src1_sel:WORD_1
	v_cvt_f32_i32_sdwa v18, sext(v18) dst_sel:DWORD dst_unused:UNUSED_PAD src0_sel:WORD_1
	v_xor_b32_sdwa v26, sext(v15), sext(v17) dst_sel:DWORD dst_unused:UNUSED_PAD src0_sel:WORD_1 src1_sel:WORD_1
	v_cvt_f32_i32_sdwa v17, sext(v17) dst_sel:DWORD dst_unused:UNUSED_PAD src0_sel:WORD_1
	v_rcp_iflag_f32_e32 v27, v13
	v_rcp_iflag_f32_e32 v28, v24
	v_cvt_f32_i32_sdwa v16, sext(v16) dst_sel:DWORD dst_unused:UNUSED_PAD src0_sel:WORD_1
	v_rcp_iflag_f32_e32 v29, v18
	v_cvt_f32_i32_sdwa v15, sext(v15) dst_sel:DWORD dst_unused:UNUSED_PAD src0_sel:WORD_1
	v_rcp_iflag_f32_e32 v30, v17
	v_mul_f32_e32 v27, v12, v27
	v_mul_f32_e32 v28, v23, v28
	;; [unrolled: 1-line block ×3, first 2 shown]
	v_trunc_f32_e32 v27, v27
	v_trunc_f32_e32 v28, v28
	v_ashrrev_i32_e32 v11, 30, v11
	v_mul_f32_e32 v30, v15, v30
	v_trunc_f32_e32 v29, v29
	v_mad_f32 v12, -v27, v13, v12
	v_cvt_i32_f32_e32 v27, v27
	v_mad_f32 v23, -v28, v24, v23
	v_cvt_i32_f32_e32 v28, v28
	v_ashrrev_i32_e32 v22, 30, v22
	v_or_b32_e32 v11, 1, v11
	v_trunc_f32_e32 v30, v30
	v_mad_f32 v16, -v29, v18, v16
	v_cvt_i32_f32_e32 v29, v29
	v_cmp_ge_f32_e64 vcc, |v12|, |v13|
	v_ashrrev_i32_e32 v25, 30, v25
	v_or_b32_e32 v22, 1, v22
	v_cndmask_b32_e32 v11, 0, v11, vcc
	v_cmp_ge_f32_e64 vcc, |v23|, |v24|
	v_mad_f32 v13, -v30, v17, v15
	v_cvt_i32_f32_e32 v15, v30
	v_ashrrev_i32_e32 v26, 30, v26
	v_or_b32_e32 v25, 1, v25
	v_cndmask_b32_e32 v12, 0, v22, vcc
	v_cmp_ge_f32_e64 vcc, |v16|, |v18|
	s_waitcnt vmcnt(0)
	v_lshrrev_b32_e32 v14, 16, v19
	v_or_b32_e32 v26, 1, v26
	v_cndmask_b32_e32 v16, 0, v25, vcc
	v_cmp_ge_f32_e64 vcc, |v13|, |v17|
	v_add_u32_e32 v11, v27, v11
	v_add_u32_e32 v12, v28, v12
	v_lshrrev_b32_e32 v21, 16, v20
	v_cndmask_b32_e32 v13, 0, v26, vcc
	v_add_u32_e32 v16, v29, v16
	v_mul_lo_u16_e32 v11, v3, v11
	v_mad_legacy_u16 v12, v3, v12, v14
	v_add_u32_e32 v13, v15, v13
	v_mad_legacy_u16 v14, v3, v16, v21
	v_add_u16_e32 v11, v11, v19
	v_lshlrev_b32_e32 v12, 16, v12
	v_mad_legacy_u16 v13, v3, v13, v20
	v_lshlrev_b32_e32 v14, 16, v14
	v_or_b32_e32 v11, v12, v11
	v_or3_b32 v12, v13, 0, v14
	v_or3_b32 v11, 0, v11, 0
	global_store_dwordx2 v[9:10], v[11:12], off
	s_andn2_b64 exec, exec, s[2:3]
	s_cbranch_execnz .LBB114_48
.LBB114_49:
	s_endpgm
	.section	.rodata,"a",@progbits
	.p2align	6, 0x0
	.amdhsa_kernel _ZN2at6native12_GLOBAL__N_125multi_tensor_apply_kernelINS1_28TensorListScalarListMetadataIsLi4EEENS1_28PointwiseOpScalarListFunctorIsLi4ELi3ELi3EEEJSt7dividesIsEEEEvT_T0_DpT1_
		.amdhsa_group_segment_fixed_size 0
		.amdhsa_private_segment_fixed_size 0
		.amdhsa_kernarg_size 3376
		.amdhsa_user_sgpr_count 6
		.amdhsa_user_sgpr_private_segment_buffer 1
		.amdhsa_user_sgpr_dispatch_ptr 0
		.amdhsa_user_sgpr_queue_ptr 0
		.amdhsa_user_sgpr_kernarg_segment_ptr 1
		.amdhsa_user_sgpr_dispatch_id 0
		.amdhsa_user_sgpr_flat_scratch_init 0
		.amdhsa_user_sgpr_private_segment_size 0
		.amdhsa_uses_dynamic_stack 0
		.amdhsa_system_sgpr_private_segment_wavefront_offset 0
		.amdhsa_system_sgpr_workgroup_id_x 1
		.amdhsa_system_sgpr_workgroup_id_y 0
		.amdhsa_system_sgpr_workgroup_id_z 0
		.amdhsa_system_sgpr_workgroup_info 0
		.amdhsa_system_vgpr_workitem_id 0
		.amdhsa_next_free_vgpr 56
		.amdhsa_next_free_sgpr 37
		.amdhsa_reserve_vcc 1
		.amdhsa_reserve_flat_scratch 0
		.amdhsa_float_round_mode_32 0
		.amdhsa_float_round_mode_16_64 0
		.amdhsa_float_denorm_mode_32 3
		.amdhsa_float_denorm_mode_16_64 3
		.amdhsa_dx10_clamp 1
		.amdhsa_ieee_mode 1
		.amdhsa_fp16_overflow 0
		.amdhsa_exception_fp_ieee_invalid_op 0
		.amdhsa_exception_fp_denorm_src 0
		.amdhsa_exception_fp_ieee_div_zero 0
		.amdhsa_exception_fp_ieee_overflow 0
		.amdhsa_exception_fp_ieee_underflow 0
		.amdhsa_exception_fp_ieee_inexact 0
		.amdhsa_exception_int_div_zero 0
	.end_amdhsa_kernel
	.section	.text._ZN2at6native12_GLOBAL__N_125multi_tensor_apply_kernelINS1_28TensorListScalarListMetadataIsLi4EEENS1_28PointwiseOpScalarListFunctorIsLi4ELi3ELi3EEEJSt7dividesIsEEEEvT_T0_DpT1_,"axG",@progbits,_ZN2at6native12_GLOBAL__N_125multi_tensor_apply_kernelINS1_28TensorListScalarListMetadataIsLi4EEENS1_28PointwiseOpScalarListFunctorIsLi4ELi3ELi3EEEJSt7dividesIsEEEEvT_T0_DpT1_,comdat
.Lfunc_end114:
	.size	_ZN2at6native12_GLOBAL__N_125multi_tensor_apply_kernelINS1_28TensorListScalarListMetadataIsLi4EEENS1_28PointwiseOpScalarListFunctorIsLi4ELi3ELi3EEEJSt7dividesIsEEEEvT_T0_DpT1_, .Lfunc_end114-_ZN2at6native12_GLOBAL__N_125multi_tensor_apply_kernelINS1_28TensorListScalarListMetadataIsLi4EEENS1_28PointwiseOpScalarListFunctorIsLi4ELi3ELi3EEEJSt7dividesIsEEEEvT_T0_DpT1_
                                        ; -- End function
	.set _ZN2at6native12_GLOBAL__N_125multi_tensor_apply_kernelINS1_28TensorListScalarListMetadataIsLi4EEENS1_28PointwiseOpScalarListFunctorIsLi4ELi3ELi3EEEJSt7dividesIsEEEEvT_T0_DpT1_.num_vgpr, 56
	.set _ZN2at6native12_GLOBAL__N_125multi_tensor_apply_kernelINS1_28TensorListScalarListMetadataIsLi4EEENS1_28PointwiseOpScalarListFunctorIsLi4ELi3ELi3EEEJSt7dividesIsEEEEvT_T0_DpT1_.num_agpr, 0
	.set _ZN2at6native12_GLOBAL__N_125multi_tensor_apply_kernelINS1_28TensorListScalarListMetadataIsLi4EEENS1_28PointwiseOpScalarListFunctorIsLi4ELi3ELi3EEEJSt7dividesIsEEEEvT_T0_DpT1_.numbered_sgpr, 37
	.set _ZN2at6native12_GLOBAL__N_125multi_tensor_apply_kernelINS1_28TensorListScalarListMetadataIsLi4EEENS1_28PointwiseOpScalarListFunctorIsLi4ELi3ELi3EEEJSt7dividesIsEEEEvT_T0_DpT1_.num_named_barrier, 0
	.set _ZN2at6native12_GLOBAL__N_125multi_tensor_apply_kernelINS1_28TensorListScalarListMetadataIsLi4EEENS1_28PointwiseOpScalarListFunctorIsLi4ELi3ELi3EEEJSt7dividesIsEEEEvT_T0_DpT1_.private_seg_size, 0
	.set _ZN2at6native12_GLOBAL__N_125multi_tensor_apply_kernelINS1_28TensorListScalarListMetadataIsLi4EEENS1_28PointwiseOpScalarListFunctorIsLi4ELi3ELi3EEEJSt7dividesIsEEEEvT_T0_DpT1_.uses_vcc, 1
	.set _ZN2at6native12_GLOBAL__N_125multi_tensor_apply_kernelINS1_28TensorListScalarListMetadataIsLi4EEENS1_28PointwiseOpScalarListFunctorIsLi4ELi3ELi3EEEJSt7dividesIsEEEEvT_T0_DpT1_.uses_flat_scratch, 0
	.set _ZN2at6native12_GLOBAL__N_125multi_tensor_apply_kernelINS1_28TensorListScalarListMetadataIsLi4EEENS1_28PointwiseOpScalarListFunctorIsLi4ELi3ELi3EEEJSt7dividesIsEEEEvT_T0_DpT1_.has_dyn_sized_stack, 0
	.set _ZN2at6native12_GLOBAL__N_125multi_tensor_apply_kernelINS1_28TensorListScalarListMetadataIsLi4EEENS1_28PointwiseOpScalarListFunctorIsLi4ELi3ELi3EEEJSt7dividesIsEEEEvT_T0_DpT1_.has_recursion, 0
	.set _ZN2at6native12_GLOBAL__N_125multi_tensor_apply_kernelINS1_28TensorListScalarListMetadataIsLi4EEENS1_28PointwiseOpScalarListFunctorIsLi4ELi3ELi3EEEJSt7dividesIsEEEEvT_T0_DpT1_.has_indirect_call, 0
	.section	.AMDGPU.csdata,"",@progbits
; Kernel info:
; codeLenInByte = 2476
; TotalNumSgprs: 41
; NumVgprs: 56
; ScratchSize: 0
; MemoryBound: 0
; FloatMode: 240
; IeeeMode: 1
; LDSByteSize: 0 bytes/workgroup (compile time only)
; SGPRBlocks: 5
; VGPRBlocks: 13
; NumSGPRsForWavesPerEU: 41
; NumVGPRsForWavesPerEU: 56
; Occupancy: 4
; WaveLimiterHint : 0
; COMPUTE_PGM_RSRC2:SCRATCH_EN: 0
; COMPUTE_PGM_RSRC2:USER_SGPR: 6
; COMPUTE_PGM_RSRC2:TRAP_HANDLER: 0
; COMPUTE_PGM_RSRC2:TGID_X_EN: 1
; COMPUTE_PGM_RSRC2:TGID_Y_EN: 0
; COMPUTE_PGM_RSRC2:TGID_Z_EN: 0
; COMPUTE_PGM_RSRC2:TIDIG_COMP_CNT: 0
	.section	.text._ZN2at6native12_GLOBAL__N_125multi_tensor_apply_kernelINS1_28TensorListScalarListMetadataIdLi4EEENS1_28PointwiseOpScalarListFunctorIdLi4ELi3ELi3EEEJSt7dividesIdEEEEvT_T0_DpT1_,"axG",@progbits,_ZN2at6native12_GLOBAL__N_125multi_tensor_apply_kernelINS1_28TensorListScalarListMetadataIdLi4EEENS1_28PointwiseOpScalarListFunctorIdLi4ELi3ELi3EEEJSt7dividesIdEEEEvT_T0_DpT1_,comdat
	.globl	_ZN2at6native12_GLOBAL__N_125multi_tensor_apply_kernelINS1_28TensorListScalarListMetadataIdLi4EEENS1_28PointwiseOpScalarListFunctorIdLi4ELi3ELi3EEEJSt7dividesIdEEEEvT_T0_DpT1_ ; -- Begin function _ZN2at6native12_GLOBAL__N_125multi_tensor_apply_kernelINS1_28TensorListScalarListMetadataIdLi4EEENS1_28PointwiseOpScalarListFunctorIdLi4ELi3ELi3EEEJSt7dividesIdEEEEvT_T0_DpT1_
	.p2align	8
	.type	_ZN2at6native12_GLOBAL__N_125multi_tensor_apply_kernelINS1_28TensorListScalarListMetadataIdLi4EEENS1_28PointwiseOpScalarListFunctorIdLi4ELi3ELi3EEEJSt7dividesIdEEEEvT_T0_DpT1_,@function
_ZN2at6native12_GLOBAL__N_125multi_tensor_apply_kernelINS1_28TensorListScalarListMetadataIdLi4EEENS1_28PointwiseOpScalarListFunctorIdLi4ELi3ELi3EEEJSt7dividesIdEEEEvT_T0_DpT1_: ; @_ZN2at6native12_GLOBAL__N_125multi_tensor_apply_kernelINS1_28TensorListScalarListMetadataIdLi4EEENS1_28PointwiseOpScalarListFunctorIdLi4ELi3ELi3EEEJSt7dividesIdEEEEvT_T0_DpT1_
; %bb.0:
	v_mov_b32_e32 v1, s6
	global_load_ubyte v1, v1, s[4:5] offset:1728
	s_add_u32 s0, s4, s6
	s_mul_hi_u32 s3, s6, 3
	s_mul_i32 s6, s6, 3
	s_addc_u32 s7, s5, 0
	s_add_u32 s2, s0, s6
	s_addc_u32 s3, s7, s3
	s_load_dword s20, s[2:3], 0x800
	s_mov_b32 s1, 0
	s_mov_b32 s17, s1
	;; [unrolled: 1-line block ×3, first 2 shown]
	s_waitcnt lgkmcnt(0)
	s_ashr_i32 s21, s20, 31
	s_lshl_b64 s[14:15], s[20:21], 19
	s_waitcnt vmcnt(0)
	v_readfirstlane_b32 s0, v1
	s_lshl_b32 s0, s0, 3
	s_load_dwordx2 s[22:23], s[4:5], s0 offset:0x480
	s_load_dwordx2 s[12:13], s[4:5], s0 offset:0x5a0
	;; [unrolled: 1-line block ×6, first 2 shown]
	s_waitcnt lgkmcnt(0)
	s_add_u32 s26, s10, s14
	s_addc_u32 s27, s11, s15
	s_and_b32 s0, s26, 31
	s_add_u32 s28, s8, s14
	s_addc_u32 s29, s9, s15
	s_and_b32 s16, s28, 31
	s_cmp_eq_u64 s[16:17], 0
	s_cselect_b64 s[16:17], -1, 0
	s_add_u32 s30, s6, s14
	s_addc_u32 s31, s7, s15
	s_add_u32 s33, s2, s14
	s_addc_u32 s34, s3, s15
	s_or_b32 s18, s33, s30
	s_and_b32 s18, s18, 31
	s_cmp_eq_u32 s18, 0
	s_cselect_b64 s[24:25], -1, 0
	s_lshl_b64 s[20:21], s[20:21], 16
	s_and_b64 s[24:25], s[24:25], s[16:17]
	s_sub_u32 s16, s22, s20
	s_subb_u32 s17, s23, s21
	s_and_b32 s18, s22, 3
	s_or_b64 s[0:1], s[0:1], s[18:19]
	s_cmp_eq_u64 s[0:1], 0
	s_cselect_b64 s[0:1], -1, 0
	s_and_b64 s[18:19], s[24:25], s[0:1]
	s_mov_b64 s[0:1], -1
	s_and_b64 vcc, exec, s[18:19]
	s_cbranch_vccnz .LBB115_29
; %bb.1:
	v_cmp_lt_i64_e64 s[0:1], s[16:17], 1
	s_and_b64 vcc, exec, s[0:1]
	s_cbranch_vccnz .LBB115_28
; %bb.2:
	v_mov_b32_e32 v1, 0x10000
	s_load_dword s20, s[4:5], 0xd14
	v_mov_b32_e32 v2, 0
	v_cmp_lt_i64_e32 vcc, s[16:17], v[1:2]
	v_mov_b32_e32 v3, 0
	s_and_b64 s[0:1], vcc, exec
	s_cselect_b32 s19, s17, 0
	s_cselect_b32 s18, s16, 0x10000
	v_cmp_lt_u64_e32 vcc, s[16:17], v[1:2]
	s_waitcnt lgkmcnt(0)
	s_and_b32 s22, s20, 0xffff
	v_lshlrev_b32_e32 v2, 3, v0
	v_mad_u64_u32 v[3:4], s[0:1], s22, 24, v[2:3]
	s_and_b64 s[0:1], vcc, exec
	v_mov_b32_e32 v7, s11
	v_add_co_u32_e32 v25, vcc, s10, v3
	v_addc_co_u32_e32 v26, vcc, v7, v4, vcc
	v_mov_b32_e32 v7, s9
	v_add_co_u32_e32 v27, vcc, s8, v3
	v_addc_co_u32_e32 v28, vcc, v7, v4, vcc
	;; [unrolled: 3-line block ×3, first 2 shown]
	v_mov_b32_e32 v7, s3
	v_add_co_u32_e32 v31, vcc, s2, v3
	s_cselect_b32 s21, s17, 0
	s_cselect_b32 s20, s16, 0x10000
	v_addc_co_u32_e32 v32, vcc, v7, v4, vcc
	s_lshl_b32 s0, s22, 4
	v_add_co_u32_e32 v4, vcc, s0, v2
	v_addc_co_u32_e64 v7, s[0:1], 0, 0, vcc
	v_mov_b32_e32 v8, s11
	v_add_co_u32_e32 v33, vcc, s10, v4
	v_addc_co_u32_e32 v34, vcc, v8, v7, vcc
	v_mov_b32_e32 v8, s9
	v_add_co_u32_e32 v35, vcc, s8, v4
	v_addc_co_u32_e32 v36, vcc, v8, v7, vcc
	;; [unrolled: 3-line block ×8, first 2 shown]
	v_add_co_u32_e32 v49, vcc, s22, v0
	v_lshlrev_b32_e32 v1, 3, v49
	s_lshl_b32 s24, s22, 1
	s_mul_i32 s25, s22, 3
	s_lshl_b32 s35, s22, 2
	s_lshl_b32 s36, s22, 5
	v_addc_co_u32_e64 v50, s[22:23], 0, 0, vcc
	v_mov_b32_e32 v2, s11
	v_add_co_u32_e32 v51, vcc, s10, v1
	v_addc_co_u32_e32 v52, vcc, 0, v2, vcc
	v_mov_b32_e32 v2, s9
	v_add_co_u32_e32 v53, vcc, s8, v1
	v_cmp_eq_f64_e64 s[0:1], s[12:13], 1.0
	v_addc_co_u32_e32 v54, vcc, 0, v2, vcc
	v_mov_b32_e32 v2, s7
	v_add_co_u32_e32 v55, vcc, s6, v1
	v_addc_co_u32_e32 v56, vcc, 0, v2, vcc
	v_mov_b32_e32 v2, s3
	v_add_co_u32_e32 v57, vcc, s2, v1
	v_addc_co_u32_e32 v58, vcc, 0, v2, vcc
	v_add_co_u32_e32 v59, vcc, s25, v0
	v_addc_co_u32_e64 v60, s[2:3], 0, 0, vcc
	v_add_co_u32_e32 v61, vcc, s24, v0
	s_mov_b64 s[22:23], 0
	v_addc_co_u32_e64 v62, s[2:3], 0, 0, vcc
	s_branch .LBB115_4
.LBB115_3:                              ;   in Loop: Header=BB115_4 Depth=1
	s_or_b64 exec, exec, s[2:3]
	v_add_co_u32_e32 v41, vcc, s36, v41
	v_addc_co_u32_e32 v42, vcc, 0, v42, vcc
	v_add_co_u32_e32 v43, vcc, s36, v43
	v_addc_co_u32_e32 v44, vcc, 0, v44, vcc
	;; [unrolled: 2-line block ×14, first 2 shown]
	s_add_u32 s22, s22, s35
	v_add_co_u32_e32 v55, vcc, s36, v55
	s_waitcnt vmcnt(0)
	v_mov_b32_e32 v1, s18
	s_addc_u32 s23, s23, 0
	v_addc_co_u32_e32 v56, vcc, 0, v56, vcc
	v_mov_b32_e32 v2, s19
	v_cmp_lt_i64_e32 vcc, s[22:23], v[1:2]
	v_add_co_u32_e64 v57, s[2:3], s36, v57
	v_addc_co_u32_e64 v58, s[2:3], 0, v58, s[2:3]
	s_cbranch_vccz .LBB115_28
.LBB115_4:                              ; =>This Inner Loop Header: Depth=1
	v_mov_b32_e32 v2, s23
	v_add_co_u32_e32 v1, vcc, s22, v0
	v_addc_co_u32_e32 v2, vcc, 0, v2, vcc
	v_cmp_gt_u64_e32 vcc, s[20:21], v[1:2]
	v_mov_b32_e32 v1, 0
	v_mov_b32_e32 v5, 0
	;; [unrolled: 1-line block ×6, first 2 shown]
	s_and_saveexec_b64 s[6:7], vcc
	s_cbranch_execz .LBB115_6
; %bb.5:                                ;   in Loop: Header=BB115_4 Depth=1
	v_mov_b32_e32 v3, s15
	v_add_co_u32_e64 v7, s[2:3], s14, v41
	v_addc_co_u32_e64 v8, s[2:3], v42, v3, s[2:3]
	v_add_co_u32_e64 v9, s[2:3], s14, v43
	v_addc_co_u32_e64 v10, s[2:3], v44, v3, s[2:3]
	global_load_dwordx2 v[3:4], v[7:8], off
	global_load_dwordx2 v[5:6], v[9:10], off
.LBB115_6:                              ;   in Loop: Header=BB115_4 Depth=1
	s_or_b64 exec, exec, s[6:7]
	s_and_saveexec_b64 s[6:7], vcc
	s_cbranch_execz .LBB115_8
; %bb.7:                                ;   in Loop: Header=BB115_4 Depth=1
	v_mov_b32_e32 v2, s15
	v_add_co_u32_e64 v1, s[2:3], s14, v45
	v_addc_co_u32_e64 v2, s[2:3], v46, v2, s[2:3]
	global_load_dwordx2 v[1:2], v[1:2], off
.LBB115_8:                              ;   in Loop: Header=BB115_4 Depth=1
	s_or_b64 exec, exec, s[6:7]
	v_mov_b32_e32 v8, s23
	v_add_co_u32_e64 v7, s[2:3], s22, v49
	v_addc_co_u32_e64 v8, s[2:3], v50, v8, s[2:3]
	v_cmp_gt_u64_e64 s[2:3], s[20:21], v[7:8]
	v_mov_b32_e32 v7, 0
	v_mov_b32_e32 v11, 0
	;; [unrolled: 1-line block ×6, first 2 shown]
	s_and_saveexec_b64 s[8:9], s[2:3]
	s_cbranch_execz .LBB115_10
; %bb.9:                                ;   in Loop: Header=BB115_4 Depth=1
	v_mov_b32_e32 v9, s15
	v_add_co_u32_e64 v13, s[6:7], s14, v51
	v_addc_co_u32_e64 v14, s[6:7], v52, v9, s[6:7]
	v_add_co_u32_e64 v15, s[6:7], s14, v53
	v_addc_co_u32_e64 v16, s[6:7], v54, v9, s[6:7]
	global_load_dwordx2 v[9:10], v[13:14], off
	global_load_dwordx2 v[11:12], v[15:16], off
.LBB115_10:                             ;   in Loop: Header=BB115_4 Depth=1
	s_or_b64 exec, exec, s[8:9]
	s_and_saveexec_b64 s[8:9], s[2:3]
	s_cbranch_execz .LBB115_12
; %bb.11:                               ;   in Loop: Header=BB115_4 Depth=1
	v_mov_b32_e32 v8, s15
	v_add_co_u32_e64 v7, s[6:7], s14, v55
	v_addc_co_u32_e64 v8, s[6:7], v56, v8, s[6:7]
	global_load_dwordx2 v[7:8], v[7:8], off
.LBB115_12:                             ;   in Loop: Header=BB115_4 Depth=1
	s_or_b64 exec, exec, s[8:9]
	v_mov_b32_e32 v14, s23
	v_add_co_u32_e64 v13, s[6:7], s22, v61
	v_addc_co_u32_e64 v14, s[6:7], v62, v14, s[6:7]
	v_cmp_gt_u64_e64 s[6:7], s[20:21], v[13:14]
	v_mov_b32_e32 v13, 0
	v_mov_b32_e32 v17, 0
	;; [unrolled: 1-line block ×6, first 2 shown]
	s_and_saveexec_b64 s[10:11], s[6:7]
	s_cbranch_execz .LBB115_14
; %bb.13:                               ;   in Loop: Header=BB115_4 Depth=1
	v_mov_b32_e32 v15, s15
	v_add_co_u32_e64 v19, s[8:9], s14, v33
	v_addc_co_u32_e64 v20, s[8:9], v34, v15, s[8:9]
	v_add_co_u32_e64 v21, s[8:9], s14, v35
	v_addc_co_u32_e64 v22, s[8:9], v36, v15, s[8:9]
	global_load_dwordx2 v[15:16], v[19:20], off
	global_load_dwordx2 v[17:18], v[21:22], off
.LBB115_14:                             ;   in Loop: Header=BB115_4 Depth=1
	s_or_b64 exec, exec, s[10:11]
	s_and_saveexec_b64 s[10:11], s[6:7]
	s_cbranch_execz .LBB115_16
; %bb.15:                               ;   in Loop: Header=BB115_4 Depth=1
	v_mov_b32_e32 v14, s15
	v_add_co_u32_e64 v13, s[8:9], s14, v37
	v_addc_co_u32_e64 v14, s[8:9], v38, v14, s[8:9]
	global_load_dwordx2 v[13:14], v[13:14], off
.LBB115_16:                             ;   in Loop: Header=BB115_4 Depth=1
	s_or_b64 exec, exec, s[10:11]
	v_mov_b32_e32 v20, s23
	v_add_co_u32_e64 v19, s[8:9], s22, v59
	v_addc_co_u32_e64 v20, s[8:9], v60, v20, s[8:9]
	v_cmp_gt_u64_e64 s[8:9], s[20:21], v[19:20]
	v_mov_b32_e32 v19, 0
	v_mov_b32_e32 v23, 0
	;; [unrolled: 1-line block ×6, first 2 shown]
	s_and_saveexec_b64 s[24:25], s[8:9]
	s_cbranch_execnz .LBB115_22
; %bb.17:                               ;   in Loop: Header=BB115_4 Depth=1
	s_or_b64 exec, exec, s[24:25]
	s_and_saveexec_b64 s[24:25], s[8:9]
	s_cbranch_execnz .LBB115_23
.LBB115_18:                             ;   in Loop: Header=BB115_4 Depth=1
	s_or_b64 exec, exec, s[24:25]
	s_and_saveexec_b64 s[10:11], vcc
	s_cbranch_execnz .LBB115_24
.LBB115_19:                             ;   in Loop: Header=BB115_4 Depth=1
	s_or_b64 exec, exec, s[10:11]
	s_and_saveexec_b64 s[10:11], s[2:3]
	s_cbranch_execnz .LBB115_25
.LBB115_20:                             ;   in Loop: Header=BB115_4 Depth=1
	s_or_b64 exec, exec, s[10:11]
	s_and_saveexec_b64 s[2:3], s[6:7]
	s_cbranch_execnz .LBB115_26
.LBB115_21:                             ;   in Loop: Header=BB115_4 Depth=1
	s_or_b64 exec, exec, s[2:3]
	s_and_saveexec_b64 s[2:3], s[8:9]
	s_cbranch_execz .LBB115_3
	s_branch .LBB115_27
.LBB115_22:                             ;   in Loop: Header=BB115_4 Depth=1
	v_mov_b32_e32 v24, s15
	v_add_co_u32_e64 v21, s[10:11], s14, v25
	v_addc_co_u32_e64 v22, s[10:11], v26, v24, s[10:11]
	v_add_co_u32_e64 v23, s[10:11], s14, v27
	v_addc_co_u32_e64 v24, s[10:11], v28, v24, s[10:11]
	global_load_dwordx2 v[21:22], v[21:22], off
	s_nop 0
	global_load_dwordx2 v[23:24], v[23:24], off
	s_or_b64 exec, exec, s[24:25]
	s_and_saveexec_b64 s[24:25], s[8:9]
	s_cbranch_execz .LBB115_18
.LBB115_23:                             ;   in Loop: Header=BB115_4 Depth=1
	v_mov_b32_e32 v20, s15
	v_add_co_u32_e64 v19, s[10:11], s14, v29
	v_addc_co_u32_e64 v20, s[10:11], v30, v20, s[10:11]
	global_load_dwordx2 v[19:20], v[19:20], off
	s_or_b64 exec, exec, s[24:25]
	s_and_saveexec_b64 s[10:11], vcc
	s_cbranch_execz .LBB115_19
.LBB115_24:                             ;   in Loop: Header=BB115_4 Depth=1
	s_waitcnt vmcnt(0)
	v_div_scale_f64 v[63:64], s[24:25], v[1:2], v[1:2], v[5:6]
	v_rcp_f64_e32 v[65:66], v[63:64]
	v_fma_f64 v[67:68], -v[63:64], v[65:66], 1.0
	v_fma_f64 v[65:66], v[65:66], v[67:68], v[65:66]
	v_div_scale_f64 v[67:68], vcc, v[5:6], v[1:2], v[5:6]
	v_fma_f64 v[69:70], -v[63:64], v[65:66], 1.0
	v_fma_f64 v[65:66], v[65:66], v[69:70], v[65:66]
	v_mul_f64 v[69:70], v[67:68], v[65:66]
	v_fma_f64 v[63:64], -v[63:64], v[69:70], v[67:68]
	v_div_fmas_f64 v[63:64], v[63:64], v[65:66], v[69:70]
	v_div_fixup_f64 v[1:2], v[63:64], v[1:2], v[5:6]
	v_add_f64 v[5:6], v[3:4], v[1:2]
	v_fma_f64 v[1:2], s[12:13], v[1:2], v[3:4]
	v_mov_b32_e32 v4, s15
	v_add_co_u32_e32 v3, vcc, s14, v47
	v_addc_co_u32_e32 v4, vcc, v48, v4, vcc
	v_cndmask_b32_e64 v2, v2, v6, s[0:1]
	v_cndmask_b32_e64 v1, v1, v5, s[0:1]
	global_store_dwordx2 v[3:4], v[1:2], off
	s_or_b64 exec, exec, s[10:11]
	s_and_saveexec_b64 s[10:11], s[2:3]
	s_cbranch_execz .LBB115_20
.LBB115_25:                             ;   in Loop: Header=BB115_4 Depth=1
	s_waitcnt vmcnt(0)
	v_div_scale_f64 v[1:2], s[2:3], v[7:8], v[7:8], v[11:12]
	v_rcp_f64_e32 v[3:4], v[1:2]
	v_fma_f64 v[5:6], -v[1:2], v[3:4], 1.0
	v_fma_f64 v[3:4], v[3:4], v[5:6], v[3:4]
	v_div_scale_f64 v[5:6], vcc, v[11:12], v[7:8], v[11:12]
	v_fma_f64 v[63:64], -v[1:2], v[3:4], 1.0
	v_fma_f64 v[3:4], v[3:4], v[63:64], v[3:4]
	v_mul_f64 v[63:64], v[5:6], v[3:4]
	v_fma_f64 v[1:2], -v[1:2], v[63:64], v[5:6]
	v_mov_b32_e32 v5, s15
	v_div_fmas_f64 v[1:2], v[1:2], v[3:4], v[63:64]
	v_div_fixup_f64 v[1:2], v[1:2], v[7:8], v[11:12]
	v_add_f64 v[3:4], v[9:10], v[1:2]
	v_fma_f64 v[1:2], s[12:13], v[1:2], v[9:10]
	v_cndmask_b32_e64 v1, v1, v3, s[0:1]
	v_add_co_u32_e32 v3, vcc, s14, v57
	v_cndmask_b32_e64 v2, v2, v4, s[0:1]
	v_addc_co_u32_e32 v4, vcc, v58, v5, vcc
	global_store_dwordx2 v[3:4], v[1:2], off
	s_or_b64 exec, exec, s[10:11]
	s_and_saveexec_b64 s[2:3], s[6:7]
	s_cbranch_execz .LBB115_21
.LBB115_26:                             ;   in Loop: Header=BB115_4 Depth=1
	s_waitcnt vmcnt(0)
	v_div_scale_f64 v[1:2], s[6:7], v[13:14], v[13:14], v[17:18]
	v_rcp_f64_e32 v[3:4], v[1:2]
	v_fma_f64 v[5:6], -v[1:2], v[3:4], 1.0
	v_fma_f64 v[3:4], v[3:4], v[5:6], v[3:4]
	v_div_scale_f64 v[5:6], vcc, v[17:18], v[13:14], v[17:18]
	v_fma_f64 v[7:8], -v[1:2], v[3:4], 1.0
	v_fma_f64 v[3:4], v[3:4], v[7:8], v[3:4]
	v_mul_f64 v[7:8], v[5:6], v[3:4]
	v_fma_f64 v[1:2], -v[1:2], v[7:8], v[5:6]
	v_mov_b32_e32 v5, s15
	v_div_fmas_f64 v[1:2], v[1:2], v[3:4], v[7:8]
	v_div_fixup_f64 v[1:2], v[1:2], v[13:14], v[17:18]
	v_add_f64 v[3:4], v[15:16], v[1:2]
	v_fma_f64 v[1:2], s[12:13], v[1:2], v[15:16]
	v_cndmask_b32_e64 v1, v1, v3, s[0:1]
	v_add_co_u32_e32 v3, vcc, s14, v39
	v_cndmask_b32_e64 v2, v2, v4, s[0:1]
	v_addc_co_u32_e32 v4, vcc, v40, v5, vcc
	global_store_dwordx2 v[3:4], v[1:2], off
	s_or_b64 exec, exec, s[2:3]
	s_and_saveexec_b64 s[2:3], s[8:9]
	s_cbranch_execz .LBB115_3
.LBB115_27:                             ;   in Loop: Header=BB115_4 Depth=1
	s_waitcnt vmcnt(0)
	v_div_scale_f64 v[1:2], s[6:7], v[19:20], v[19:20], v[23:24]
	v_rcp_f64_e32 v[3:4], v[1:2]
	v_fma_f64 v[5:6], -v[1:2], v[3:4], 1.0
	v_fma_f64 v[3:4], v[3:4], v[5:6], v[3:4]
	v_div_scale_f64 v[5:6], vcc, v[23:24], v[19:20], v[23:24]
	v_fma_f64 v[7:8], -v[1:2], v[3:4], 1.0
	v_fma_f64 v[3:4], v[3:4], v[7:8], v[3:4]
	v_mul_f64 v[7:8], v[5:6], v[3:4]
	v_fma_f64 v[1:2], -v[1:2], v[7:8], v[5:6]
	v_mov_b32_e32 v5, s15
	v_div_fmas_f64 v[1:2], v[1:2], v[3:4], v[7:8]
	v_div_fixup_f64 v[1:2], v[1:2], v[19:20], v[23:24]
	v_add_f64 v[3:4], v[21:22], v[1:2]
	v_fma_f64 v[1:2], s[12:13], v[1:2], v[21:22]
	v_cndmask_b32_e64 v1, v1, v3, s[0:1]
	v_add_co_u32_e32 v3, vcc, s14, v31
	v_cndmask_b32_e64 v2, v2, v4, s[0:1]
	v_addc_co_u32_e32 v4, vcc, v32, v5, vcc
	global_store_dwordx2 v[3:4], v[1:2], off
	s_branch .LBB115_3
.LBB115_28:
	s_mov_b64 s[0:1], 0
.LBB115_29:
	s_andn2_b64 vcc, exec, s[0:1]
	s_cbranch_vccnz .LBB115_33
; %bb.30:
	v_mov_b32_e32 v1, 0x10000
	v_mov_b32_e32 v2, 0
	v_cmp_lt_i64_e32 vcc, s[16:17], v[1:2]
	v_mov_b32_e32 v2, 0
	s_and_b64 s[0:1], vcc, exec
	s_cselect_b32 s9, s17, 0
	s_cselect_b32 s8, s16, 0x10000
	v_lshlrev_b32_e32 v1, 2, v0
	v_cmp_gt_i64_e32 vcc, s[8:9], v[1:2]
	s_and_saveexec_b64 s[0:1], vcc
	s_cbranch_execz .LBB115_33
; %bb.31:
	v_cmp_eq_f64_e64 s[0:1], s[12:13], 1.0
	s_load_dword s2, s[4:5], 0xd14
	v_mov_b32_e32 v1, v2
	v_lshlrev_b32_e32 v2, 5, v0
	s_mov_b64 s[10:11], 0
	s_waitcnt lgkmcnt(0)
	s_and_b32 s14, s2, 0xffff
	s_lshl_b32 s15, s14, 5
.LBB115_32:                             ; =>This Inner Loop Header: Depth=1
	v_mov_b32_e32 v4, s31
	v_add_co_u32_e32 v19, vcc, s30, v2
	v_mov_b32_e32 v3, s29
	v_add_co_u32_e64 v21, s[2:3], s28, v2
	v_addc_co_u32_e32 v20, vcc, 0, v4, vcc
	v_addc_co_u32_e64 v22, s[2:3], 0, v3, s[2:3]
	global_load_dwordx4 v[3:6], v[19:20], off
	global_load_dwordx4 v[7:10], v[21:22], off
	global_load_dwordx4 v[11:14], v[21:22], off offset:16
	global_load_dwordx4 v[15:18], v[19:20], off offset:16
	v_add_co_u32_e64 v0, s[2:3], s14, v0
	v_addc_co_u32_e64 v1, s[2:3], 0, v1, s[2:3]
	v_mov_b32_e32 v19, s27
	v_add_co_u32_e64 v29, s[2:3], s26, v2
	v_addc_co_u32_e64 v30, s[2:3], 0, v19, s[2:3]
	v_mov_b32_e32 v20, s34
	v_add_co_u32_e32 v27, vcc, s33, v2
	v_addc_co_u32_e32 v28, vcc, 0, v20, vcc
	global_load_dwordx4 v[19:22], v[29:30], off offset:16
	global_load_dwordx4 v[23:26], v[29:30], off
	s_add_u32 s33, s33, s15
	s_addc_u32 s34, s34, 0
	s_add_u32 s26, s26, s15
	s_addc_u32 s27, s27, 0
	v_lshlrev_b64 v[31:32], 2, v[0:1]
	s_add_u32 s30, s30, s15
	s_addc_u32 s31, s31, 0
	s_add_u32 s28, s28, s15
	s_addc_u32 s29, s29, 0
	s_waitcnt vmcnt(4)
	v_div_scale_f64 v[33:34], s[2:3], v[3:4], v[3:4], v[7:8]
	v_div_scale_f64 v[35:36], s[2:3], v[5:6], v[5:6], v[9:10]
	s_waitcnt vmcnt(2)
	v_div_scale_f64 v[37:38], s[2:3], v[15:16], v[15:16], v[11:12]
	v_div_scale_f64 v[39:40], s[2:3], v[17:18], v[17:18], v[13:14]
	v_div_scale_f64 v[29:30], vcc, v[7:8], v[3:4], v[7:8]
	v_div_scale_f64 v[49:50], s[2:3], v[9:10], v[5:6], v[9:10]
	v_div_scale_f64 v[51:52], s[4:5], v[11:12], v[15:16], v[11:12]
	;; [unrolled: 1-line block ×3, first 2 shown]
	v_rcp_f64_e32 v[41:42], v[33:34]
	v_rcp_f64_e32 v[43:44], v[35:36]
	;; [unrolled: 1-line block ×4, first 2 shown]
	v_fma_f64 v[55:56], -v[33:34], v[41:42], 1.0
	v_fma_f64 v[57:58], -v[35:36], v[43:44], 1.0
	;; [unrolled: 1-line block ×4, first 2 shown]
	v_fma_f64 v[41:42], v[41:42], v[55:56], v[41:42]
	v_fma_f64 v[43:44], v[43:44], v[57:58], v[43:44]
	;; [unrolled: 1-line block ×4, first 2 shown]
	v_fma_f64 v[55:56], -v[33:34], v[41:42], 1.0
	v_fma_f64 v[57:58], -v[35:36], v[43:44], 1.0
	;; [unrolled: 1-line block ×4, first 2 shown]
	v_fma_f64 v[41:42], v[41:42], v[55:56], v[41:42]
	v_fma_f64 v[43:44], v[43:44], v[57:58], v[43:44]
	;; [unrolled: 1-line block ×4, first 2 shown]
	v_mul_f64 v[55:56], v[29:30], v[41:42]
	v_mul_f64 v[57:58], v[49:50], v[43:44]
	;; [unrolled: 1-line block ×4, first 2 shown]
	v_fma_f64 v[29:30], -v[33:34], v[55:56], v[29:30]
	v_fma_f64 v[33:34], -v[35:36], v[57:58], v[49:50]
	;; [unrolled: 1-line block ×4, first 2 shown]
	v_div_fmas_f64 v[29:30], v[29:30], v[41:42], v[55:56]
	s_mov_b64 vcc, s[2:3]
	v_div_fmas_f64 v[33:34], v[33:34], v[43:44], v[57:58]
	s_mov_b64 vcc, s[4:5]
	;; [unrolled: 2-line block ×3, first 2 shown]
	v_div_fmas_f64 v[37:38], v[37:38], v[47:48], v[61:62]
	v_cmp_le_i64_e32 vcc, s[8:9], v[31:32]
	s_or_b64 s[10:11], vcc, s[10:11]
	v_div_fixup_f64 v[3:4], v[29:30], v[3:4], v[7:8]
	v_div_fixup_f64 v[5:6], v[33:34], v[5:6], v[9:10]
	;; [unrolled: 1-line block ×4, first 2 shown]
	s_waitcnt vmcnt(0)
	v_add_f64 v[11:12], v[23:24], v[3:4]
	v_fma_f64 v[3:4], s[12:13], v[3:4], v[23:24]
	v_add_f64 v[13:14], v[25:26], v[5:6]
	v_fma_f64 v[5:6], s[12:13], v[5:6], v[25:26]
	;; [unrolled: 2-line block ×4, first 2 shown]
	v_cndmask_b32_e64 v4, v4, v12, s[0:1]
	v_cndmask_b32_e64 v3, v3, v11, s[0:1]
	;; [unrolled: 1-line block ×8, first 2 shown]
	global_store_dwordx4 v[27:28], v[3:6], off
	global_store_dwordx4 v[27:28], v[7:10], off offset:16
	s_andn2_b64 exec, exec, s[10:11]
	s_cbranch_execnz .LBB115_32
.LBB115_33:
	s_endpgm
	.section	.rodata,"a",@progbits
	.p2align	6, 0x0
	.amdhsa_kernel _ZN2at6native12_GLOBAL__N_125multi_tensor_apply_kernelINS1_28TensorListScalarListMetadataIdLi4EEENS1_28PointwiseOpScalarListFunctorIdLi4ELi3ELi3EEEJSt7dividesIdEEEEvT_T0_DpT1_
		.amdhsa_group_segment_fixed_size 0
		.amdhsa_private_segment_fixed_size 0
		.amdhsa_kernarg_size 3592
		.amdhsa_user_sgpr_count 6
		.amdhsa_user_sgpr_private_segment_buffer 1
		.amdhsa_user_sgpr_dispatch_ptr 0
		.amdhsa_user_sgpr_queue_ptr 0
		.amdhsa_user_sgpr_kernarg_segment_ptr 1
		.amdhsa_user_sgpr_dispatch_id 0
		.amdhsa_user_sgpr_flat_scratch_init 0
		.amdhsa_user_sgpr_private_segment_size 0
		.amdhsa_uses_dynamic_stack 0
		.amdhsa_system_sgpr_private_segment_wavefront_offset 0
		.amdhsa_system_sgpr_workgroup_id_x 1
		.amdhsa_system_sgpr_workgroup_id_y 0
		.amdhsa_system_sgpr_workgroup_id_z 0
		.amdhsa_system_sgpr_workgroup_info 0
		.amdhsa_system_vgpr_workitem_id 0
		.amdhsa_next_free_vgpr 71
		.amdhsa_next_free_sgpr 37
		.amdhsa_reserve_vcc 1
		.amdhsa_reserve_flat_scratch 0
		.amdhsa_float_round_mode_32 0
		.amdhsa_float_round_mode_16_64 0
		.amdhsa_float_denorm_mode_32 3
		.amdhsa_float_denorm_mode_16_64 3
		.amdhsa_dx10_clamp 1
		.amdhsa_ieee_mode 1
		.amdhsa_fp16_overflow 0
		.amdhsa_exception_fp_ieee_invalid_op 0
		.amdhsa_exception_fp_denorm_src 0
		.amdhsa_exception_fp_ieee_div_zero 0
		.amdhsa_exception_fp_ieee_overflow 0
		.amdhsa_exception_fp_ieee_underflow 0
		.amdhsa_exception_fp_ieee_inexact 0
		.amdhsa_exception_int_div_zero 0
	.end_amdhsa_kernel
	.section	.text._ZN2at6native12_GLOBAL__N_125multi_tensor_apply_kernelINS1_28TensorListScalarListMetadataIdLi4EEENS1_28PointwiseOpScalarListFunctorIdLi4ELi3ELi3EEEJSt7dividesIdEEEEvT_T0_DpT1_,"axG",@progbits,_ZN2at6native12_GLOBAL__N_125multi_tensor_apply_kernelINS1_28TensorListScalarListMetadataIdLi4EEENS1_28PointwiseOpScalarListFunctorIdLi4ELi3ELi3EEEJSt7dividesIdEEEEvT_T0_DpT1_,comdat
.Lfunc_end115:
	.size	_ZN2at6native12_GLOBAL__N_125multi_tensor_apply_kernelINS1_28TensorListScalarListMetadataIdLi4EEENS1_28PointwiseOpScalarListFunctorIdLi4ELi3ELi3EEEJSt7dividesIdEEEEvT_T0_DpT1_, .Lfunc_end115-_ZN2at6native12_GLOBAL__N_125multi_tensor_apply_kernelINS1_28TensorListScalarListMetadataIdLi4EEENS1_28PointwiseOpScalarListFunctorIdLi4ELi3ELi3EEEJSt7dividesIdEEEEvT_T0_DpT1_
                                        ; -- End function
	.set _ZN2at6native12_GLOBAL__N_125multi_tensor_apply_kernelINS1_28TensorListScalarListMetadataIdLi4EEENS1_28PointwiseOpScalarListFunctorIdLi4ELi3ELi3EEEJSt7dividesIdEEEEvT_T0_DpT1_.num_vgpr, 71
	.set _ZN2at6native12_GLOBAL__N_125multi_tensor_apply_kernelINS1_28TensorListScalarListMetadataIdLi4EEENS1_28PointwiseOpScalarListFunctorIdLi4ELi3ELi3EEEJSt7dividesIdEEEEvT_T0_DpT1_.num_agpr, 0
	.set _ZN2at6native12_GLOBAL__N_125multi_tensor_apply_kernelINS1_28TensorListScalarListMetadataIdLi4EEENS1_28PointwiseOpScalarListFunctorIdLi4ELi3ELi3EEEJSt7dividesIdEEEEvT_T0_DpT1_.numbered_sgpr, 37
	.set _ZN2at6native12_GLOBAL__N_125multi_tensor_apply_kernelINS1_28TensorListScalarListMetadataIdLi4EEENS1_28PointwiseOpScalarListFunctorIdLi4ELi3ELi3EEEJSt7dividesIdEEEEvT_T0_DpT1_.num_named_barrier, 0
	.set _ZN2at6native12_GLOBAL__N_125multi_tensor_apply_kernelINS1_28TensorListScalarListMetadataIdLi4EEENS1_28PointwiseOpScalarListFunctorIdLi4ELi3ELi3EEEJSt7dividesIdEEEEvT_T0_DpT1_.private_seg_size, 0
	.set _ZN2at6native12_GLOBAL__N_125multi_tensor_apply_kernelINS1_28TensorListScalarListMetadataIdLi4EEENS1_28PointwiseOpScalarListFunctorIdLi4ELi3ELi3EEEJSt7dividesIdEEEEvT_T0_DpT1_.uses_vcc, 1
	.set _ZN2at6native12_GLOBAL__N_125multi_tensor_apply_kernelINS1_28TensorListScalarListMetadataIdLi4EEENS1_28PointwiseOpScalarListFunctorIdLi4ELi3ELi3EEEJSt7dividesIdEEEEvT_T0_DpT1_.uses_flat_scratch, 0
	.set _ZN2at6native12_GLOBAL__N_125multi_tensor_apply_kernelINS1_28TensorListScalarListMetadataIdLi4EEENS1_28PointwiseOpScalarListFunctorIdLi4ELi3ELi3EEEJSt7dividesIdEEEEvT_T0_DpT1_.has_dyn_sized_stack, 0
	.set _ZN2at6native12_GLOBAL__N_125multi_tensor_apply_kernelINS1_28TensorListScalarListMetadataIdLi4EEENS1_28PointwiseOpScalarListFunctorIdLi4ELi3ELi3EEEJSt7dividesIdEEEEvT_T0_DpT1_.has_recursion, 0
	.set _ZN2at6native12_GLOBAL__N_125multi_tensor_apply_kernelINS1_28TensorListScalarListMetadataIdLi4EEENS1_28PointwiseOpScalarListFunctorIdLi4ELi3ELi3EEEJSt7dividesIdEEEEvT_T0_DpT1_.has_indirect_call, 0
	.section	.AMDGPU.csdata,"",@progbits
; Kernel info:
; codeLenInByte = 2884
; TotalNumSgprs: 41
; NumVgprs: 71
; ScratchSize: 0
; MemoryBound: 0
; FloatMode: 240
; IeeeMode: 1
; LDSByteSize: 0 bytes/workgroup (compile time only)
; SGPRBlocks: 5
; VGPRBlocks: 17
; NumSGPRsForWavesPerEU: 41
; NumVGPRsForWavesPerEU: 71
; Occupancy: 3
; WaveLimiterHint : 1
; COMPUTE_PGM_RSRC2:SCRATCH_EN: 0
; COMPUTE_PGM_RSRC2:USER_SGPR: 6
; COMPUTE_PGM_RSRC2:TRAP_HANDLER: 0
; COMPUTE_PGM_RSRC2:TGID_X_EN: 1
; COMPUTE_PGM_RSRC2:TGID_Y_EN: 0
; COMPUTE_PGM_RSRC2:TGID_Z_EN: 0
; COMPUTE_PGM_RSRC2:TIDIG_COMP_CNT: 0
	.section	.text._ZN2at6native12_GLOBAL__N_125multi_tensor_apply_kernelINS1_28TensorListScalarListMetadataIfLi4EEENS1_28PointwiseOpScalarListFunctorIfLi4ELi3ELi3EEEJSt7dividesIfEEEEvT_T0_DpT1_,"axG",@progbits,_ZN2at6native12_GLOBAL__N_125multi_tensor_apply_kernelINS1_28TensorListScalarListMetadataIfLi4EEENS1_28PointwiseOpScalarListFunctorIfLi4ELi3ELi3EEEJSt7dividesIfEEEEvT_T0_DpT1_,comdat
	.globl	_ZN2at6native12_GLOBAL__N_125multi_tensor_apply_kernelINS1_28TensorListScalarListMetadataIfLi4EEENS1_28PointwiseOpScalarListFunctorIfLi4ELi3ELi3EEEJSt7dividesIfEEEEvT_T0_DpT1_ ; -- Begin function _ZN2at6native12_GLOBAL__N_125multi_tensor_apply_kernelINS1_28TensorListScalarListMetadataIfLi4EEENS1_28PointwiseOpScalarListFunctorIfLi4ELi3ELi3EEEJSt7dividesIfEEEEvT_T0_DpT1_
	.p2align	8
	.type	_ZN2at6native12_GLOBAL__N_125multi_tensor_apply_kernelINS1_28TensorListScalarListMetadataIfLi4EEENS1_28PointwiseOpScalarListFunctorIfLi4ELi3ELi3EEEJSt7dividesIfEEEEvT_T0_DpT1_,@function
_ZN2at6native12_GLOBAL__N_125multi_tensor_apply_kernelINS1_28TensorListScalarListMetadataIfLi4EEENS1_28PointwiseOpScalarListFunctorIfLi4ELi3ELi3EEEJSt7dividesIfEEEEvT_T0_DpT1_: ; @_ZN2at6native12_GLOBAL__N_125multi_tensor_apply_kernelINS1_28TensorListScalarListMetadataIfLi4EEENS1_28PointwiseOpScalarListFunctorIfLi4ELi3ELi3EEEJSt7dividesIfEEEEvT_T0_DpT1_
; %bb.0:
	v_mov_b32_e32 v1, s6
	global_load_ubyte v1, v1, s[4:5] offset:1584
	s_add_u32 s0, s4, s6
	s_mul_i32 s1, s6, 3
	s_addc_u32 s2, s5, 0
	s_mul_hi_u32 s3, s6, 3
	s_add_u32 s0, s0, s1
	s_addc_u32 s1, s2, s3
	s_load_dword s14, s[0:1], 0x770
	s_mov_b32 s1, 0
	s_mov_b32 s17, s1
	;; [unrolled: 1-line block ×3, first 2 shown]
	s_waitcnt lgkmcnt(0)
	s_ashr_i32 s15, s14, 31
	s_waitcnt vmcnt(0)
	v_readfirstlane_b32 s0, v1
	v_lshlrev_b32_e32 v1, 2, v1
	v_sub_co_u32_e32 v1, vcc, 0, v1
	s_lshl_b32 s0, s0, 3
	v_subb_co_u32_e64 v2, s[2:3], 0, 0, vcc
	s_load_dwordx2 s[20:21], s[4:5], s0 offset:0x480
	s_load_dwordx2 s[10:11], s[4:5], s0 offset:0x0
	s_load_dwordx2 s[8:9], s[4:5], s0 offset:0x120
	s_load_dwordx2 s[6:7], s[4:5], s0 offset:0x240
	s_load_dwordx2 s[2:3], s[4:5], s0 offset:0x360
	s_add_u32 s0, s4, s0
	s_addc_u32 s16, s5, 0
	s_lshl_b64 s[12:13], s[14:15], 18
	s_waitcnt lgkmcnt(0)
	s_add_u32 s24, s10, s12
	v_add_co_u32_e32 v1, vcc, s0, v1
	s_addc_u32 s25, s11, s13
	s_and_b32 s0, s24, 15
	s_add_u32 s27, s8, s12
	v_mov_b32_e32 v3, s16
	s_addc_u32 s28, s9, s13
	s_and_b32 s16, s27, 15
	s_cmp_eq_u64 s[16:17], 0
	s_cselect_b64 s[16:17], -1, 0
	s_add_u32 s29, s6, s12
	s_addc_u32 s30, s7, s13
	s_add_u32 s31, s2, s12
	s_addc_u32 s33, s3, s13
	s_or_b32 s18, s31, s29
	v_addc_co_u32_e32 v2, vcc, v3, v2, vcc
	s_and_b32 s18, s18, 15
	v_readfirstlane_b32 s22, v1
	v_readfirstlane_b32 s23, v2
	s_cmp_eq_u32 s18, 0
	s_load_dword s26, s[22:23], 0x5a0
	s_cselect_b64 s[22:23], -1, 0
	s_lshl_b64 s[14:15], s[14:15], 16
	s_and_b64 s[16:17], s[22:23], s[16:17]
	s_sub_u32 s14, s20, s14
	s_subb_u32 s15, s21, s15
	s_and_b32 s18, s20, 3
	s_or_b64 s[0:1], s[0:1], s[18:19]
	s_cmp_eq_u64 s[0:1], 0
	s_cselect_b64 s[0:1], -1, 0
	s_and_b64 s[16:17], s[16:17], s[0:1]
	s_mov_b64 s[0:1], -1
	s_and_b64 vcc, exec, s[16:17]
	s_cbranch_vccnz .LBB116_29
; %bb.1:
	v_cmp_lt_i64_e64 s[0:1], s[14:15], 1
	s_and_b64 vcc, exec, s[0:1]
	s_cbranch_vccnz .LBB116_28
; %bb.2:
	v_mov_b32_e32 v1, 0x10000
	s_load_dword s18, s[4:5], 0xc84
	v_mov_b32_e32 v2, 0
	v_cmp_lt_i64_e32 vcc, s[14:15], v[1:2]
	v_mov_b32_e32 v24, 0
	s_and_b64 s[0:1], vcc, exec
	s_cselect_b32 s17, s15, 0
	s_cselect_b32 s16, s14, 0x10000
	s_waitcnt lgkmcnt(0)
	s_and_b32 s20, s18, 0xffff
	v_lshlrev_b32_e32 v23, 2, v0
	v_mad_u64_u32 v[7:8], s[0:1], s20, 12, v[23:24]
	v_cmp_lt_u64_e32 vcc, s[14:15], v[1:2]
	v_mov_b32_e32 v2, s11
	s_and_b64 s[0:1], vcc, exec
	v_add_co_u32_e32 v1, vcc, s10, v7
	v_addc_co_u32_e32 v2, vcc, v2, v8, vcc
	v_mov_b32_e32 v4, s9
	v_add_co_u32_e32 v3, vcc, s8, v7
	v_addc_co_u32_e32 v4, vcc, v4, v8, vcc
	v_mov_b32_e32 v6, s7
	;; [unrolled: 3-line block ×3, first 2 shown]
	v_add_co_u32_e32 v7, vcc, s2, v7
	s_cselect_b32 s19, s15, 0
	s_cselect_b32 s18, s14, 0x10000
	v_addc_co_u32_e32 v8, vcc, v9, v8, vcc
	s_lshl_b32 s0, s20, 3
	v_add_co_u32_e32 v15, vcc, s0, v23
	v_addc_co_u32_e64 v16, s[0:1], 0, 0, vcc
	v_mov_b32_e32 v10, s11
	v_add_co_u32_e32 v9, vcc, s10, v15
	v_addc_co_u32_e32 v10, vcc, v10, v16, vcc
	v_mov_b32_e32 v12, s9
	v_add_co_u32_e32 v11, vcc, s8, v15
	v_addc_co_u32_e32 v12, vcc, v12, v16, vcc
	;; [unrolled: 3-line block ×8, first 2 shown]
	v_add_co_u32_e32 v25, vcc, s20, v0
	v_lshlrev_b32_e32 v33, 2, v25
	s_lshl_b32 s22, s20, 1
	s_mul_i32 s23, s20, 3
	s_lshl_b32 s34, s20, 2
	s_lshl_b32 s35, s20, 4
	v_addc_co_u32_e64 v26, s[20:21], 0, 0, vcc
	v_mov_b32_e32 v28, s11
	v_add_co_u32_e32 v27, vcc, s10, v33
	v_addc_co_u32_e32 v28, vcc, 0, v28, vcc
	v_mov_b32_e32 v30, s9
	v_add_co_u32_e32 v29, vcc, s8, v33
	v_addc_co_u32_e32 v30, vcc, 0, v30, vcc
	;; [unrolled: 3-line block ×4, first 2 shown]
	v_add_co_u32_e32 v35, vcc, s23, v0
	v_addc_co_u32_e64 v36, s[2:3], 0, 0, vcc
	v_add_co_u32_e32 v37, vcc, s22, v0
	v_cmp_eq_f32_e64 s[0:1], s26, 1.0
	s_mov_b64 s[20:21], 0
	v_addc_co_u32_e64 v38, s[2:3], 0, 0, vcc
	s_branch .LBB116_4
.LBB116_3:                              ;   in Loop: Header=BB116_4 Depth=1
	s_or_b64 exec, exec, s[2:3]
	v_add_co_u32_e32 v17, vcc, s35, v17
	v_addc_co_u32_e32 v18, vcc, 0, v18, vcc
	v_add_co_u32_e32 v19, vcc, s35, v19
	v_addc_co_u32_e32 v20, vcc, 0, v20, vcc
	;; [unrolled: 2-line block ×14, first 2 shown]
	s_add_u32 s20, s20, s34
	v_add_co_u32_e32 v31, vcc, s35, v31
	s_waitcnt vmcnt(0)
	v_mov_b32_e32 v40, s17
	s_addc_u32 s21, s21, 0
	v_addc_co_u32_e32 v32, vcc, 0, v32, vcc
	v_mov_b32_e32 v39, s16
	v_cmp_lt_i64_e32 vcc, s[20:21], v[39:40]
	v_add_co_u32_e64 v33, s[2:3], s35, v33
	v_addc_co_u32_e64 v34, s[2:3], 0, v34, s[2:3]
	s_cbranch_vccz .LBB116_28
.LBB116_4:                              ; =>This Inner Loop Header: Depth=1
	v_mov_b32_e32 v40, s21
	v_add_co_u32_e32 v39, vcc, s20, v0
	v_addc_co_u32_e32 v40, vcc, 0, v40, vcc
	v_cmp_gt_u64_e32 vcc, s[18:19], v[39:40]
	v_mov_b32_e32 v41, 0
	v_mov_b32_e32 v40, 0
	s_and_saveexec_b64 s[6:7], vcc
	s_cbranch_execz .LBB116_6
; %bb.5:                                ;   in Loop: Header=BB116_4 Depth=1
	v_mov_b32_e32 v39, s13
	v_add_co_u32_e64 v42, s[2:3], s12, v17
	v_addc_co_u32_e64 v43, s[2:3], v18, v39, s[2:3]
	v_add_co_u32_e64 v44, s[2:3], s12, v19
	v_addc_co_u32_e64 v45, s[2:3], v20, v39, s[2:3]
	global_load_dword v40, v[42:43], off
	global_load_dword v41, v[44:45], off
.LBB116_6:                              ;   in Loop: Header=BB116_4 Depth=1
	s_or_b64 exec, exec, s[6:7]
	v_mov_b32_e32 v39, 0
	v_mov_b32_e32 v45, 0
	s_and_saveexec_b64 s[6:7], vcc
	s_cbranch_execz .LBB116_8
; %bb.7:                                ;   in Loop: Header=BB116_4 Depth=1
	v_mov_b32_e32 v43, s13
	v_add_co_u32_e64 v42, s[2:3], s12, v21
	v_addc_co_u32_e64 v43, s[2:3], v22, v43, s[2:3]
	global_load_dword v45, v[42:43], off
.LBB116_8:                              ;   in Loop: Header=BB116_4 Depth=1
	s_or_b64 exec, exec, s[6:7]
	v_mov_b32_e32 v43, s21
	v_add_co_u32_e64 v42, s[2:3], s20, v25
	v_addc_co_u32_e64 v43, s[2:3], v26, v43, s[2:3]
	v_cmp_gt_u64_e64 s[2:3], s[18:19], v[42:43]
	v_mov_b32_e32 v43, 0
	s_and_saveexec_b64 s[8:9], s[2:3]
	s_cbranch_execz .LBB116_10
; %bb.9:                                ;   in Loop: Header=BB116_4 Depth=1
	v_mov_b32_e32 v39, s13
	v_add_co_u32_e64 v46, s[6:7], s12, v27
	v_addc_co_u32_e64 v47, s[6:7], v28, v39, s[6:7]
	v_add_co_u32_e64 v48, s[6:7], s12, v29
	v_addc_co_u32_e64 v49, s[6:7], v30, v39, s[6:7]
	global_load_dword v43, v[46:47], off
	global_load_dword v39, v[48:49], off
.LBB116_10:                             ;   in Loop: Header=BB116_4 Depth=1
	s_or_b64 exec, exec, s[8:9]
	v_mov_b32_e32 v42, 0
	v_mov_b32_e32 v47, 0
	s_and_saveexec_b64 s[8:9], s[2:3]
	s_cbranch_execz .LBB116_12
; %bb.11:                               ;   in Loop: Header=BB116_4 Depth=1
	v_mov_b32_e32 v44, s13
	v_add_co_u32_e64 v46, s[6:7], s12, v31
	v_addc_co_u32_e64 v47, s[6:7], v32, v44, s[6:7]
	global_load_dword v47, v[46:47], off
.LBB116_12:                             ;   in Loop: Header=BB116_4 Depth=1
	s_or_b64 exec, exec, s[8:9]
	v_mov_b32_e32 v44, s21
	v_add_co_u32_e64 v48, s[6:7], s20, v37
	v_addc_co_u32_e64 v49, s[6:7], v38, v44, s[6:7]
	v_cmp_gt_u64_e64 s[6:7], s[18:19], v[48:49]
	v_mov_b32_e32 v46, 0
	s_and_saveexec_b64 s[10:11], s[6:7]
	s_cbranch_execz .LBB116_14
; %bb.13:                               ;   in Loop: Header=BB116_4 Depth=1
	v_mov_b32_e32 v42, s13
	v_add_co_u32_e64 v48, s[8:9], s12, v9
	v_addc_co_u32_e64 v49, s[8:9], v10, v42, s[8:9]
	v_add_co_u32_e64 v50, s[8:9], s12, v11
	v_addc_co_u32_e64 v51, s[8:9], v12, v42, s[8:9]
	global_load_dword v46, v[48:49], off
	global_load_dword v42, v[50:51], off
.LBB116_14:                             ;   in Loop: Header=BB116_4 Depth=1
	s_or_b64 exec, exec, s[10:11]
	v_mov_b32_e32 v44, 0
	v_mov_b32_e32 v49, 0
	s_and_saveexec_b64 s[10:11], s[6:7]
	s_cbranch_execz .LBB116_16
; %bb.15:                               ;   in Loop: Header=BB116_4 Depth=1
	v_mov_b32_e32 v49, s13
	v_add_co_u32_e64 v48, s[8:9], s12, v13
	v_addc_co_u32_e64 v49, s[8:9], v14, v49, s[8:9]
	global_load_dword v49, v[48:49], off
.LBB116_16:                             ;   in Loop: Header=BB116_4 Depth=1
	s_or_b64 exec, exec, s[10:11]
	v_mov_b32_e32 v48, s21
	v_add_co_u32_e64 v50, s[8:9], s20, v35
	v_addc_co_u32_e64 v51, s[8:9], v36, v48, s[8:9]
	v_cmp_gt_u64_e64 s[8:9], s[18:19], v[50:51]
	v_mov_b32_e32 v48, 0
	s_and_saveexec_b64 s[22:23], s[8:9]
	s_cbranch_execnz .LBB116_22
; %bb.17:                               ;   in Loop: Header=BB116_4 Depth=1
	s_or_b64 exec, exec, s[22:23]
	v_mov_b32_e32 v50, 0
	s_and_saveexec_b64 s[22:23], s[8:9]
	s_cbranch_execnz .LBB116_23
.LBB116_18:                             ;   in Loop: Header=BB116_4 Depth=1
	s_or_b64 exec, exec, s[22:23]
	s_and_saveexec_b64 s[10:11], vcc
	s_cbranch_execnz .LBB116_24
.LBB116_19:                             ;   in Loop: Header=BB116_4 Depth=1
	s_or_b64 exec, exec, s[10:11]
	s_and_saveexec_b64 s[10:11], s[2:3]
	s_cbranch_execnz .LBB116_25
.LBB116_20:                             ;   in Loop: Header=BB116_4 Depth=1
	s_or_b64 exec, exec, s[10:11]
	s_and_saveexec_b64 s[2:3], s[6:7]
	s_cbranch_execnz .LBB116_26
.LBB116_21:                             ;   in Loop: Header=BB116_4 Depth=1
	s_or_b64 exec, exec, s[2:3]
	s_and_saveexec_b64 s[2:3], s[8:9]
	s_cbranch_execz .LBB116_3
	s_branch .LBB116_27
.LBB116_22:                             ;   in Loop: Header=BB116_4 Depth=1
	v_mov_b32_e32 v44, s13
	v_add_co_u32_e64 v50, s[10:11], s12, v1
	v_addc_co_u32_e64 v51, s[10:11], v2, v44, s[10:11]
	v_add_co_u32_e64 v52, s[10:11], s12, v3
	v_addc_co_u32_e64 v53, s[10:11], v4, v44, s[10:11]
	global_load_dword v48, v[50:51], off
	global_load_dword v44, v[52:53], off
	s_or_b64 exec, exec, s[22:23]
	v_mov_b32_e32 v50, 0
	s_and_saveexec_b64 s[22:23], s[8:9]
	s_cbranch_execz .LBB116_18
.LBB116_23:                             ;   in Loop: Header=BB116_4 Depth=1
	v_mov_b32_e32 v51, s13
	v_add_co_u32_e64 v50, s[10:11], s12, v5
	v_addc_co_u32_e64 v51, s[10:11], v6, v51, s[10:11]
	global_load_dword v50, v[50:51], off
	s_or_b64 exec, exec, s[22:23]
	s_and_saveexec_b64 s[10:11], vcc
	s_cbranch_execz .LBB116_19
.LBB116_24:                             ;   in Loop: Header=BB116_4 Depth=1
	s_waitcnt vmcnt(0)
	v_div_scale_f32 v51, s[22:23], v45, v45, v41
	v_div_scale_f32 v52, vcc, v41, v45, v41
	v_rcp_f32_e32 v53, v51
	v_fma_f32 v54, -v51, v53, 1.0
	v_fmac_f32_e32 v53, v54, v53
	v_mul_f32_e32 v54, v52, v53
	v_fma_f32 v55, -v51, v54, v52
	v_fmac_f32_e32 v54, v55, v53
	v_fma_f32 v51, -v51, v54, v52
	v_div_fmas_f32 v53, v51, v53, v54
	v_mov_b32_e32 v52, s13
	v_add_co_u32_e32 v51, vcc, s12, v23
	v_addc_co_u32_e32 v52, vcc, v24, v52, vcc
	v_div_fixup_f32 v41, v53, v45, v41
	v_add_f32_e32 v45, v40, v41
	v_fmac_f32_e32 v40, s26, v41
	v_cndmask_b32_e64 v40, v40, v45, s[0:1]
	global_store_dword v[51:52], v40, off
	s_or_b64 exec, exec, s[10:11]
	s_and_saveexec_b64 s[10:11], s[2:3]
	s_cbranch_execz .LBB116_20
.LBB116_25:                             ;   in Loop: Header=BB116_4 Depth=1
	s_waitcnt vmcnt(0)
	v_div_scale_f32 v40, s[2:3], v47, v47, v39
	v_div_scale_f32 v41, vcc, v39, v47, v39
	v_rcp_f32_e32 v45, v40
	v_fma_f32 v51, -v40, v45, 1.0
	v_fmac_f32_e32 v45, v51, v45
	v_mul_f32_e32 v51, v41, v45
	v_fma_f32 v52, -v40, v51, v41
	v_fmac_f32_e32 v51, v52, v45
	v_fma_f32 v40, -v40, v51, v41
	v_div_fmas_f32 v40, v40, v45, v51
	v_mov_b32_e32 v41, s13
	v_div_fixup_f32 v39, v40, v47, v39
	v_add_f32_e32 v40, v43, v39
	v_fmac_f32_e32 v43, s26, v39
	v_add_co_u32_e32 v39, vcc, s12, v33
	v_cndmask_b32_e64 v43, v43, v40, s[0:1]
	v_addc_co_u32_e32 v40, vcc, v34, v41, vcc
	global_store_dword v[39:40], v43, off
	s_or_b64 exec, exec, s[10:11]
	s_and_saveexec_b64 s[2:3], s[6:7]
	s_cbranch_execz .LBB116_21
.LBB116_26:                             ;   in Loop: Header=BB116_4 Depth=1
	s_waitcnt vmcnt(0)
	v_div_scale_f32 v39, s[6:7], v49, v49, v42
	v_div_scale_f32 v40, vcc, v42, v49, v42
	v_rcp_f32_e32 v41, v39
	v_fma_f32 v43, -v39, v41, 1.0
	v_fmac_f32_e32 v41, v43, v41
	v_mul_f32_e32 v43, v40, v41
	v_fma_f32 v45, -v39, v43, v40
	v_fmac_f32_e32 v43, v45, v41
	v_fma_f32 v39, -v39, v43, v40
	v_div_fmas_f32 v39, v39, v41, v43
	v_mov_b32_e32 v40, s13
	v_div_fixup_f32 v39, v39, v49, v42
	v_add_f32_e32 v41, v46, v39
	v_fmac_f32_e32 v46, s26, v39
	v_add_co_u32_e32 v39, vcc, s12, v15
	v_cndmask_b32_e64 v41, v46, v41, s[0:1]
	v_addc_co_u32_e32 v40, vcc, v16, v40, vcc
	global_store_dword v[39:40], v41, off
	s_or_b64 exec, exec, s[2:3]
	s_and_saveexec_b64 s[2:3], s[8:9]
	s_cbranch_execz .LBB116_3
.LBB116_27:                             ;   in Loop: Header=BB116_4 Depth=1
	s_waitcnt vmcnt(0)
	v_div_scale_f32 v39, s[6:7], v50, v50, v44
	v_div_scale_f32 v40, vcc, v44, v50, v44
	v_rcp_f32_e32 v41, v39
	v_fma_f32 v42, -v39, v41, 1.0
	v_fmac_f32_e32 v41, v42, v41
	v_mul_f32_e32 v42, v40, v41
	v_fma_f32 v43, -v39, v42, v40
	v_fmac_f32_e32 v42, v43, v41
	v_fma_f32 v39, -v39, v42, v40
	v_div_fmas_f32 v39, v39, v41, v42
	v_mov_b32_e32 v40, s13
	v_div_fixup_f32 v39, v39, v50, v44
	v_add_f32_e32 v41, v48, v39
	v_fmac_f32_e32 v48, s26, v39
	v_add_co_u32_e32 v39, vcc, s12, v7
	v_cndmask_b32_e64 v41, v48, v41, s[0:1]
	v_addc_co_u32_e32 v40, vcc, v8, v40, vcc
	global_store_dword v[39:40], v41, off
	s_branch .LBB116_3
.LBB116_28:
	s_mov_b64 s[0:1], 0
.LBB116_29:
	s_andn2_b64 vcc, exec, s[0:1]
	s_cbranch_vccnz .LBB116_33
; %bb.30:
	v_mov_b32_e32 v1, 0x10000
	v_mov_b32_e32 v2, 0
	v_cmp_lt_i64_e32 vcc, s[14:15], v[1:2]
	v_mov_b32_e32 v2, 0
	s_and_b64 s[0:1], vcc, exec
	s_cselect_b32 s11, s15, 0
	s_cselect_b32 s10, s14, 0x10000
	v_lshlrev_b32_e32 v1, 2, v0
	v_cmp_gt_i64_e32 vcc, s[10:11], v[1:2]
	s_and_saveexec_b64 s[0:1], vcc
	s_cbranch_execz .LBB116_33
; %bb.31:
	s_load_dword s2, s[4:5], 0xc84
	v_mov_b32_e32 v1, v2
	s_waitcnt lgkmcnt(0)
	v_cmp_eq_f32_e64 s[0:1], s26, 1.0
	v_lshlrev_b32_e32 v2, 4, v0
	s_mov_b64 s[12:13], 0
	s_and_b32 s14, s2, 0xffff
	s_lshl_b32 s15, s14, 4
.LBB116_32:                             ; =>This Inner Loop Header: Depth=1
	v_mov_b32_e32 v3, s28
	v_add_co_u32_e64 v13, s[2:3], s27, v2
	v_mov_b32_e32 v4, s30
	v_add_co_u32_e32 v11, vcc, s29, v2
	v_addc_co_u32_e64 v14, s[2:3], 0, v3, s[2:3]
	v_addc_co_u32_e32 v12, vcc, 0, v4, vcc
	global_load_dwordx4 v[3:6], v[13:14], off
	global_load_dwordx4 v[7:10], v[11:12], off
	v_add_co_u32_e64 v0, s[2:3], s14, v0
	v_addc_co_u32_e64 v1, s[2:3], 0, v1, s[2:3]
	v_mov_b32_e32 v12, s25
	v_add_co_u32_e64 v11, s[2:3], s24, v2
	v_mov_b32_e32 v13, s33
	v_add_co_u32_e32 v15, vcc, s31, v2
	v_addc_co_u32_e64 v12, s[2:3], 0, v12, s[2:3]
	v_addc_co_u32_e32 v16, vcc, 0, v13, vcc
	global_load_dwordx4 v[11:14], v[11:12], off
	v_lshlrev_b64 v[17:18], 2, v[0:1]
	s_add_u32 s31, s31, s15
	v_cmp_le_i64_e64 s[2:3], s[10:11], v[17:18]
	s_addc_u32 s33, s33, 0
	s_add_u32 s24, s24, s15
	s_addc_u32 s25, s25, 0
	s_add_u32 s29, s29, s15
	;; [unrolled: 2-line block ×3, first 2 shown]
	s_addc_u32 s28, s28, 0
	s_or_b64 s[12:13], s[2:3], s[12:13]
	s_waitcnt vmcnt(1)
	v_div_scale_f32 v17, s[4:5], v7, v7, v3
	v_div_scale_f32 v18, s[4:5], v8, v8, v4
	v_div_scale_f32 v19, s[4:5], v9, v9, v5
	v_div_scale_f32 v20, s[4:5], v10, v10, v6
	v_div_scale_f32 v21, vcc, v3, v7, v3
	v_div_scale_f32 v22, s[4:5], v4, v8, v4
	v_div_scale_f32 v23, s[6:7], v5, v9, v5
	;; [unrolled: 1-line block ×3, first 2 shown]
	v_rcp_f32_e32 v25, v17
	v_rcp_f32_e32 v26, v18
	;; [unrolled: 1-line block ×3, first 2 shown]
	v_fma_f32 v29, -v17, v25, 1.0
	v_rcp_f32_e32 v28, v20
	v_fma_f32 v30, -v18, v26, 1.0
	v_fmac_f32_e32 v25, v29, v25
	v_fma_f32 v31, -v19, v27, 1.0
	v_fmac_f32_e32 v26, v30, v26
	v_mul_f32_e32 v29, v21, v25
	v_fma_f32 v32, -v20, v28, 1.0
	v_fmac_f32_e32 v27, v31, v27
	v_mul_f32_e32 v30, v22, v26
	v_fma_f32 v33, -v17, v29, v21
	v_fmac_f32_e32 v28, v32, v28
	v_mul_f32_e32 v31, v23, v27
	v_fma_f32 v34, -v18, v30, v22
	;; [unrolled: 3-line block ×3, first 2 shown]
	v_fmac_f32_e32 v30, v34, v26
	v_fma_f32 v17, -v17, v29, v21
	v_fma_f32 v36, -v20, v32, v24
	v_fmac_f32_e32 v31, v35, v27
	v_fma_f32 v18, -v18, v30, v22
	v_div_fmas_f32 v17, v17, v25, v29
	s_mov_b64 vcc, s[4:5]
	v_fmac_f32_e32 v32, v36, v28
	v_fma_f32 v19, -v19, v31, v23
	v_div_fmas_f32 v18, v18, v26, v30
	s_mov_b64 vcc, s[6:7]
	v_fma_f32 v20, -v20, v32, v24
	v_div_fmas_f32 v19, v19, v27, v31
	s_mov_b64 vcc, s[8:9]
	v_div_fmas_f32 v20, v20, v28, v32
	v_div_fixup_f32 v3, v17, v7, v3
	s_waitcnt vmcnt(0)
	v_add_f32_e32 v7, v11, v3
	v_fma_f32 v3, s26, v3, v11
	v_cndmask_b32_e64 v3, v3, v7, s[0:1]
	v_div_fixup_f32 v4, v18, v8, v4
	v_add_f32_e32 v7, v12, v4
	v_fma_f32 v4, s26, v4, v12
	v_div_fixup_f32 v5, v19, v9, v5
	v_cndmask_b32_e64 v4, v4, v7, s[0:1]
	v_add_f32_e32 v7, v13, v5
	v_fma_f32 v5, s26, v5, v13
	v_div_fixup_f32 v6, v20, v10, v6
	v_cndmask_b32_e64 v5, v5, v7, s[0:1]
	v_add_f32_e32 v7, v14, v6
	v_fmac_f32_e32 v14, s26, v6
	v_cndmask_b32_e64 v6, v14, v7, s[0:1]
	global_store_dwordx4 v[15:16], v[3:6], off
	s_andn2_b64 exec, exec, s[12:13]
	s_cbranch_execnz .LBB116_32
.LBB116_33:
	s_endpgm
	.section	.rodata,"a",@progbits
	.p2align	6, 0x0
	.amdhsa_kernel _ZN2at6native12_GLOBAL__N_125multi_tensor_apply_kernelINS1_28TensorListScalarListMetadataIfLi4EEENS1_28PointwiseOpScalarListFunctorIfLi4ELi3ELi3EEEJSt7dividesIfEEEEvT_T0_DpT1_
		.amdhsa_group_segment_fixed_size 0
		.amdhsa_private_segment_fixed_size 0
		.amdhsa_kernarg_size 3448
		.amdhsa_user_sgpr_count 6
		.amdhsa_user_sgpr_private_segment_buffer 1
		.amdhsa_user_sgpr_dispatch_ptr 0
		.amdhsa_user_sgpr_queue_ptr 0
		.amdhsa_user_sgpr_kernarg_segment_ptr 1
		.amdhsa_user_sgpr_dispatch_id 0
		.amdhsa_user_sgpr_flat_scratch_init 0
		.amdhsa_user_sgpr_private_segment_size 0
		.amdhsa_uses_dynamic_stack 0
		.amdhsa_system_sgpr_private_segment_wavefront_offset 0
		.amdhsa_system_sgpr_workgroup_id_x 1
		.amdhsa_system_sgpr_workgroup_id_y 0
		.amdhsa_system_sgpr_workgroup_id_z 0
		.amdhsa_system_sgpr_workgroup_info 0
		.amdhsa_system_vgpr_workitem_id 0
		.amdhsa_next_free_vgpr 56
		.amdhsa_next_free_sgpr 36
		.amdhsa_reserve_vcc 1
		.amdhsa_reserve_flat_scratch 0
		.amdhsa_float_round_mode_32 0
		.amdhsa_float_round_mode_16_64 0
		.amdhsa_float_denorm_mode_32 3
		.amdhsa_float_denorm_mode_16_64 3
		.amdhsa_dx10_clamp 1
		.amdhsa_ieee_mode 1
		.amdhsa_fp16_overflow 0
		.amdhsa_exception_fp_ieee_invalid_op 0
		.amdhsa_exception_fp_denorm_src 0
		.amdhsa_exception_fp_ieee_div_zero 0
		.amdhsa_exception_fp_ieee_overflow 0
		.amdhsa_exception_fp_ieee_underflow 0
		.amdhsa_exception_fp_ieee_inexact 0
		.amdhsa_exception_int_div_zero 0
	.end_amdhsa_kernel
	.section	.text._ZN2at6native12_GLOBAL__N_125multi_tensor_apply_kernelINS1_28TensorListScalarListMetadataIfLi4EEENS1_28PointwiseOpScalarListFunctorIfLi4ELi3ELi3EEEJSt7dividesIfEEEEvT_T0_DpT1_,"axG",@progbits,_ZN2at6native12_GLOBAL__N_125multi_tensor_apply_kernelINS1_28TensorListScalarListMetadataIfLi4EEENS1_28PointwiseOpScalarListFunctorIfLi4ELi3ELi3EEEJSt7dividesIfEEEEvT_T0_DpT1_,comdat
.Lfunc_end116:
	.size	_ZN2at6native12_GLOBAL__N_125multi_tensor_apply_kernelINS1_28TensorListScalarListMetadataIfLi4EEENS1_28PointwiseOpScalarListFunctorIfLi4ELi3ELi3EEEJSt7dividesIfEEEEvT_T0_DpT1_, .Lfunc_end116-_ZN2at6native12_GLOBAL__N_125multi_tensor_apply_kernelINS1_28TensorListScalarListMetadataIfLi4EEENS1_28PointwiseOpScalarListFunctorIfLi4ELi3ELi3EEEJSt7dividesIfEEEEvT_T0_DpT1_
                                        ; -- End function
	.set _ZN2at6native12_GLOBAL__N_125multi_tensor_apply_kernelINS1_28TensorListScalarListMetadataIfLi4EEENS1_28PointwiseOpScalarListFunctorIfLi4ELi3ELi3EEEJSt7dividesIfEEEEvT_T0_DpT1_.num_vgpr, 56
	.set _ZN2at6native12_GLOBAL__N_125multi_tensor_apply_kernelINS1_28TensorListScalarListMetadataIfLi4EEENS1_28PointwiseOpScalarListFunctorIfLi4ELi3ELi3EEEJSt7dividesIfEEEEvT_T0_DpT1_.num_agpr, 0
	.set _ZN2at6native12_GLOBAL__N_125multi_tensor_apply_kernelINS1_28TensorListScalarListMetadataIfLi4EEENS1_28PointwiseOpScalarListFunctorIfLi4ELi3ELi3EEEJSt7dividesIfEEEEvT_T0_DpT1_.numbered_sgpr, 36
	.set _ZN2at6native12_GLOBAL__N_125multi_tensor_apply_kernelINS1_28TensorListScalarListMetadataIfLi4EEENS1_28PointwiseOpScalarListFunctorIfLi4ELi3ELi3EEEJSt7dividesIfEEEEvT_T0_DpT1_.num_named_barrier, 0
	.set _ZN2at6native12_GLOBAL__N_125multi_tensor_apply_kernelINS1_28TensorListScalarListMetadataIfLi4EEENS1_28PointwiseOpScalarListFunctorIfLi4ELi3ELi3EEEJSt7dividesIfEEEEvT_T0_DpT1_.private_seg_size, 0
	.set _ZN2at6native12_GLOBAL__N_125multi_tensor_apply_kernelINS1_28TensorListScalarListMetadataIfLi4EEENS1_28PointwiseOpScalarListFunctorIfLi4ELi3ELi3EEEJSt7dividesIfEEEEvT_T0_DpT1_.uses_vcc, 1
	.set _ZN2at6native12_GLOBAL__N_125multi_tensor_apply_kernelINS1_28TensorListScalarListMetadataIfLi4EEENS1_28PointwiseOpScalarListFunctorIfLi4ELi3ELi3EEEJSt7dividesIfEEEEvT_T0_DpT1_.uses_flat_scratch, 0
	.set _ZN2at6native12_GLOBAL__N_125multi_tensor_apply_kernelINS1_28TensorListScalarListMetadataIfLi4EEENS1_28PointwiseOpScalarListFunctorIfLi4ELi3ELi3EEEJSt7dividesIfEEEEvT_T0_DpT1_.has_dyn_sized_stack, 0
	.set _ZN2at6native12_GLOBAL__N_125multi_tensor_apply_kernelINS1_28TensorListScalarListMetadataIfLi4EEENS1_28PointwiseOpScalarListFunctorIfLi4ELi3ELi3EEEJSt7dividesIfEEEEvT_T0_DpT1_.has_recursion, 0
	.set _ZN2at6native12_GLOBAL__N_125multi_tensor_apply_kernelINS1_28TensorListScalarListMetadataIfLi4EEENS1_28PointwiseOpScalarListFunctorIfLi4ELi3ELi3EEEJSt7dividesIfEEEEvT_T0_DpT1_.has_indirect_call, 0
	.section	.AMDGPU.csdata,"",@progbits
; Kernel info:
; codeLenInByte = 2636
; TotalNumSgprs: 40
; NumVgprs: 56
; ScratchSize: 0
; MemoryBound: 0
; FloatMode: 240
; IeeeMode: 1
; LDSByteSize: 0 bytes/workgroup (compile time only)
; SGPRBlocks: 4
; VGPRBlocks: 13
; NumSGPRsForWavesPerEU: 40
; NumVGPRsForWavesPerEU: 56
; Occupancy: 4
; WaveLimiterHint : 0
; COMPUTE_PGM_RSRC2:SCRATCH_EN: 0
; COMPUTE_PGM_RSRC2:USER_SGPR: 6
; COMPUTE_PGM_RSRC2:TRAP_HANDLER: 0
; COMPUTE_PGM_RSRC2:TGID_X_EN: 1
; COMPUTE_PGM_RSRC2:TGID_Y_EN: 0
; COMPUTE_PGM_RSRC2:TGID_Z_EN: 0
; COMPUTE_PGM_RSRC2:TIDIG_COMP_CNT: 0
	.section	.text._ZN2at6native12_GLOBAL__N_125multi_tensor_apply_kernelINS1_28TensorListScalarListMetadataIN3c107complexIdEELi4EEENS1_28PointwiseOpScalarListFunctorIS6_Li4ELi3ELi3EEEJSt7dividesIS6_EEEEvT_T0_DpT1_,"axG",@progbits,_ZN2at6native12_GLOBAL__N_125multi_tensor_apply_kernelINS1_28TensorListScalarListMetadataIN3c107complexIdEELi4EEENS1_28PointwiseOpScalarListFunctorIS6_Li4ELi3ELi3EEEJSt7dividesIS6_EEEEvT_T0_DpT1_,comdat
	.globl	_ZN2at6native12_GLOBAL__N_125multi_tensor_apply_kernelINS1_28TensorListScalarListMetadataIN3c107complexIdEELi4EEENS1_28PointwiseOpScalarListFunctorIS6_Li4ELi3ELi3EEEJSt7dividesIS6_EEEEvT_T0_DpT1_ ; -- Begin function _ZN2at6native12_GLOBAL__N_125multi_tensor_apply_kernelINS1_28TensorListScalarListMetadataIN3c107complexIdEELi4EEENS1_28PointwiseOpScalarListFunctorIS6_Li4ELi3ELi3EEEJSt7dividesIS6_EEEEvT_T0_DpT1_
	.p2align	8
	.type	_ZN2at6native12_GLOBAL__N_125multi_tensor_apply_kernelINS1_28TensorListScalarListMetadataIN3c107complexIdEELi4EEENS1_28PointwiseOpScalarListFunctorIS6_Li4ELi3ELi3EEEJSt7dividesIS6_EEEEvT_T0_DpT1_,@function
_ZN2at6native12_GLOBAL__N_125multi_tensor_apply_kernelINS1_28TensorListScalarListMetadataIN3c107complexIdEELi4EEENS1_28PointwiseOpScalarListFunctorIS6_Li4ELi3ELi3EEEJSt7dividesIS6_EEEEvT_T0_DpT1_: ; @_ZN2at6native12_GLOBAL__N_125multi_tensor_apply_kernelINS1_28TensorListScalarListMetadataIN3c107complexIdEELi4EEENS1_28PointwiseOpScalarListFunctorIS6_Li4ELi3ELi3EEEJSt7dividesIS6_EEEEvT_T0_DpT1_
; %bb.0:
	v_mov_b32_e32 v1, s6
	global_load_ubyte v1, v1, s[4:5] offset:2016
	s_add_u32 s0, s4, s6
	s_mul_hi_u32 s3, s6, 3
	s_mul_i32 s6, s6, 3
	s_addc_u32 s7, s5, 0
	s_add_u32 s2, s0, s6
	s_addc_u32 s3, s7, s3
	s_load_dword s2, s[2:3], 0x920
	s_mov_b32 s1, 0
	s_mov_b32 s7, s1
	s_waitcnt lgkmcnt(0)
	s_ashr_i32 s3, s2, 31
	s_waitcnt vmcnt(0)
	v_readfirstlane_b32 s0, v1
	s_lshl_b32 s0, s0, 3
	s_load_dwordx2 s[8:9], s[4:5], s0 offset:0x480
	s_load_dwordx2 s[10:11], s[4:5], s0 offset:0x0
	;; [unrolled: 1-line block ×5, first 2 shown]
	s_add_u32 s16, s4, s0
	s_addc_u32 s17, s5, 0
	s_lshl_b64 s[22:23], s[2:3], 20
	s_waitcnt lgkmcnt(0)
	s_add_u32 s33, s10, s22
	s_addc_u32 s36, s11, s23
	s_add_u32 s37, s12, s22
	s_load_dwordx4 s[16:19], s[16:17], s0 offset:0x5a0
	s_addc_u32 s38, s13, s23
	s_and_b32 s0, s37, 63
	s_add_u32 s39, s14, s22
	s_addc_u32 s40, s15, s23
	s_add_u32 s41, s20, s22
	s_addc_u32 s42, s21, s23
	s_or_b32 s6, s41, s39
	s_and_b32 s6, s6, 63
	s_cmp_eq_u32 s6, 0
	s_cselect_b64 s[10:11], -1, 0
	s_and_b32 s6, s33, 63
	s_cmp_eq_u64 s[0:1], 0
	s_cselect_b64 s[12:13], -1, 0
	s_lshl_b64 s[2:3], s[2:3], 16
	s_and_b64 s[10:11], s[10:11], s[12:13]
	s_sub_u32 s20, s8, s2
	s_subb_u32 s21, s9, s3
	s_and_b32 s0, s8, 3
	s_or_b64 s[0:1], s[6:7], s[0:1]
	s_cmp_eq_u64 s[0:1], 0
	s_cselect_b64 s[0:1], -1, 0
	s_and_b64 s[2:3], s[10:11], s[0:1]
	s_mov_b64 s[0:1], -1
	s_and_b64 vcc, exec, s[2:3]
	s_cbranch_vccnz .LBB117_109
; %bb.1:
	v_cmp_lt_i64_e64 s[0:1], s[20:21], 1
	s_and_b64 vcc, exec, s[0:1]
	s_cbranch_vccnz .LBB117_108
; %bb.2:
	v_mov_b32_e32 v1, 0x10000
	v_mov_b32_e32 v2, 0
	v_cmp_lt_i64_e32 vcc, s[20:21], v[1:2]
	s_waitcnt lgkmcnt(0)
	v_cmp_neq_f64_e64 s[2:3], s[18:19], 0
	s_and_b64 s[0:1], vcc, exec
	v_cmp_neq_f64_e64 s[0:1], s[16:17], 1.0
	s_load_dword s6, s[4:5], 0xe34
	v_cmp_lt_u64_e32 vcc, s[20:21], v[1:2]
	s_cselect_b32 s23, s21, 0
	s_cselect_b32 s22, s20, 0x10000
	s_mov_b64 s[26:27], 0
	s_waitcnt lgkmcnt(0)
	s_and_b32 s43, s6, 0xffff
	s_and_b64 s[6:7], vcc, exec
	s_cselect_b32 s25, s21, 0
	s_cselect_b32 s24, s20, 0x10000
	s_lshl_b32 s44, s43, 1
	s_mul_i32 s45, s43, 3
	s_or_b64 s[28:29], s[0:1], s[2:3]
	s_lshl_b32 s46, s43, 2
	s_branch .LBB117_4
.LBB117_3:                              ;   in Loop: Header=BB117_4 Depth=1
	s_or_b64 exec, exec, s[0:1]
	s_add_u32 s26, s26, s46
	v_mov_b32_e32 v1, s22
	s_addc_u32 s27, s27, 0
	v_mov_b32_e32 v2, s23
	v_cmp_ge_i64_e32 vcc, s[26:27], v[1:2]
	s_cbranch_vccnz .LBB117_108
.LBB117_4:                              ; =>This Inner Loop Header: Depth=1
	v_mov_b32_e32 v1, s27
	v_add_co_u32_e32 v49, vcc, s26, v0
	v_addc_co_u32_e32 v50, vcc, 0, v1, vcc
	v_cmp_gt_u64_e64 s[0:1], s[24:25], v[49:50]
	v_mov_b32_e32 v47, 0
	v_mov_b32_e32 v43, 0
	;; [unrolled: 1-line block ×10, first 2 shown]
	s_and_saveexec_b64 s[2:3], s[0:1]
	s_cbranch_execz .LBB117_6
; %bb.5:                                ;   in Loop: Header=BB117_4 Depth=1
	v_lshlrev_b64 v[1:2], 4, v[49:50]
	v_mov_b32_e32 v3, s38
	v_add_co_u32_e32 v5, vcc, s37, v1
	v_addc_co_u32_e32 v6, vcc, v3, v2, vcc
	v_mov_b32_e32 v3, s36
	v_add_co_u32_e32 v7, vcc, s33, v1
	v_addc_co_u32_e32 v8, vcc, v3, v2, vcc
	global_load_dwordx4 v[1:4], v[7:8], off
	global_load_dwordx4 v[41:44], v[5:6], off
.LBB117_6:                              ;   in Loop: Header=BB117_4 Depth=1
	s_or_b64 exec, exec, s[2:3]
	v_mov_b32_e32 v45, 0
	v_mov_b32_e32 v46, 0
	s_and_saveexec_b64 s[2:3], s[0:1]
	s_cbranch_execz .LBB117_8
; %bb.7:                                ;   in Loop: Header=BB117_4 Depth=1
	v_lshlrev_b64 v[5:6], 4, v[49:50]
	v_mov_b32_e32 v7, s40
	v_add_co_u32_e32 v5, vcc, s39, v5
	v_addc_co_u32_e32 v6, vcc, v7, v6, vcc
	global_load_dwordx4 v[45:48], v[5:6], off
.LBB117_8:                              ;   in Loop: Header=BB117_4 Depth=1
	s_or_b64 exec, exec, s[2:3]
	v_add_co_u32_e32 v51, vcc, s43, v49
	v_addc_co_u32_e32 v52, vcc, 0, v50, vcc
	v_cmp_gt_u64_e64 s[2:3], s[24:25], v[51:52]
	v_mov_b32_e32 v39, 0
	v_mov_b32_e32 v35, 0
	;; [unrolled: 1-line block ×10, first 2 shown]
	s_and_saveexec_b64 s[6:7], s[2:3]
	s_cbranch_execz .LBB117_10
; %bb.9:                                ;   in Loop: Header=BB117_4 Depth=1
	v_lshlrev_b64 v[5:6], 4, v[51:52]
	v_mov_b32_e32 v7, s38
	v_add_co_u32_e32 v9, vcc, s37, v5
	v_addc_co_u32_e32 v10, vcc, v7, v6, vcc
	v_mov_b32_e32 v7, s36
	v_add_co_u32_e32 v11, vcc, s33, v5
	v_addc_co_u32_e32 v12, vcc, v7, v6, vcc
	global_load_dwordx4 v[5:8], v[11:12], off
	global_load_dwordx4 v[33:36], v[9:10], off
.LBB117_10:                             ;   in Loop: Header=BB117_4 Depth=1
	s_or_b64 exec, exec, s[6:7]
	v_mov_b32_e32 v37, 0
	v_mov_b32_e32 v38, 0
	s_and_saveexec_b64 s[6:7], s[2:3]
	s_cbranch_execz .LBB117_12
; %bb.11:                               ;   in Loop: Header=BB117_4 Depth=1
	v_lshlrev_b64 v[9:10], 4, v[51:52]
	v_mov_b32_e32 v11, s40
	v_add_co_u32_e32 v9, vcc, s39, v9
	v_addc_co_u32_e32 v10, vcc, v11, v10, vcc
	global_load_dwordx4 v[37:40], v[9:10], off
.LBB117_12:                             ;   in Loop: Header=BB117_4 Depth=1
	s_or_b64 exec, exec, s[6:7]
	v_add_co_u32_e32 v53, vcc, s44, v49
	v_addc_co_u32_e32 v54, vcc, 0, v50, vcc
	v_cmp_gt_u64_e64 s[6:7], s[24:25], v[53:54]
	v_mov_b32_e32 v31, 0
	v_mov_b32_e32 v27, 0
	;; [unrolled: 1-line block ×10, first 2 shown]
	s_and_saveexec_b64 s[8:9], s[6:7]
	s_cbranch_execz .LBB117_14
; %bb.13:                               ;   in Loop: Header=BB117_4 Depth=1
	v_lshlrev_b64 v[9:10], 4, v[53:54]
	v_mov_b32_e32 v11, s38
	v_add_co_u32_e32 v13, vcc, s37, v9
	v_addc_co_u32_e32 v14, vcc, v11, v10, vcc
	v_mov_b32_e32 v11, s36
	v_add_co_u32_e32 v15, vcc, s33, v9
	v_addc_co_u32_e32 v16, vcc, v11, v10, vcc
	global_load_dwordx4 v[9:12], v[15:16], off
	global_load_dwordx4 v[25:28], v[13:14], off
.LBB117_14:                             ;   in Loop: Header=BB117_4 Depth=1
	s_or_b64 exec, exec, s[8:9]
	v_mov_b32_e32 v29, 0
	v_mov_b32_e32 v30, 0
	s_and_saveexec_b64 s[8:9], s[6:7]
	s_cbranch_execz .LBB117_16
; %bb.15:                               ;   in Loop: Header=BB117_4 Depth=1
	v_lshlrev_b64 v[13:14], 4, v[53:54]
	v_mov_b32_e32 v15, s40
	v_add_co_u32_e32 v13, vcc, s39, v13
	v_addc_co_u32_e32 v14, vcc, v15, v14, vcc
	global_load_dwordx4 v[29:32], v[13:14], off
.LBB117_16:                             ;   in Loop: Header=BB117_4 Depth=1
	s_or_b64 exec, exec, s[8:9]
	v_add_co_u32_e32 v55, vcc, s45, v49
	v_addc_co_u32_e32 v56, vcc, 0, v50, vcc
	v_cmp_gt_u64_e64 s[8:9], s[24:25], v[55:56]
	v_mov_b32_e32 v23, 0
	v_mov_b32_e32 v19, 0
	;; [unrolled: 1-line block ×10, first 2 shown]
	s_and_saveexec_b64 s[10:11], s[8:9]
	s_cbranch_execz .LBB117_18
; %bb.17:                               ;   in Loop: Header=BB117_4 Depth=1
	v_lshlrev_b64 v[13:14], 4, v[55:56]
	v_mov_b32_e32 v15, s38
	v_add_co_u32_e32 v21, vcc, s37, v13
	v_addc_co_u32_e32 v22, vcc, v15, v14, vcc
	v_mov_b32_e32 v15, s36
	v_add_co_u32_e32 v57, vcc, s33, v13
	v_addc_co_u32_e32 v58, vcc, v15, v14, vcc
	global_load_dwordx4 v[13:16], v[57:58], off
	global_load_dwordx4 v[17:20], v[21:22], off
.LBB117_18:                             ;   in Loop: Header=BB117_4 Depth=1
	s_or_b64 exec, exec, s[10:11]
	v_mov_b32_e32 v21, 0
	v_mov_b32_e32 v22, 0
	s_and_saveexec_b64 s[10:11], s[8:9]
	s_cbranch_execz .LBB117_20
; %bb.19:                               ;   in Loop: Header=BB117_4 Depth=1
	v_lshlrev_b64 v[21:22], 4, v[55:56]
	v_mov_b32_e32 v23, s40
	v_add_co_u32_e32 v21, vcc, s39, v21
	v_addc_co_u32_e32 v22, vcc, v23, v22, vcc
	global_load_dwordx4 v[21:24], v[21:22], off
.LBB117_20:                             ;   in Loop: Header=BB117_4 Depth=1
	s_or_b64 exec, exec, s[10:11]
	s_waitcnt vmcnt(0)
	v_cmp_gt_f64_e32 vcc, 0, v[45:46]
	v_xor_b32_e32 v57, 0x80000000, v46
	v_mov_b32_e32 v61, v45
	v_mov_b32_e32 v63, v47
	s_mov_b64 s[12:13], -1
                                        ; implicit-def: $vgpr59_vgpr60
	v_cndmask_b32_e32 v62, v46, v57, vcc
	v_cmp_gt_f64_e32 vcc, 0, v[47:48]
	v_xor_b32_e32 v57, 0x80000000, v48
	v_cndmask_b32_e32 v64, v48, v57, vcc
	v_cmp_ge_f64_e64 s[10:11], v[61:62], v[63:64]
	s_and_b64 vcc, exec, s[28:29]
                                        ; implicit-def: $vgpr57_vgpr58
	s_cbranch_vccz .LBB117_30
; %bb.21:                               ;   in Loop: Header=BB117_4 Depth=1
                                        ; implicit-def: $vgpr57_vgpr58
                                        ; implicit-def: $vgpr59_vgpr60
	s_and_saveexec_b64 s[12:13], s[10:11]
	s_xor_b64 s[14:15], exec, s[12:13]
	s_cbranch_execz .LBB117_27
; %bb.22:                               ;   in Loop: Header=BB117_4 Depth=1
	v_cmp_neq_f64_e32 vcc, 0, v[45:46]
	v_cmp_neq_f64_e64 s[12:13], 0, v[47:48]
                                        ; implicit-def: $vgpr57_vgpr58
                                        ; implicit-def: $vgpr59_vgpr60
	s_or_b64 s[12:13], s[12:13], vcc
	s_and_saveexec_b64 s[30:31], s[12:13]
	s_xor_b64 s[12:13], exec, s[30:31]
	s_cbranch_execz .LBB117_24
; %bb.23:                               ;   in Loop: Header=BB117_4 Depth=1
	v_div_scale_f64 v[57:58], s[30:31], v[45:46], v[45:46], v[47:48]
	v_rcp_f64_e32 v[59:60], v[57:58]
	v_fma_f64 v[65:66], -v[57:58], v[59:60], 1.0
	v_fma_f64 v[59:60], v[59:60], v[65:66], v[59:60]
	v_div_scale_f64 v[65:66], vcc, v[47:48], v[45:46], v[47:48]
	v_fma_f64 v[67:68], -v[57:58], v[59:60], 1.0
	v_fma_f64 v[59:60], v[59:60], v[67:68], v[59:60]
	v_mul_f64 v[67:68], v[65:66], v[59:60]
	v_fma_f64 v[57:58], -v[57:58], v[67:68], v[65:66]
	v_div_fmas_f64 v[57:58], v[57:58], v[59:60], v[67:68]
	v_div_fixup_f64 v[57:58], v[57:58], v[45:46], v[47:48]
	v_fma_f64 v[59:60], v[47:48], v[57:58], v[45:46]
	v_div_scale_f64 v[65:66], s[30:31], v[59:60], v[59:60], 1.0
	v_rcp_f64_e32 v[67:68], v[65:66]
	v_fma_f64 v[69:70], -v[65:66], v[67:68], 1.0
	v_fma_f64 v[67:68], v[67:68], v[69:70], v[67:68]
	v_div_scale_f64 v[69:70], vcc, 1.0, v[59:60], 1.0
	v_fma_f64 v[71:72], -v[65:66], v[67:68], 1.0
	v_fma_f64 v[67:68], v[67:68], v[71:72], v[67:68]
	v_mul_f64 v[71:72], v[69:70], v[67:68]
	v_fma_f64 v[65:66], -v[65:66], v[71:72], v[69:70]
	v_div_fmas_f64 v[65:66], v[65:66], v[67:68], v[71:72]
	v_fma_f64 v[67:68], v[43:44], v[57:58], v[41:42]
	v_fma_f64 v[57:58], -v[41:42], v[57:58], v[43:44]
	v_div_fixup_f64 v[65:66], v[65:66], v[59:60], 1.0
	v_mul_f64 v[59:60], v[67:68], v[65:66]
	v_mul_f64 v[57:58], v[57:58], v[65:66]
.LBB117_24:                             ;   in Loop: Header=BB117_4 Depth=1
	s_andn2_saveexec_b64 s[30:31], s[12:13]
	s_cbranch_execz .LBB117_26
; %bb.25:                               ;   in Loop: Header=BB117_4 Depth=1
	v_div_scale_f64 v[57:58], s[12:13], v[61:62], v[61:62], v[41:42]
	v_div_scale_f64 v[59:60], s[12:13], v[63:64], v[63:64], v[43:44]
	;; [unrolled: 1-line block ×3, first 2 shown]
	v_rcp_f64_e32 v[65:66], v[57:58]
	v_rcp_f64_e32 v[67:68], v[59:60]
	v_fma_f64 v[69:70], -v[57:58], v[65:66], 1.0
	v_fma_f64 v[71:72], -v[59:60], v[67:68], 1.0
	v_fma_f64 v[65:66], v[65:66], v[69:70], v[65:66]
	v_div_scale_f64 v[69:70], vcc, v[41:42], v[61:62], v[41:42]
	v_fma_f64 v[67:68], v[67:68], v[71:72], v[67:68]
	v_fma_f64 v[71:72], -v[57:58], v[65:66], 1.0
	v_fma_f64 v[75:76], -v[59:60], v[67:68], 1.0
	v_fma_f64 v[65:66], v[65:66], v[71:72], v[65:66]
	v_fma_f64 v[67:68], v[67:68], v[75:76], v[67:68]
	v_mul_f64 v[71:72], v[69:70], v[65:66]
	v_mul_f64 v[75:76], v[73:74], v[67:68]
	v_fma_f64 v[57:58], -v[57:58], v[71:72], v[69:70]
	v_fma_f64 v[59:60], -v[59:60], v[75:76], v[73:74]
	v_div_fmas_f64 v[57:58], v[57:58], v[65:66], v[71:72]
	s_mov_b64 vcc, s[12:13]
	v_div_fmas_f64 v[65:66], v[59:60], v[67:68], v[75:76]
	v_div_fixup_f64 v[59:60], v[57:58], v[61:62], v[41:42]
	v_div_fixup_f64 v[57:58], v[65:66], v[63:64], v[43:44]
.LBB117_26:                             ;   in Loop: Header=BB117_4 Depth=1
	s_or_b64 exec, exec, s[30:31]
.LBB117_27:                             ;   in Loop: Header=BB117_4 Depth=1
	s_andn2_saveexec_b64 s[12:13], s[14:15]
	s_cbranch_execz .LBB117_29
; %bb.28:                               ;   in Loop: Header=BB117_4 Depth=1
	v_div_scale_f64 v[57:58], s[14:15], v[47:48], v[47:48], v[45:46]
	v_rcp_f64_e32 v[59:60], v[57:58]
	v_fma_f64 v[65:66], -v[57:58], v[59:60], 1.0
	v_fma_f64 v[59:60], v[59:60], v[65:66], v[59:60]
	v_div_scale_f64 v[65:66], vcc, v[45:46], v[47:48], v[45:46]
	v_fma_f64 v[67:68], -v[57:58], v[59:60], 1.0
	v_fma_f64 v[59:60], v[59:60], v[67:68], v[59:60]
	v_mul_f64 v[67:68], v[65:66], v[59:60]
	v_fma_f64 v[57:58], -v[57:58], v[67:68], v[65:66]
	v_div_fmas_f64 v[57:58], v[57:58], v[59:60], v[67:68]
	v_div_fixup_f64 v[57:58], v[57:58], v[47:48], v[45:46]
	v_fma_f64 v[59:60], v[45:46], v[57:58], v[47:48]
	v_div_scale_f64 v[65:66], s[14:15], v[59:60], v[59:60], 1.0
	v_rcp_f64_e32 v[67:68], v[65:66]
	v_fma_f64 v[69:70], -v[65:66], v[67:68], 1.0
	v_fma_f64 v[67:68], v[67:68], v[69:70], v[67:68]
	v_div_scale_f64 v[69:70], vcc, 1.0, v[59:60], 1.0
	v_fma_f64 v[71:72], -v[65:66], v[67:68], 1.0
	v_fma_f64 v[67:68], v[67:68], v[71:72], v[67:68]
	v_mul_f64 v[71:72], v[69:70], v[67:68]
	v_fma_f64 v[65:66], -v[65:66], v[71:72], v[69:70]
	v_div_fmas_f64 v[65:66], v[65:66], v[67:68], v[71:72]
	v_fma_f64 v[67:68], v[41:42], v[57:58], v[43:44]
	v_fma_f64 v[57:58], v[43:44], v[57:58], -v[41:42]
	v_div_fixup_f64 v[65:66], v[65:66], v[59:60], 1.0
	v_mul_f64 v[59:60], v[67:68], v[65:66]
	v_mul_f64 v[57:58], v[57:58], v[65:66]
.LBB117_29:                             ;   in Loop: Header=BB117_4 Depth=1
	s_or_b64 exec, exec, s[12:13]
	v_mul_f64 v[65:66], s[18:19], v[57:58]
	v_mul_f64 v[67:68], s[16:17], v[57:58]
	s_mov_b64 s[12:13], 0
	v_fma_f64 v[57:58], s[16:17], v[59:60], -v[65:66]
	v_fma_f64 v[59:60], s[18:19], v[59:60], v[67:68]
.LBB117_30:                             ;   in Loop: Header=BB117_4 Depth=1
	s_and_b64 vcc, exec, s[12:13]
	s_cbranch_vccz .LBB117_40
; %bb.31:                               ;   in Loop: Header=BB117_4 Depth=1
                                        ; implicit-def: $vgpr59_vgpr60
                                        ; implicit-def: $vgpr57_vgpr58
	s_and_saveexec_b64 s[12:13], s[10:11]
	s_xor_b64 s[12:13], exec, s[12:13]
	s_cbranch_execz .LBB117_37
; %bb.32:                               ;   in Loop: Header=BB117_4 Depth=1
	v_cmp_neq_f64_e32 vcc, 0, v[45:46]
	v_cmp_neq_f64_e64 s[10:11], 0, v[47:48]
                                        ; implicit-def: $vgpr59_vgpr60
                                        ; implicit-def: $vgpr57_vgpr58
	s_or_b64 s[10:11], s[10:11], vcc
	s_and_saveexec_b64 s[14:15], s[10:11]
	s_xor_b64 s[10:11], exec, s[14:15]
	s_cbranch_execz .LBB117_34
; %bb.33:                               ;   in Loop: Header=BB117_4 Depth=1
	v_div_scale_f64 v[57:58], s[14:15], v[45:46], v[45:46], v[47:48]
	v_rcp_f64_e32 v[59:60], v[57:58]
	v_fma_f64 v[61:62], -v[57:58], v[59:60], 1.0
	v_fma_f64 v[59:60], v[59:60], v[61:62], v[59:60]
	v_div_scale_f64 v[61:62], vcc, v[47:48], v[45:46], v[47:48]
	v_fma_f64 v[63:64], -v[57:58], v[59:60], 1.0
	v_fma_f64 v[59:60], v[59:60], v[63:64], v[59:60]
	v_mul_f64 v[63:64], v[61:62], v[59:60]
	v_fma_f64 v[57:58], -v[57:58], v[63:64], v[61:62]
	v_div_fmas_f64 v[57:58], v[57:58], v[59:60], v[63:64]
	v_div_fixup_f64 v[57:58], v[57:58], v[45:46], v[47:48]
	v_fma_f64 v[45:46], v[47:48], v[57:58], v[45:46]
	v_div_scale_f64 v[47:48], s[14:15], v[45:46], v[45:46], 1.0
	v_rcp_f64_e32 v[59:60], v[47:48]
	v_fma_f64 v[61:62], -v[47:48], v[59:60], 1.0
	v_fma_f64 v[59:60], v[59:60], v[61:62], v[59:60]
	v_div_scale_f64 v[61:62], vcc, 1.0, v[45:46], 1.0
	v_fma_f64 v[63:64], -v[47:48], v[59:60], 1.0
	v_fma_f64 v[59:60], v[59:60], v[63:64], v[59:60]
	v_mul_f64 v[63:64], v[61:62], v[59:60]
	v_fma_f64 v[47:48], -v[47:48], v[63:64], v[61:62]
                                        ; implicit-def: $vgpr61_vgpr62
	v_div_fmas_f64 v[47:48], v[47:48], v[59:60], v[63:64]
	v_fma_f64 v[59:60], v[43:44], v[57:58], v[41:42]
	v_fma_f64 v[41:42], -v[41:42], v[57:58], v[43:44]
                                        ; implicit-def: $vgpr63_vgpr64
	v_div_fixup_f64 v[45:46], v[47:48], v[45:46], 1.0
	v_mul_f64 v[57:58], v[59:60], v[45:46]
	v_mul_f64 v[59:60], v[41:42], v[45:46]
                                        ; implicit-def: $vgpr41_vgpr42
.LBB117_34:                             ;   in Loop: Header=BB117_4 Depth=1
	s_andn2_saveexec_b64 s[14:15], s[10:11]
	s_cbranch_execz .LBB117_36
; %bb.35:                               ;   in Loop: Header=BB117_4 Depth=1
	v_div_scale_f64 v[45:46], s[10:11], v[61:62], v[61:62], v[41:42]
	v_div_scale_f64 v[47:48], s[10:11], v[63:64], v[63:64], v[43:44]
	v_div_scale_f64 v[69:70], s[10:11], v[43:44], v[63:64], v[43:44]
	v_rcp_f64_e32 v[57:58], v[45:46]
	v_rcp_f64_e32 v[59:60], v[47:48]
	v_fma_f64 v[65:66], -v[45:46], v[57:58], 1.0
	v_fma_f64 v[67:68], -v[47:48], v[59:60], 1.0
	v_fma_f64 v[57:58], v[57:58], v[65:66], v[57:58]
	v_div_scale_f64 v[65:66], vcc, v[41:42], v[61:62], v[41:42]
	v_fma_f64 v[59:60], v[59:60], v[67:68], v[59:60]
	v_fma_f64 v[67:68], -v[45:46], v[57:58], 1.0
	v_fma_f64 v[71:72], -v[47:48], v[59:60], 1.0
	v_fma_f64 v[57:58], v[57:58], v[67:68], v[57:58]
	v_fma_f64 v[59:60], v[59:60], v[71:72], v[59:60]
	v_mul_f64 v[67:68], v[65:66], v[57:58]
	v_mul_f64 v[71:72], v[69:70], v[59:60]
	v_fma_f64 v[45:46], -v[45:46], v[67:68], v[65:66]
	v_fma_f64 v[47:48], -v[47:48], v[71:72], v[69:70]
	v_div_fmas_f64 v[45:46], v[45:46], v[57:58], v[67:68]
	s_mov_b64 vcc, s[10:11]
	v_div_fmas_f64 v[47:48], v[47:48], v[59:60], v[71:72]
	v_div_fixup_f64 v[57:58], v[45:46], v[61:62], v[41:42]
	v_div_fixup_f64 v[59:60], v[47:48], v[63:64], v[43:44]
.LBB117_36:                             ;   in Loop: Header=BB117_4 Depth=1
	s_or_b64 exec, exec, s[14:15]
                                        ; implicit-def: $vgpr47_vgpr48
                                        ; implicit-def: $vgpr41_vgpr42
.LBB117_37:                             ;   in Loop: Header=BB117_4 Depth=1
	s_andn2_saveexec_b64 s[10:11], s[12:13]
	s_cbranch_execz .LBB117_39
; %bb.38:                               ;   in Loop: Header=BB117_4 Depth=1
	v_div_scale_f64 v[57:58], s[12:13], v[47:48], v[47:48], v[45:46]
	v_rcp_f64_e32 v[59:60], v[57:58]
	v_fma_f64 v[61:62], -v[57:58], v[59:60], 1.0
	v_fma_f64 v[59:60], v[59:60], v[61:62], v[59:60]
	v_div_scale_f64 v[61:62], vcc, v[45:46], v[47:48], v[45:46]
	v_fma_f64 v[63:64], -v[57:58], v[59:60], 1.0
	v_fma_f64 v[59:60], v[59:60], v[63:64], v[59:60]
	v_mul_f64 v[63:64], v[61:62], v[59:60]
	v_fma_f64 v[57:58], -v[57:58], v[63:64], v[61:62]
	v_div_fmas_f64 v[57:58], v[57:58], v[59:60], v[63:64]
	v_div_fixup_f64 v[57:58], v[57:58], v[47:48], v[45:46]
	v_fma_f64 v[45:46], v[45:46], v[57:58], v[47:48]
	v_div_scale_f64 v[47:48], s[12:13], v[45:46], v[45:46], 1.0
	v_rcp_f64_e32 v[59:60], v[47:48]
	v_fma_f64 v[61:62], -v[47:48], v[59:60], 1.0
	v_fma_f64 v[59:60], v[59:60], v[61:62], v[59:60]
	v_div_scale_f64 v[61:62], vcc, 1.0, v[45:46], 1.0
	v_fma_f64 v[63:64], -v[47:48], v[59:60], 1.0
	v_fma_f64 v[59:60], v[59:60], v[63:64], v[59:60]
	v_mul_f64 v[63:64], v[61:62], v[59:60]
	v_fma_f64 v[47:48], -v[47:48], v[63:64], v[61:62]
	v_div_fmas_f64 v[47:48], v[47:48], v[59:60], v[63:64]
	v_fma_f64 v[59:60], v[41:42], v[57:58], v[43:44]
	v_fma_f64 v[41:42], v[43:44], v[57:58], -v[41:42]
	v_div_fixup_f64 v[45:46], v[47:48], v[45:46], 1.0
	v_mul_f64 v[57:58], v[59:60], v[45:46]
	v_mul_f64 v[59:60], v[41:42], v[45:46]
.LBB117_39:                             ;   in Loop: Header=BB117_4 Depth=1
	s_or_b64 exec, exec, s[10:11]
.LBB117_40:                             ;   in Loop: Header=BB117_4 Depth=1
	v_cmp_gt_f64_e32 vcc, 0, v[37:38]
	v_xor_b32_e32 v41, 0x80000000, v38
	v_mov_b32_e32 v45, v37
	v_mov_b32_e32 v47, v39
	s_mov_b64 s[14:15], -1
                                        ; implicit-def: $vgpr43_vgpr44
	v_cndmask_b32_e32 v46, v38, v41, vcc
	v_cmp_gt_f64_e32 vcc, 0, v[39:40]
	v_xor_b32_e32 v41, 0x80000000, v40
	v_cndmask_b32_e32 v48, v40, v41, vcc
	v_cmp_ge_f64_e64 s[12:13], v[45:46], v[47:48]
	v_cndmask_b32_e64 v41, 0, 1, s[28:29]
	v_cmp_ne_u32_e64 s[10:11], 1, v41
	s_andn2_b64 vcc, exec, s[28:29]
                                        ; implicit-def: $vgpr41_vgpr42
	s_cbranch_vccnz .LBB117_50
; %bb.41:                               ;   in Loop: Header=BB117_4 Depth=1
                                        ; implicit-def: $vgpr41_vgpr42
                                        ; implicit-def: $vgpr43_vgpr44
	s_and_saveexec_b64 s[14:15], s[12:13]
	s_xor_b64 s[30:31], exec, s[14:15]
	s_cbranch_execz .LBB117_47
; %bb.42:                               ;   in Loop: Header=BB117_4 Depth=1
	v_cmp_neq_f64_e32 vcc, 0, v[37:38]
	v_cmp_neq_f64_e64 s[14:15], 0, v[39:40]
                                        ; implicit-def: $vgpr41_vgpr42
                                        ; implicit-def: $vgpr43_vgpr44
	s_or_b64 s[14:15], s[14:15], vcc
	s_and_saveexec_b64 s[34:35], s[14:15]
	s_xor_b64 s[14:15], exec, s[34:35]
	s_cbranch_execz .LBB117_44
; %bb.43:                               ;   in Loop: Header=BB117_4 Depth=1
	v_div_scale_f64 v[41:42], s[34:35], v[37:38], v[37:38], v[39:40]
	v_rcp_f64_e32 v[43:44], v[41:42]
	v_fma_f64 v[61:62], -v[41:42], v[43:44], 1.0
	v_fma_f64 v[43:44], v[43:44], v[61:62], v[43:44]
	v_div_scale_f64 v[61:62], vcc, v[39:40], v[37:38], v[39:40]
	v_fma_f64 v[63:64], -v[41:42], v[43:44], 1.0
	v_fma_f64 v[43:44], v[43:44], v[63:64], v[43:44]
	v_mul_f64 v[63:64], v[61:62], v[43:44]
	v_fma_f64 v[41:42], -v[41:42], v[63:64], v[61:62]
	v_div_fmas_f64 v[41:42], v[41:42], v[43:44], v[63:64]
	v_div_fixup_f64 v[41:42], v[41:42], v[37:38], v[39:40]
	v_fma_f64 v[43:44], v[39:40], v[41:42], v[37:38]
	v_div_scale_f64 v[61:62], s[34:35], v[43:44], v[43:44], 1.0
	v_rcp_f64_e32 v[63:64], v[61:62]
	v_fma_f64 v[65:66], -v[61:62], v[63:64], 1.0
	v_fma_f64 v[63:64], v[63:64], v[65:66], v[63:64]
	v_div_scale_f64 v[65:66], vcc, 1.0, v[43:44], 1.0
	v_fma_f64 v[67:68], -v[61:62], v[63:64], 1.0
	v_fma_f64 v[63:64], v[63:64], v[67:68], v[63:64]
	v_mul_f64 v[67:68], v[65:66], v[63:64]
	v_fma_f64 v[61:62], -v[61:62], v[67:68], v[65:66]
	v_div_fmas_f64 v[61:62], v[61:62], v[63:64], v[67:68]
	v_fma_f64 v[63:64], v[35:36], v[41:42], v[33:34]
	v_fma_f64 v[41:42], -v[33:34], v[41:42], v[35:36]
	v_div_fixup_f64 v[61:62], v[61:62], v[43:44], 1.0
	v_mul_f64 v[43:44], v[63:64], v[61:62]
	v_mul_f64 v[41:42], v[41:42], v[61:62]
.LBB117_44:                             ;   in Loop: Header=BB117_4 Depth=1
	s_andn2_saveexec_b64 s[34:35], s[14:15]
	s_cbranch_execz .LBB117_46
; %bb.45:                               ;   in Loop: Header=BB117_4 Depth=1
	v_div_scale_f64 v[41:42], s[14:15], v[45:46], v[45:46], v[33:34]
	v_div_scale_f64 v[43:44], s[14:15], v[47:48], v[47:48], v[35:36]
	;; [unrolled: 1-line block ×3, first 2 shown]
	v_rcp_f64_e32 v[61:62], v[41:42]
	v_rcp_f64_e32 v[63:64], v[43:44]
	v_fma_f64 v[65:66], -v[41:42], v[61:62], 1.0
	v_fma_f64 v[67:68], -v[43:44], v[63:64], 1.0
	v_fma_f64 v[61:62], v[61:62], v[65:66], v[61:62]
	v_div_scale_f64 v[65:66], vcc, v[33:34], v[45:46], v[33:34]
	v_fma_f64 v[63:64], v[63:64], v[67:68], v[63:64]
	v_fma_f64 v[67:68], -v[41:42], v[61:62], 1.0
	v_fma_f64 v[71:72], -v[43:44], v[63:64], 1.0
	v_fma_f64 v[61:62], v[61:62], v[67:68], v[61:62]
	v_fma_f64 v[63:64], v[63:64], v[71:72], v[63:64]
	v_mul_f64 v[67:68], v[65:66], v[61:62]
	v_mul_f64 v[71:72], v[69:70], v[63:64]
	v_fma_f64 v[41:42], -v[41:42], v[67:68], v[65:66]
	v_fma_f64 v[43:44], -v[43:44], v[71:72], v[69:70]
	v_div_fmas_f64 v[41:42], v[41:42], v[61:62], v[67:68]
	s_mov_b64 vcc, s[14:15]
	v_div_fmas_f64 v[61:62], v[43:44], v[63:64], v[71:72]
	v_div_fixup_f64 v[43:44], v[41:42], v[45:46], v[33:34]
	v_div_fixup_f64 v[41:42], v[61:62], v[47:48], v[35:36]
.LBB117_46:                             ;   in Loop: Header=BB117_4 Depth=1
	s_or_b64 exec, exec, s[34:35]
.LBB117_47:                             ;   in Loop: Header=BB117_4 Depth=1
	s_andn2_saveexec_b64 s[14:15], s[30:31]
	s_cbranch_execz .LBB117_49
; %bb.48:                               ;   in Loop: Header=BB117_4 Depth=1
	v_div_scale_f64 v[41:42], s[30:31], v[39:40], v[39:40], v[37:38]
	v_rcp_f64_e32 v[43:44], v[41:42]
	v_fma_f64 v[61:62], -v[41:42], v[43:44], 1.0
	v_fma_f64 v[43:44], v[43:44], v[61:62], v[43:44]
	v_div_scale_f64 v[61:62], vcc, v[37:38], v[39:40], v[37:38]
	v_fma_f64 v[63:64], -v[41:42], v[43:44], 1.0
	v_fma_f64 v[43:44], v[43:44], v[63:64], v[43:44]
	v_mul_f64 v[63:64], v[61:62], v[43:44]
	v_fma_f64 v[41:42], -v[41:42], v[63:64], v[61:62]
	v_div_fmas_f64 v[41:42], v[41:42], v[43:44], v[63:64]
	v_div_fixup_f64 v[41:42], v[41:42], v[39:40], v[37:38]
	v_fma_f64 v[43:44], v[37:38], v[41:42], v[39:40]
	v_div_scale_f64 v[61:62], s[30:31], v[43:44], v[43:44], 1.0
	v_rcp_f64_e32 v[63:64], v[61:62]
	v_fma_f64 v[65:66], -v[61:62], v[63:64], 1.0
	v_fma_f64 v[63:64], v[63:64], v[65:66], v[63:64]
	v_div_scale_f64 v[65:66], vcc, 1.0, v[43:44], 1.0
	v_fma_f64 v[67:68], -v[61:62], v[63:64], 1.0
	v_fma_f64 v[63:64], v[63:64], v[67:68], v[63:64]
	v_mul_f64 v[67:68], v[65:66], v[63:64]
	v_fma_f64 v[61:62], -v[61:62], v[67:68], v[65:66]
	v_div_fmas_f64 v[61:62], v[61:62], v[63:64], v[67:68]
	v_fma_f64 v[63:64], v[33:34], v[41:42], v[35:36]
	v_fma_f64 v[41:42], v[35:36], v[41:42], -v[33:34]
	v_div_fixup_f64 v[61:62], v[61:62], v[43:44], 1.0
	v_mul_f64 v[43:44], v[63:64], v[61:62]
	v_mul_f64 v[41:42], v[41:42], v[61:62]
.LBB117_49:                             ;   in Loop: Header=BB117_4 Depth=1
	s_or_b64 exec, exec, s[14:15]
	v_mul_f64 v[61:62], s[18:19], v[41:42]
	v_mul_f64 v[63:64], s[16:17], v[41:42]
	s_mov_b64 s[14:15], 0
	v_fma_f64 v[41:42], s[16:17], v[43:44], -v[61:62]
	v_fma_f64 v[43:44], s[18:19], v[43:44], v[63:64]
.LBB117_50:                             ;   in Loop: Header=BB117_4 Depth=1
	s_and_b64 vcc, exec, s[14:15]
	s_cbranch_vccz .LBB117_60
; %bb.51:                               ;   in Loop: Header=BB117_4 Depth=1
                                        ; implicit-def: $vgpr43_vgpr44
                                        ; implicit-def: $vgpr41_vgpr42
	s_and_saveexec_b64 s[14:15], s[12:13]
	s_xor_b64 s[14:15], exec, s[14:15]
	s_cbranch_execz .LBB117_57
; %bb.52:                               ;   in Loop: Header=BB117_4 Depth=1
	v_cmp_neq_f64_e32 vcc, 0, v[37:38]
	v_cmp_neq_f64_e64 s[12:13], 0, v[39:40]
                                        ; implicit-def: $vgpr43_vgpr44
                                        ; implicit-def: $vgpr41_vgpr42
	s_or_b64 s[12:13], s[12:13], vcc
	s_and_saveexec_b64 s[30:31], s[12:13]
	s_xor_b64 s[12:13], exec, s[30:31]
	s_cbranch_execz .LBB117_54
; %bb.53:                               ;   in Loop: Header=BB117_4 Depth=1
	v_div_scale_f64 v[41:42], s[30:31], v[37:38], v[37:38], v[39:40]
	v_rcp_f64_e32 v[43:44], v[41:42]
	v_fma_f64 v[45:46], -v[41:42], v[43:44], 1.0
	v_fma_f64 v[43:44], v[43:44], v[45:46], v[43:44]
	v_div_scale_f64 v[45:46], vcc, v[39:40], v[37:38], v[39:40]
	v_fma_f64 v[47:48], -v[41:42], v[43:44], 1.0
	v_fma_f64 v[43:44], v[43:44], v[47:48], v[43:44]
	v_mul_f64 v[47:48], v[45:46], v[43:44]
	v_fma_f64 v[41:42], -v[41:42], v[47:48], v[45:46]
	v_div_fmas_f64 v[41:42], v[41:42], v[43:44], v[47:48]
	v_div_fixup_f64 v[41:42], v[41:42], v[37:38], v[39:40]
	v_fma_f64 v[37:38], v[39:40], v[41:42], v[37:38]
	v_div_scale_f64 v[39:40], s[30:31], v[37:38], v[37:38], 1.0
	v_rcp_f64_e32 v[43:44], v[39:40]
	v_fma_f64 v[45:46], -v[39:40], v[43:44], 1.0
	v_fma_f64 v[43:44], v[43:44], v[45:46], v[43:44]
	v_div_scale_f64 v[45:46], vcc, 1.0, v[37:38], 1.0
	v_fma_f64 v[47:48], -v[39:40], v[43:44], 1.0
	v_fma_f64 v[43:44], v[43:44], v[47:48], v[43:44]
	v_mul_f64 v[47:48], v[45:46], v[43:44]
	v_fma_f64 v[39:40], -v[39:40], v[47:48], v[45:46]
                                        ; implicit-def: $vgpr45_vgpr46
	v_div_fmas_f64 v[39:40], v[39:40], v[43:44], v[47:48]
	v_fma_f64 v[43:44], v[35:36], v[41:42], v[33:34]
	v_fma_f64 v[33:34], -v[33:34], v[41:42], v[35:36]
                                        ; implicit-def: $vgpr47_vgpr48
	v_div_fixup_f64 v[37:38], v[39:40], v[37:38], 1.0
	v_mul_f64 v[41:42], v[43:44], v[37:38]
	v_mul_f64 v[43:44], v[33:34], v[37:38]
                                        ; implicit-def: $vgpr33_vgpr34
.LBB117_54:                             ;   in Loop: Header=BB117_4 Depth=1
	s_andn2_saveexec_b64 s[30:31], s[12:13]
	s_cbranch_execz .LBB117_56
; %bb.55:                               ;   in Loop: Header=BB117_4 Depth=1
	v_div_scale_f64 v[37:38], s[12:13], v[45:46], v[45:46], v[33:34]
	v_div_scale_f64 v[39:40], s[12:13], v[47:48], v[47:48], v[35:36]
	;; [unrolled: 1-line block ×3, first 2 shown]
	v_rcp_f64_e32 v[41:42], v[37:38]
	v_rcp_f64_e32 v[43:44], v[39:40]
	v_fma_f64 v[61:62], -v[37:38], v[41:42], 1.0
	v_fma_f64 v[63:64], -v[39:40], v[43:44], 1.0
	v_fma_f64 v[41:42], v[41:42], v[61:62], v[41:42]
	v_div_scale_f64 v[61:62], vcc, v[33:34], v[45:46], v[33:34]
	v_fma_f64 v[43:44], v[43:44], v[63:64], v[43:44]
	v_fma_f64 v[63:64], -v[37:38], v[41:42], 1.0
	v_fma_f64 v[67:68], -v[39:40], v[43:44], 1.0
	v_fma_f64 v[41:42], v[41:42], v[63:64], v[41:42]
	v_fma_f64 v[43:44], v[43:44], v[67:68], v[43:44]
	v_mul_f64 v[63:64], v[61:62], v[41:42]
	v_mul_f64 v[67:68], v[65:66], v[43:44]
	v_fma_f64 v[37:38], -v[37:38], v[63:64], v[61:62]
	v_fma_f64 v[39:40], -v[39:40], v[67:68], v[65:66]
	v_div_fmas_f64 v[37:38], v[37:38], v[41:42], v[63:64]
	s_mov_b64 vcc, s[12:13]
	v_div_fmas_f64 v[39:40], v[39:40], v[43:44], v[67:68]
	v_div_fixup_f64 v[41:42], v[37:38], v[45:46], v[33:34]
	v_div_fixup_f64 v[43:44], v[39:40], v[47:48], v[35:36]
.LBB117_56:                             ;   in Loop: Header=BB117_4 Depth=1
	s_or_b64 exec, exec, s[30:31]
                                        ; implicit-def: $vgpr39_vgpr40
                                        ; implicit-def: $vgpr33_vgpr34
.LBB117_57:                             ;   in Loop: Header=BB117_4 Depth=1
	s_andn2_saveexec_b64 s[12:13], s[14:15]
	s_cbranch_execz .LBB117_59
; %bb.58:                               ;   in Loop: Header=BB117_4 Depth=1
	v_div_scale_f64 v[41:42], s[14:15], v[39:40], v[39:40], v[37:38]
	v_rcp_f64_e32 v[43:44], v[41:42]
	v_fma_f64 v[45:46], -v[41:42], v[43:44], 1.0
	v_fma_f64 v[43:44], v[43:44], v[45:46], v[43:44]
	v_div_scale_f64 v[45:46], vcc, v[37:38], v[39:40], v[37:38]
	v_fma_f64 v[47:48], -v[41:42], v[43:44], 1.0
	v_fma_f64 v[43:44], v[43:44], v[47:48], v[43:44]
	v_mul_f64 v[47:48], v[45:46], v[43:44]
	v_fma_f64 v[41:42], -v[41:42], v[47:48], v[45:46]
	v_div_fmas_f64 v[41:42], v[41:42], v[43:44], v[47:48]
	v_div_fixup_f64 v[41:42], v[41:42], v[39:40], v[37:38]
	v_fma_f64 v[37:38], v[37:38], v[41:42], v[39:40]
	v_div_scale_f64 v[39:40], s[14:15], v[37:38], v[37:38], 1.0
	v_rcp_f64_e32 v[43:44], v[39:40]
	v_fma_f64 v[45:46], -v[39:40], v[43:44], 1.0
	v_fma_f64 v[43:44], v[43:44], v[45:46], v[43:44]
	v_div_scale_f64 v[45:46], vcc, 1.0, v[37:38], 1.0
	v_fma_f64 v[47:48], -v[39:40], v[43:44], 1.0
	v_fma_f64 v[43:44], v[43:44], v[47:48], v[43:44]
	v_mul_f64 v[47:48], v[45:46], v[43:44]
	v_fma_f64 v[39:40], -v[39:40], v[47:48], v[45:46]
	v_div_fmas_f64 v[39:40], v[39:40], v[43:44], v[47:48]
	v_fma_f64 v[43:44], v[33:34], v[41:42], v[35:36]
	v_fma_f64 v[33:34], v[35:36], v[41:42], -v[33:34]
	v_div_fixup_f64 v[37:38], v[39:40], v[37:38], 1.0
	v_mul_f64 v[41:42], v[43:44], v[37:38]
	v_mul_f64 v[43:44], v[33:34], v[37:38]
.LBB117_59:                             ;   in Loop: Header=BB117_4 Depth=1
	s_or_b64 exec, exec, s[12:13]
.LBB117_60:                             ;   in Loop: Header=BB117_4 Depth=1
	v_cmp_gt_f64_e32 vcc, 0, v[29:30]
	v_xor_b32_e32 v33, 0x80000000, v30
	v_mov_b32_e32 v37, v29
	v_mov_b32_e32 v39, v31
	s_mov_b64 s[14:15], -1
                                        ; implicit-def: $vgpr35_vgpr36
	v_cndmask_b32_e32 v38, v30, v33, vcc
	v_cmp_gt_f64_e32 vcc, 0, v[31:32]
	v_xor_b32_e32 v33, 0x80000000, v32
	v_cndmask_b32_e32 v40, v32, v33, vcc
	v_cmp_ge_f64_e64 s[12:13], v[37:38], v[39:40]
	s_and_b64 vcc, exec, s[10:11]
                                        ; implicit-def: $vgpr33_vgpr34
	s_cbranch_vccnz .LBB117_70
; %bb.61:                               ;   in Loop: Header=BB117_4 Depth=1
                                        ; implicit-def: $vgpr33_vgpr34
                                        ; implicit-def: $vgpr35_vgpr36
	s_and_saveexec_b64 s[14:15], s[12:13]
	s_xor_b64 s[30:31], exec, s[14:15]
	s_cbranch_execz .LBB117_67
; %bb.62:                               ;   in Loop: Header=BB117_4 Depth=1
	v_cmp_neq_f64_e32 vcc, 0, v[29:30]
	v_cmp_neq_f64_e64 s[14:15], 0, v[31:32]
                                        ; implicit-def: $vgpr33_vgpr34
                                        ; implicit-def: $vgpr35_vgpr36
	s_or_b64 s[14:15], s[14:15], vcc
	s_and_saveexec_b64 s[34:35], s[14:15]
	s_xor_b64 s[14:15], exec, s[34:35]
	s_cbranch_execz .LBB117_64
; %bb.63:                               ;   in Loop: Header=BB117_4 Depth=1
	v_div_scale_f64 v[33:34], s[34:35], v[29:30], v[29:30], v[31:32]
	v_rcp_f64_e32 v[35:36], v[33:34]
	v_fma_f64 v[45:46], -v[33:34], v[35:36], 1.0
	v_fma_f64 v[35:36], v[35:36], v[45:46], v[35:36]
	v_div_scale_f64 v[45:46], vcc, v[31:32], v[29:30], v[31:32]
	v_fma_f64 v[47:48], -v[33:34], v[35:36], 1.0
	v_fma_f64 v[35:36], v[35:36], v[47:48], v[35:36]
	v_mul_f64 v[47:48], v[45:46], v[35:36]
	v_fma_f64 v[33:34], -v[33:34], v[47:48], v[45:46]
	v_div_fmas_f64 v[33:34], v[33:34], v[35:36], v[47:48]
	v_div_fixup_f64 v[33:34], v[33:34], v[29:30], v[31:32]
	v_fma_f64 v[35:36], v[31:32], v[33:34], v[29:30]
	v_div_scale_f64 v[45:46], s[34:35], v[35:36], v[35:36], 1.0
	v_rcp_f64_e32 v[47:48], v[45:46]
	v_fma_f64 v[61:62], -v[45:46], v[47:48], 1.0
	v_fma_f64 v[47:48], v[47:48], v[61:62], v[47:48]
	v_div_scale_f64 v[61:62], vcc, 1.0, v[35:36], 1.0
	v_fma_f64 v[63:64], -v[45:46], v[47:48], 1.0
	v_fma_f64 v[47:48], v[47:48], v[63:64], v[47:48]
	v_mul_f64 v[63:64], v[61:62], v[47:48]
	v_fma_f64 v[45:46], -v[45:46], v[63:64], v[61:62]
	v_div_fmas_f64 v[45:46], v[45:46], v[47:48], v[63:64]
	v_fma_f64 v[47:48], v[27:28], v[33:34], v[25:26]
	v_fma_f64 v[33:34], -v[25:26], v[33:34], v[27:28]
	v_div_fixup_f64 v[45:46], v[45:46], v[35:36], 1.0
	v_mul_f64 v[35:36], v[47:48], v[45:46]
	v_mul_f64 v[33:34], v[33:34], v[45:46]
.LBB117_64:                             ;   in Loop: Header=BB117_4 Depth=1
	s_andn2_saveexec_b64 s[34:35], s[14:15]
	s_cbranch_execz .LBB117_66
; %bb.65:                               ;   in Loop: Header=BB117_4 Depth=1
	v_div_scale_f64 v[33:34], s[14:15], v[37:38], v[37:38], v[25:26]
	v_div_scale_f64 v[35:36], s[14:15], v[39:40], v[39:40], v[27:28]
	v_div_scale_f64 v[65:66], s[14:15], v[27:28], v[39:40], v[27:28]
	v_rcp_f64_e32 v[45:46], v[33:34]
	v_rcp_f64_e32 v[47:48], v[35:36]
	v_fma_f64 v[61:62], -v[33:34], v[45:46], 1.0
	v_fma_f64 v[63:64], -v[35:36], v[47:48], 1.0
	v_fma_f64 v[45:46], v[45:46], v[61:62], v[45:46]
	v_div_scale_f64 v[61:62], vcc, v[25:26], v[37:38], v[25:26]
	v_fma_f64 v[47:48], v[47:48], v[63:64], v[47:48]
	v_fma_f64 v[63:64], -v[33:34], v[45:46], 1.0
	v_fma_f64 v[67:68], -v[35:36], v[47:48], 1.0
	v_fma_f64 v[45:46], v[45:46], v[63:64], v[45:46]
	v_fma_f64 v[47:48], v[47:48], v[67:68], v[47:48]
	v_mul_f64 v[63:64], v[61:62], v[45:46]
	v_mul_f64 v[67:68], v[65:66], v[47:48]
	v_fma_f64 v[33:34], -v[33:34], v[63:64], v[61:62]
	v_fma_f64 v[35:36], -v[35:36], v[67:68], v[65:66]
	v_div_fmas_f64 v[33:34], v[33:34], v[45:46], v[63:64]
	s_mov_b64 vcc, s[14:15]
	v_div_fmas_f64 v[45:46], v[35:36], v[47:48], v[67:68]
	v_div_fixup_f64 v[35:36], v[33:34], v[37:38], v[25:26]
	v_div_fixup_f64 v[33:34], v[45:46], v[39:40], v[27:28]
.LBB117_66:                             ;   in Loop: Header=BB117_4 Depth=1
	s_or_b64 exec, exec, s[34:35]
.LBB117_67:                             ;   in Loop: Header=BB117_4 Depth=1
	s_andn2_saveexec_b64 s[14:15], s[30:31]
	s_cbranch_execz .LBB117_69
; %bb.68:                               ;   in Loop: Header=BB117_4 Depth=1
	v_div_scale_f64 v[33:34], s[30:31], v[31:32], v[31:32], v[29:30]
	v_rcp_f64_e32 v[35:36], v[33:34]
	v_fma_f64 v[45:46], -v[33:34], v[35:36], 1.0
	v_fma_f64 v[35:36], v[35:36], v[45:46], v[35:36]
	v_div_scale_f64 v[45:46], vcc, v[29:30], v[31:32], v[29:30]
	v_fma_f64 v[47:48], -v[33:34], v[35:36], 1.0
	v_fma_f64 v[35:36], v[35:36], v[47:48], v[35:36]
	v_mul_f64 v[47:48], v[45:46], v[35:36]
	v_fma_f64 v[33:34], -v[33:34], v[47:48], v[45:46]
	v_div_fmas_f64 v[33:34], v[33:34], v[35:36], v[47:48]
	v_div_fixup_f64 v[33:34], v[33:34], v[31:32], v[29:30]
	v_fma_f64 v[35:36], v[29:30], v[33:34], v[31:32]
	v_div_scale_f64 v[45:46], s[30:31], v[35:36], v[35:36], 1.0
	v_rcp_f64_e32 v[47:48], v[45:46]
	v_fma_f64 v[61:62], -v[45:46], v[47:48], 1.0
	v_fma_f64 v[47:48], v[47:48], v[61:62], v[47:48]
	v_div_scale_f64 v[61:62], vcc, 1.0, v[35:36], 1.0
	v_fma_f64 v[63:64], -v[45:46], v[47:48], 1.0
	v_fma_f64 v[47:48], v[47:48], v[63:64], v[47:48]
	v_mul_f64 v[63:64], v[61:62], v[47:48]
	v_fma_f64 v[45:46], -v[45:46], v[63:64], v[61:62]
	v_div_fmas_f64 v[45:46], v[45:46], v[47:48], v[63:64]
	v_fma_f64 v[47:48], v[25:26], v[33:34], v[27:28]
	v_fma_f64 v[33:34], v[27:28], v[33:34], -v[25:26]
	v_div_fixup_f64 v[45:46], v[45:46], v[35:36], 1.0
	v_mul_f64 v[35:36], v[47:48], v[45:46]
	v_mul_f64 v[33:34], v[33:34], v[45:46]
.LBB117_69:                             ;   in Loop: Header=BB117_4 Depth=1
	s_or_b64 exec, exec, s[14:15]
	v_mul_f64 v[45:46], s[18:19], v[33:34]
	v_mul_f64 v[47:48], s[16:17], v[33:34]
	s_mov_b64 s[14:15], 0
	v_fma_f64 v[33:34], s[16:17], v[35:36], -v[45:46]
	v_fma_f64 v[35:36], s[18:19], v[35:36], v[47:48]
.LBB117_70:                             ;   in Loop: Header=BB117_4 Depth=1
	s_and_b64 vcc, exec, s[14:15]
	s_cbranch_vccz .LBB117_80
; %bb.71:                               ;   in Loop: Header=BB117_4 Depth=1
                                        ; implicit-def: $vgpr35_vgpr36
                                        ; implicit-def: $vgpr33_vgpr34
	s_and_saveexec_b64 s[14:15], s[12:13]
	s_xor_b64 s[14:15], exec, s[14:15]
	s_cbranch_execz .LBB117_77
; %bb.72:                               ;   in Loop: Header=BB117_4 Depth=1
	v_cmp_neq_f64_e32 vcc, 0, v[29:30]
	v_cmp_neq_f64_e64 s[12:13], 0, v[31:32]
                                        ; implicit-def: $vgpr35_vgpr36
                                        ; implicit-def: $vgpr33_vgpr34
	s_or_b64 s[12:13], s[12:13], vcc
	s_and_saveexec_b64 s[30:31], s[12:13]
	s_xor_b64 s[12:13], exec, s[30:31]
	s_cbranch_execz .LBB117_74
; %bb.73:                               ;   in Loop: Header=BB117_4 Depth=1
	v_div_scale_f64 v[33:34], s[30:31], v[29:30], v[29:30], v[31:32]
	v_rcp_f64_e32 v[35:36], v[33:34]
	v_fma_f64 v[37:38], -v[33:34], v[35:36], 1.0
	v_fma_f64 v[35:36], v[35:36], v[37:38], v[35:36]
	v_div_scale_f64 v[37:38], vcc, v[31:32], v[29:30], v[31:32]
	v_fma_f64 v[39:40], -v[33:34], v[35:36], 1.0
	v_fma_f64 v[35:36], v[35:36], v[39:40], v[35:36]
	v_mul_f64 v[39:40], v[37:38], v[35:36]
	v_fma_f64 v[33:34], -v[33:34], v[39:40], v[37:38]
	v_div_fmas_f64 v[33:34], v[33:34], v[35:36], v[39:40]
	v_div_fixup_f64 v[33:34], v[33:34], v[29:30], v[31:32]
	v_fma_f64 v[29:30], v[31:32], v[33:34], v[29:30]
	v_div_scale_f64 v[31:32], s[30:31], v[29:30], v[29:30], 1.0
	v_rcp_f64_e32 v[35:36], v[31:32]
	v_fma_f64 v[37:38], -v[31:32], v[35:36], 1.0
	v_fma_f64 v[35:36], v[35:36], v[37:38], v[35:36]
	v_div_scale_f64 v[37:38], vcc, 1.0, v[29:30], 1.0
	v_fma_f64 v[39:40], -v[31:32], v[35:36], 1.0
	v_fma_f64 v[35:36], v[35:36], v[39:40], v[35:36]
	v_mul_f64 v[39:40], v[37:38], v[35:36]
	v_fma_f64 v[31:32], -v[31:32], v[39:40], v[37:38]
                                        ; implicit-def: $vgpr37_vgpr38
	v_div_fmas_f64 v[31:32], v[31:32], v[35:36], v[39:40]
	v_fma_f64 v[35:36], v[27:28], v[33:34], v[25:26]
	v_fma_f64 v[25:26], -v[25:26], v[33:34], v[27:28]
                                        ; implicit-def: $vgpr39_vgpr40
	v_div_fixup_f64 v[29:30], v[31:32], v[29:30], 1.0
	v_mul_f64 v[33:34], v[35:36], v[29:30]
	v_mul_f64 v[35:36], v[25:26], v[29:30]
                                        ; implicit-def: $vgpr25_vgpr26
.LBB117_74:                             ;   in Loop: Header=BB117_4 Depth=1
	s_andn2_saveexec_b64 s[30:31], s[12:13]
	s_cbranch_execz .LBB117_76
; %bb.75:                               ;   in Loop: Header=BB117_4 Depth=1
	v_div_scale_f64 v[29:30], s[12:13], v[37:38], v[37:38], v[25:26]
	v_div_scale_f64 v[31:32], s[12:13], v[39:40], v[39:40], v[27:28]
	;; [unrolled: 1-line block ×3, first 2 shown]
	v_rcp_f64_e32 v[33:34], v[29:30]
	v_rcp_f64_e32 v[35:36], v[31:32]
	v_fma_f64 v[45:46], -v[29:30], v[33:34], 1.0
	v_fma_f64 v[47:48], -v[31:32], v[35:36], 1.0
	v_fma_f64 v[33:34], v[33:34], v[45:46], v[33:34]
	v_div_scale_f64 v[45:46], vcc, v[25:26], v[37:38], v[25:26]
	v_fma_f64 v[35:36], v[35:36], v[47:48], v[35:36]
	v_fma_f64 v[47:48], -v[29:30], v[33:34], 1.0
	v_fma_f64 v[63:64], -v[31:32], v[35:36], 1.0
	v_fma_f64 v[33:34], v[33:34], v[47:48], v[33:34]
	v_fma_f64 v[35:36], v[35:36], v[63:64], v[35:36]
	v_mul_f64 v[47:48], v[45:46], v[33:34]
	v_mul_f64 v[63:64], v[61:62], v[35:36]
	v_fma_f64 v[29:30], -v[29:30], v[47:48], v[45:46]
	v_fma_f64 v[31:32], -v[31:32], v[63:64], v[61:62]
	v_div_fmas_f64 v[29:30], v[29:30], v[33:34], v[47:48]
	s_mov_b64 vcc, s[12:13]
	v_div_fmas_f64 v[31:32], v[31:32], v[35:36], v[63:64]
	v_div_fixup_f64 v[33:34], v[29:30], v[37:38], v[25:26]
	v_div_fixup_f64 v[35:36], v[31:32], v[39:40], v[27:28]
.LBB117_76:                             ;   in Loop: Header=BB117_4 Depth=1
	s_or_b64 exec, exec, s[30:31]
                                        ; implicit-def: $vgpr31_vgpr32
                                        ; implicit-def: $vgpr25_vgpr26
.LBB117_77:                             ;   in Loop: Header=BB117_4 Depth=1
	s_andn2_saveexec_b64 s[12:13], s[14:15]
	s_cbranch_execz .LBB117_79
; %bb.78:                               ;   in Loop: Header=BB117_4 Depth=1
	v_div_scale_f64 v[33:34], s[14:15], v[31:32], v[31:32], v[29:30]
	v_rcp_f64_e32 v[35:36], v[33:34]
	v_fma_f64 v[37:38], -v[33:34], v[35:36], 1.0
	v_fma_f64 v[35:36], v[35:36], v[37:38], v[35:36]
	v_div_scale_f64 v[37:38], vcc, v[29:30], v[31:32], v[29:30]
	v_fma_f64 v[39:40], -v[33:34], v[35:36], 1.0
	v_fma_f64 v[35:36], v[35:36], v[39:40], v[35:36]
	v_mul_f64 v[39:40], v[37:38], v[35:36]
	v_fma_f64 v[33:34], -v[33:34], v[39:40], v[37:38]
	v_div_fmas_f64 v[33:34], v[33:34], v[35:36], v[39:40]
	v_div_fixup_f64 v[33:34], v[33:34], v[31:32], v[29:30]
	v_fma_f64 v[29:30], v[29:30], v[33:34], v[31:32]
	v_div_scale_f64 v[31:32], s[14:15], v[29:30], v[29:30], 1.0
	v_rcp_f64_e32 v[35:36], v[31:32]
	v_fma_f64 v[37:38], -v[31:32], v[35:36], 1.0
	v_fma_f64 v[35:36], v[35:36], v[37:38], v[35:36]
	v_div_scale_f64 v[37:38], vcc, 1.0, v[29:30], 1.0
	v_fma_f64 v[39:40], -v[31:32], v[35:36], 1.0
	v_fma_f64 v[35:36], v[35:36], v[39:40], v[35:36]
	v_mul_f64 v[39:40], v[37:38], v[35:36]
	v_fma_f64 v[31:32], -v[31:32], v[39:40], v[37:38]
	v_div_fmas_f64 v[31:32], v[31:32], v[35:36], v[39:40]
	v_fma_f64 v[35:36], v[25:26], v[33:34], v[27:28]
	v_fma_f64 v[25:26], v[27:28], v[33:34], -v[25:26]
	v_div_fixup_f64 v[29:30], v[31:32], v[29:30], 1.0
	v_mul_f64 v[33:34], v[35:36], v[29:30]
	v_mul_f64 v[35:36], v[25:26], v[29:30]
.LBB117_79:                             ;   in Loop: Header=BB117_4 Depth=1
	s_or_b64 exec, exec, s[12:13]
.LBB117_80:                             ;   in Loop: Header=BB117_4 Depth=1
	v_cmp_gt_f64_e32 vcc, 0, v[21:22]
	v_xor_b32_e32 v25, 0x80000000, v22
	v_xor_b32_e32 v27, 0x80000000, v24
                                        ; implicit-def: $vgpr31_vgpr32
                                        ; implicit-def: $vgpr29_vgpr30
	v_cndmask_b32_e32 v26, v22, v25, vcc
	v_cmp_gt_f64_e32 vcc, 0, v[23:24]
	v_mov_b32_e32 v25, v21
	v_cndmask_b32_e32 v28, v24, v27, vcc
	v_mov_b32_e32 v27, v23
	v_cmp_ge_f64_e64 s[12:13], v[25:26], v[27:28]
	s_and_b64 vcc, exec, s[10:11]
	s_mov_b64 s[10:11], -1
	s_cbranch_vccz .LBB117_86
; %bb.81:                               ;   in Loop: Header=BB117_4 Depth=1
	s_and_b64 vcc, exec, s[10:11]
	s_cbranch_vccnz .LBB117_95
.LBB117_82:                             ;   in Loop: Header=BB117_4 Depth=1
	s_and_saveexec_b64 s[10:11], s[0:1]
	s_xor_b64 s[0:1], exec, s[10:11]
	s_cbranch_execnz .LBB117_104
.LBB117_83:                             ;   in Loop: Header=BB117_4 Depth=1
	s_or_b64 exec, exec, s[0:1]
	s_and_saveexec_b64 s[0:1], s[2:3]
	s_cbranch_execnz .LBB117_105
.LBB117_84:                             ;   in Loop: Header=BB117_4 Depth=1
	s_or_b64 exec, exec, s[0:1]
	s_and_saveexec_b64 s[0:1], s[6:7]
	s_cbranch_execnz .LBB117_106
.LBB117_85:                             ;   in Loop: Header=BB117_4 Depth=1
	s_or_b64 exec, exec, s[0:1]
	s_and_saveexec_b64 s[0:1], s[8:9]
	s_cbranch_execz .LBB117_3
	s_branch .LBB117_107
.LBB117_86:                             ;   in Loop: Header=BB117_4 Depth=1
                                        ; implicit-def: $vgpr29_vgpr30
                                        ; implicit-def: $vgpr31_vgpr32
	s_and_saveexec_b64 s[10:11], s[12:13]
	s_xor_b64 s[14:15], exec, s[10:11]
	s_cbranch_execz .LBB117_92
; %bb.87:                               ;   in Loop: Header=BB117_4 Depth=1
	v_cmp_neq_f64_e32 vcc, 0, v[21:22]
	v_cmp_neq_f64_e64 s[10:11], 0, v[23:24]
                                        ; implicit-def: $vgpr29_vgpr30
                                        ; implicit-def: $vgpr31_vgpr32
	s_or_b64 s[10:11], s[10:11], vcc
	s_and_saveexec_b64 s[30:31], s[10:11]
	s_xor_b64 s[10:11], exec, s[30:31]
	s_cbranch_execz .LBB117_89
; %bb.88:                               ;   in Loop: Header=BB117_4 Depth=1
	v_div_scale_f64 v[29:30], s[30:31], v[21:22], v[21:22], v[23:24]
	v_rcp_f64_e32 v[31:32], v[29:30]
	v_fma_f64 v[37:38], -v[29:30], v[31:32], 1.0
	v_fma_f64 v[31:32], v[31:32], v[37:38], v[31:32]
	v_div_scale_f64 v[37:38], vcc, v[23:24], v[21:22], v[23:24]
	v_fma_f64 v[39:40], -v[29:30], v[31:32], 1.0
	v_fma_f64 v[31:32], v[31:32], v[39:40], v[31:32]
	v_mul_f64 v[39:40], v[37:38], v[31:32]
	v_fma_f64 v[29:30], -v[29:30], v[39:40], v[37:38]
	v_div_fmas_f64 v[29:30], v[29:30], v[31:32], v[39:40]
	v_div_fixup_f64 v[29:30], v[29:30], v[21:22], v[23:24]
	v_fma_f64 v[31:32], v[23:24], v[29:30], v[21:22]
	v_div_scale_f64 v[37:38], s[30:31], v[31:32], v[31:32], 1.0
	v_rcp_f64_e32 v[39:40], v[37:38]
	v_fma_f64 v[45:46], -v[37:38], v[39:40], 1.0
	v_fma_f64 v[39:40], v[39:40], v[45:46], v[39:40]
	v_div_scale_f64 v[45:46], vcc, 1.0, v[31:32], 1.0
	v_fma_f64 v[47:48], -v[37:38], v[39:40], 1.0
	v_fma_f64 v[39:40], v[39:40], v[47:48], v[39:40]
	v_mul_f64 v[47:48], v[45:46], v[39:40]
	v_fma_f64 v[37:38], -v[37:38], v[47:48], v[45:46]
	v_div_fmas_f64 v[37:38], v[37:38], v[39:40], v[47:48]
	v_fma_f64 v[39:40], v[19:20], v[29:30], v[17:18]
	v_fma_f64 v[29:30], -v[17:18], v[29:30], v[19:20]
	v_div_fixup_f64 v[37:38], v[37:38], v[31:32], 1.0
	v_mul_f64 v[31:32], v[39:40], v[37:38]
	v_mul_f64 v[29:30], v[29:30], v[37:38]
.LBB117_89:                             ;   in Loop: Header=BB117_4 Depth=1
	s_andn2_saveexec_b64 s[30:31], s[10:11]
	s_cbranch_execz .LBB117_91
; %bb.90:                               ;   in Loop: Header=BB117_4 Depth=1
	v_div_scale_f64 v[29:30], s[10:11], v[25:26], v[25:26], v[17:18]
	v_div_scale_f64 v[31:32], s[10:11], v[27:28], v[27:28], v[19:20]
	;; [unrolled: 1-line block ×3, first 2 shown]
	v_rcp_f64_e32 v[37:38], v[29:30]
	v_rcp_f64_e32 v[39:40], v[31:32]
	v_fma_f64 v[45:46], -v[29:30], v[37:38], 1.0
	v_fma_f64 v[47:48], -v[31:32], v[39:40], 1.0
	v_fma_f64 v[37:38], v[37:38], v[45:46], v[37:38]
	v_div_scale_f64 v[45:46], vcc, v[17:18], v[25:26], v[17:18]
	v_fma_f64 v[39:40], v[39:40], v[47:48], v[39:40]
	v_fma_f64 v[47:48], -v[29:30], v[37:38], 1.0
	v_fma_f64 v[63:64], -v[31:32], v[39:40], 1.0
	v_fma_f64 v[37:38], v[37:38], v[47:48], v[37:38]
	v_fma_f64 v[39:40], v[39:40], v[63:64], v[39:40]
	v_mul_f64 v[47:48], v[45:46], v[37:38]
	v_mul_f64 v[63:64], v[61:62], v[39:40]
	v_fma_f64 v[29:30], -v[29:30], v[47:48], v[45:46]
	v_fma_f64 v[31:32], -v[31:32], v[63:64], v[61:62]
	v_div_fmas_f64 v[29:30], v[29:30], v[37:38], v[47:48]
	s_mov_b64 vcc, s[10:11]
	v_div_fmas_f64 v[37:38], v[31:32], v[39:40], v[63:64]
	v_div_fixup_f64 v[31:32], v[29:30], v[25:26], v[17:18]
	v_div_fixup_f64 v[29:30], v[37:38], v[27:28], v[19:20]
.LBB117_91:                             ;   in Loop: Header=BB117_4 Depth=1
	s_or_b64 exec, exec, s[30:31]
.LBB117_92:                             ;   in Loop: Header=BB117_4 Depth=1
	s_andn2_saveexec_b64 s[10:11], s[14:15]
	s_cbranch_execz .LBB117_94
; %bb.93:                               ;   in Loop: Header=BB117_4 Depth=1
	v_div_scale_f64 v[29:30], s[14:15], v[23:24], v[23:24], v[21:22]
	v_rcp_f64_e32 v[31:32], v[29:30]
	v_fma_f64 v[37:38], -v[29:30], v[31:32], 1.0
	v_fma_f64 v[31:32], v[31:32], v[37:38], v[31:32]
	v_div_scale_f64 v[37:38], vcc, v[21:22], v[23:24], v[21:22]
	v_fma_f64 v[39:40], -v[29:30], v[31:32], 1.0
	v_fma_f64 v[31:32], v[31:32], v[39:40], v[31:32]
	v_mul_f64 v[39:40], v[37:38], v[31:32]
	v_fma_f64 v[29:30], -v[29:30], v[39:40], v[37:38]
	v_div_fmas_f64 v[29:30], v[29:30], v[31:32], v[39:40]
	v_div_fixup_f64 v[29:30], v[29:30], v[23:24], v[21:22]
	v_fma_f64 v[31:32], v[21:22], v[29:30], v[23:24]
	v_div_scale_f64 v[37:38], s[14:15], v[31:32], v[31:32], 1.0
	v_rcp_f64_e32 v[39:40], v[37:38]
	v_fma_f64 v[45:46], -v[37:38], v[39:40], 1.0
	v_fma_f64 v[39:40], v[39:40], v[45:46], v[39:40]
	v_div_scale_f64 v[45:46], vcc, 1.0, v[31:32], 1.0
	v_fma_f64 v[47:48], -v[37:38], v[39:40], 1.0
	v_fma_f64 v[39:40], v[39:40], v[47:48], v[39:40]
	v_mul_f64 v[47:48], v[45:46], v[39:40]
	v_fma_f64 v[37:38], -v[37:38], v[47:48], v[45:46]
	v_div_fmas_f64 v[37:38], v[37:38], v[39:40], v[47:48]
	v_fma_f64 v[39:40], v[17:18], v[29:30], v[19:20]
	v_fma_f64 v[29:30], v[19:20], v[29:30], -v[17:18]
	v_div_fixup_f64 v[37:38], v[37:38], v[31:32], 1.0
	v_mul_f64 v[31:32], v[39:40], v[37:38]
	v_mul_f64 v[29:30], v[29:30], v[37:38]
.LBB117_94:                             ;   in Loop: Header=BB117_4 Depth=1
	s_or_b64 exec, exec, s[10:11]
	v_mul_f64 v[37:38], s[18:19], v[29:30]
	v_mul_f64 v[39:40], s[16:17], v[29:30]
	v_fma_f64 v[29:30], s[16:17], v[31:32], -v[37:38]
	v_fma_f64 v[31:32], s[18:19], v[31:32], v[39:40]
	s_branch .LBB117_82
.LBB117_95:                             ;   in Loop: Header=BB117_4 Depth=1
                                        ; implicit-def: $vgpr31_vgpr32
                                        ; implicit-def: $vgpr29_vgpr30
	s_and_saveexec_b64 s[10:11], s[12:13]
	s_xor_b64 s[12:13], exec, s[10:11]
	s_cbranch_execz .LBB117_101
; %bb.96:                               ;   in Loop: Header=BB117_4 Depth=1
	v_cmp_neq_f64_e32 vcc, 0, v[21:22]
	v_cmp_neq_f64_e64 s[10:11], 0, v[23:24]
                                        ; implicit-def: $vgpr31_vgpr32
                                        ; implicit-def: $vgpr29_vgpr30
	s_or_b64 s[10:11], s[10:11], vcc
	s_and_saveexec_b64 s[14:15], s[10:11]
	s_xor_b64 s[10:11], exec, s[14:15]
	s_cbranch_execz .LBB117_98
; %bb.97:                               ;   in Loop: Header=BB117_4 Depth=1
	v_div_scale_f64 v[25:26], s[14:15], v[21:22], v[21:22], v[23:24]
	v_rcp_f64_e32 v[27:28], v[25:26]
	v_fma_f64 v[29:30], -v[25:26], v[27:28], 1.0
	v_fma_f64 v[27:28], v[27:28], v[29:30], v[27:28]
	v_div_scale_f64 v[29:30], vcc, v[23:24], v[21:22], v[23:24]
	v_fma_f64 v[31:32], -v[25:26], v[27:28], 1.0
	v_fma_f64 v[27:28], v[27:28], v[31:32], v[27:28]
	v_mul_f64 v[31:32], v[29:30], v[27:28]
	v_fma_f64 v[25:26], -v[25:26], v[31:32], v[29:30]
	v_div_fmas_f64 v[25:26], v[25:26], v[27:28], v[31:32]
	v_div_fixup_f64 v[25:26], v[25:26], v[21:22], v[23:24]
	v_fma_f64 v[21:22], v[23:24], v[25:26], v[21:22]
	v_div_scale_f64 v[23:24], s[14:15], v[21:22], v[21:22], 1.0
	v_rcp_f64_e32 v[27:28], v[23:24]
	v_fma_f64 v[29:30], -v[23:24], v[27:28], 1.0
	v_fma_f64 v[27:28], v[27:28], v[29:30], v[27:28]
	v_div_scale_f64 v[29:30], vcc, 1.0, v[21:22], 1.0
	v_fma_f64 v[31:32], -v[23:24], v[27:28], 1.0
	v_fma_f64 v[27:28], v[27:28], v[31:32], v[27:28]
	v_mul_f64 v[31:32], v[29:30], v[27:28]
	v_fma_f64 v[23:24], -v[23:24], v[31:32], v[29:30]
	v_div_fmas_f64 v[23:24], v[23:24], v[27:28], v[31:32]
	v_fma_f64 v[27:28], v[19:20], v[25:26], v[17:18]
	v_fma_f64 v[17:18], -v[17:18], v[25:26], v[19:20]
                                        ; implicit-def: $vgpr25_vgpr26
	v_div_fixup_f64 v[21:22], v[23:24], v[21:22], 1.0
	v_mul_f64 v[29:30], v[27:28], v[21:22]
	v_mul_f64 v[31:32], v[17:18], v[21:22]
                                        ; implicit-def: $vgpr17_vgpr18
                                        ; implicit-def: $vgpr27_vgpr28
.LBB117_98:                             ;   in Loop: Header=BB117_4 Depth=1
	s_andn2_saveexec_b64 s[14:15], s[10:11]
	s_cbranch_execz .LBB117_100
; %bb.99:                               ;   in Loop: Header=BB117_4 Depth=1
	v_div_scale_f64 v[21:22], s[10:11], v[25:26], v[25:26], v[17:18]
	v_div_scale_f64 v[23:24], s[10:11], v[27:28], v[27:28], v[19:20]
	;; [unrolled: 1-line block ×3, first 2 shown]
	v_rcp_f64_e32 v[29:30], v[21:22]
	v_rcp_f64_e32 v[31:32], v[23:24]
	v_fma_f64 v[37:38], -v[21:22], v[29:30], 1.0
	v_fma_f64 v[39:40], -v[23:24], v[31:32], 1.0
	v_fma_f64 v[29:30], v[29:30], v[37:38], v[29:30]
	v_div_scale_f64 v[37:38], vcc, v[17:18], v[25:26], v[17:18]
	v_fma_f64 v[31:32], v[31:32], v[39:40], v[31:32]
	v_fma_f64 v[39:40], -v[21:22], v[29:30], 1.0
	v_fma_f64 v[47:48], -v[23:24], v[31:32], 1.0
	v_fma_f64 v[29:30], v[29:30], v[39:40], v[29:30]
	v_fma_f64 v[31:32], v[31:32], v[47:48], v[31:32]
	v_mul_f64 v[39:40], v[37:38], v[29:30]
	v_mul_f64 v[47:48], v[45:46], v[31:32]
	v_fma_f64 v[21:22], -v[21:22], v[39:40], v[37:38]
	v_fma_f64 v[23:24], -v[23:24], v[47:48], v[45:46]
	v_div_fmas_f64 v[21:22], v[21:22], v[29:30], v[39:40]
	s_mov_b64 vcc, s[10:11]
	v_div_fmas_f64 v[23:24], v[23:24], v[31:32], v[47:48]
	v_div_fixup_f64 v[29:30], v[21:22], v[25:26], v[17:18]
	v_div_fixup_f64 v[31:32], v[23:24], v[27:28], v[19:20]
.LBB117_100:                            ;   in Loop: Header=BB117_4 Depth=1
	s_or_b64 exec, exec, s[14:15]
                                        ; implicit-def: $vgpr23_vgpr24
                                        ; implicit-def: $vgpr17_vgpr18
.LBB117_101:                            ;   in Loop: Header=BB117_4 Depth=1
	s_andn2_saveexec_b64 s[10:11], s[12:13]
	s_cbranch_execz .LBB117_103
; %bb.102:                              ;   in Loop: Header=BB117_4 Depth=1
	v_div_scale_f64 v[25:26], s[12:13], v[23:24], v[23:24], v[21:22]
	v_rcp_f64_e32 v[27:28], v[25:26]
	v_fma_f64 v[29:30], -v[25:26], v[27:28], 1.0
	v_fma_f64 v[27:28], v[27:28], v[29:30], v[27:28]
	v_div_scale_f64 v[29:30], vcc, v[21:22], v[23:24], v[21:22]
	v_fma_f64 v[31:32], -v[25:26], v[27:28], 1.0
	v_fma_f64 v[27:28], v[27:28], v[31:32], v[27:28]
	v_mul_f64 v[31:32], v[29:30], v[27:28]
	v_fma_f64 v[25:26], -v[25:26], v[31:32], v[29:30]
	v_div_fmas_f64 v[25:26], v[25:26], v[27:28], v[31:32]
	v_div_fixup_f64 v[25:26], v[25:26], v[23:24], v[21:22]
	v_fma_f64 v[21:22], v[21:22], v[25:26], v[23:24]
	v_div_scale_f64 v[23:24], s[12:13], v[21:22], v[21:22], 1.0
	v_rcp_f64_e32 v[27:28], v[23:24]
	v_fma_f64 v[29:30], -v[23:24], v[27:28], 1.0
	v_fma_f64 v[27:28], v[27:28], v[29:30], v[27:28]
	v_div_scale_f64 v[29:30], vcc, 1.0, v[21:22], 1.0
	v_fma_f64 v[31:32], -v[23:24], v[27:28], 1.0
	v_fma_f64 v[27:28], v[27:28], v[31:32], v[27:28]
	v_mul_f64 v[31:32], v[29:30], v[27:28]
	v_fma_f64 v[23:24], -v[23:24], v[31:32], v[29:30]
	v_div_fmas_f64 v[23:24], v[23:24], v[27:28], v[31:32]
	v_fma_f64 v[27:28], v[17:18], v[25:26], v[19:20]
	v_fma_f64 v[17:18], v[19:20], v[25:26], -v[17:18]
	v_div_fixup_f64 v[21:22], v[23:24], v[21:22], 1.0
	v_mul_f64 v[29:30], v[27:28], v[21:22]
	v_mul_f64 v[31:32], v[17:18], v[21:22]
.LBB117_103:                            ;   in Loop: Header=BB117_4 Depth=1
	s_or_b64 exec, exec, s[10:11]
	s_and_saveexec_b64 s[10:11], s[0:1]
	s_xor_b64 s[0:1], exec, s[10:11]
	s_cbranch_execz .LBB117_83
.LBB117_104:                            ;   in Loop: Header=BB117_4 Depth=1
	v_add_f64 v[3:4], v[3:4], v[59:60]
	v_add_f64 v[1:2], v[1:2], v[57:58]
	v_lshlrev_b64 v[17:18], 4, v[49:50]
	v_mov_b32_e32 v19, s42
	v_add_co_u32_e32 v17, vcc, s41, v17
	v_addc_co_u32_e32 v18, vcc, v19, v18, vcc
	global_store_dwordx4 v[17:18], v[1:4], off
	s_or_b64 exec, exec, s[0:1]
	s_and_saveexec_b64 s[0:1], s[2:3]
	s_cbranch_execz .LBB117_84
.LBB117_105:                            ;   in Loop: Header=BB117_4 Depth=1
	v_add_f64 v[3:4], v[7:8], v[43:44]
	v_add_f64 v[1:2], v[5:6], v[41:42]
	v_lshlrev_b64 v[5:6], 4, v[51:52]
	v_mov_b32_e32 v7, s42
	v_add_co_u32_e32 v5, vcc, s41, v5
	v_addc_co_u32_e32 v6, vcc, v7, v6, vcc
	global_store_dwordx4 v[5:6], v[1:4], off
	s_or_b64 exec, exec, s[0:1]
	s_and_saveexec_b64 s[0:1], s[6:7]
	s_cbranch_execz .LBB117_85
.LBB117_106:                            ;   in Loop: Header=BB117_4 Depth=1
	v_add_f64 v[3:4], v[11:12], v[35:36]
	v_add_f64 v[1:2], v[9:10], v[33:34]
	v_lshlrev_b64 v[5:6], 4, v[53:54]
	v_mov_b32_e32 v7, s42
	v_add_co_u32_e32 v5, vcc, s41, v5
	v_addc_co_u32_e32 v6, vcc, v7, v6, vcc
	global_store_dwordx4 v[5:6], v[1:4], off
	s_or_b64 exec, exec, s[0:1]
	s_and_saveexec_b64 s[0:1], s[8:9]
	s_cbranch_execz .LBB117_3
.LBB117_107:                            ;   in Loop: Header=BB117_4 Depth=1
	v_add_f64 v[3:4], v[15:16], v[31:32]
	v_add_f64 v[1:2], v[13:14], v[29:30]
	v_lshlrev_b64 v[5:6], 4, v[55:56]
	v_mov_b32_e32 v7, s42
	v_add_co_u32_e32 v5, vcc, s41, v5
	v_addc_co_u32_e32 v6, vcc, v7, v6, vcc
	global_store_dwordx4 v[5:6], v[1:4], off
	s_branch .LBB117_3
.LBB117_108:
	s_mov_b64 s[0:1], 0
.LBB117_109:
	s_andn2_b64 vcc, exec, s[0:1]
	s_cbranch_vccnz .LBB117_193
; %bb.110:
	v_mov_b32_e32 v1, 0x10000
	v_mov_b32_e32 v2, 0
	v_cmp_lt_i64_e32 vcc, s[20:21], v[1:2]
	v_mov_b32_e32 v2, 0
	s_and_b64 s[0:1], vcc, exec
	s_cselect_b32 s7, s21, 0
	s_cselect_b32 s6, s20, 0x10000
	v_lshlrev_b32_e32 v1, 2, v0
	v_cmp_gt_i64_e32 vcc, s[6:7], v[1:2]
	s_and_saveexec_b64 s[0:1], vcc
	s_cbranch_execz .LBB117_193
; %bb.111:
	s_waitcnt lgkmcnt(0)
	v_cmp_neq_f64_e64 s[0:1], s[16:17], 1.0
	v_cmp_neq_f64_e64 s[2:3], s[18:19], 0
	s_load_dword s4, s[4:5], 0xe34
	v_mov_b32_e32 v1, v2
	s_mov_b64 s[8:9], 0
	v_lshlrev_b32_e32 v58, 6, v0
	s_waitcnt lgkmcnt(0)
	s_and_b32 s20, s4, 0xffff
	s_lshl_b32 s21, s20, 6
	s_or_b64 s[10:11], s[0:1], s[2:3]
	s_branch .LBB117_114
.LBB117_112:                            ;   in Loop: Header=BB117_114 Depth=1
	s_or_b64 exec, exec, s[0:1]
.LBB117_113:                            ;   in Loop: Header=BB117_114 Depth=1
	v_add_f64 v[8:9], v[8:9], v[52:53]
	v_add_f64 v[6:7], v[6:7], v[50:51]
	v_add_f64 v[12:13], v[12:13], v[44:45]
	v_add_f64 v[10:11], v[10:11], v[42:43]
	v_add_f64 v[16:17], v[16:17], v[36:37]
	v_add_f64 v[14:15], v[14:15], v[34:35]
	v_mov_b32_e32 v19, s42
	v_add_co_u32_e32 v18, vcc, s41, v58
	s_add_u32 s41, s41, s21
	v_add_f64 v[4:5], v[4:5], v[32:33]
	v_add_f64 v[2:3], v[2:3], v[30:31]
	v_addc_co_u32_e32 v19, vcc, 0, v19, vcc
	s_addc_u32 s42, s42, 0
	v_add_co_u32_e32 v0, vcc, s20, v0
	s_add_u32 s33, s33, s21
	v_addc_co_u32_e32 v1, vcc, 0, v1, vcc
	s_addc_u32 s36, s36, 0
	global_store_dwordx4 v[18:19], v[6:9], off
	global_store_dwordx4 v[18:19], v[10:13], off offset:16
	global_store_dwordx4 v[18:19], v[14:17], off offset:32
	v_lshlrev_b64 v[6:7], 2, v[0:1]
	s_add_u32 s39, s39, s21
	s_addc_u32 s40, s40, 0
	s_add_u32 s37, s37, s21
	v_cmp_le_i64_e32 vcc, s[6:7], v[6:7]
	s_addc_u32 s38, s38, 0
	s_or_b64 s[8:9], vcc, s[8:9]
	global_store_dwordx4 v[18:19], v[2:5], off offset:48
	s_andn2_b64 exec, exec, s[8:9]
	s_cbranch_execz .LBB117_193
.LBB117_114:                            ; =>This Inner Loop Header: Depth=1
	v_mov_b32_e32 v2, s40
	v_add_co_u32_e32 v50, vcc, s39, v58
	v_addc_co_u32_e32 v51, vcc, 0, v2, vcc
	global_load_dwordx4 v[46:49], v[50:51], off
	v_mov_b32_e32 v2, s36
	v_add_co_u32_e32 v52, vcc, s33, v58
	v_addc_co_u32_e32 v53, vcc, 0, v2, vcc
	v_mov_b32_e32 v3, s38
	v_add_co_u32_e32 v54, vcc, s37, v58
	v_addc_co_u32_e32 v55, vcc, 0, v3, vcc
	global_load_dwordx4 v[2:5], v[52:53], off offset:48
	global_load_dwordx4 v[14:17], v[52:53], off offset:32
	;; [unrolled: 1-line block ×3, first 2 shown]
	global_load_dwordx4 v[6:9], v[52:53], off
	global_load_dwordx4 v[18:21], v[54:55], off offset:48
	global_load_dwordx4 v[26:29], v[54:55], off offset:32
	;; [unrolled: 1-line block ×3, first 2 shown]
	global_load_dwordx4 v[42:45], v[54:55], off
	global_load_dwordx4 v[38:41], v[50:51], off offset:16
	global_load_dwordx4 v[22:25], v[50:51], off offset:48
	;; [unrolled: 1-line block ×3, first 2 shown]
	s_mov_b64 s[2:3], -1
                                        ; implicit-def: $vgpr52_vgpr53
	s_waitcnt vmcnt(11)
	v_cmp_gt_f64_e32 vcc, 0, v[46:47]
	v_xor_b32_e32 v50, 0x80000000, v47
	v_xor_b32_e32 v51, 0x80000000, v49
	v_mov_b32_e32 v56, v46
	v_mov_b32_e32 v54, v48
	v_cndmask_b32_e32 v57, v47, v50, vcc
	v_cmp_gt_f64_e32 vcc, 0, v[48:49]
	v_cndmask_b32_e32 v55, v49, v51, vcc
	v_cmp_ge_f64_e64 s[0:1], v[56:57], v[54:55]
	s_and_b64 vcc, exec, s[10:11]
                                        ; implicit-def: $vgpr50_vgpr51
	s_cbranch_vccz .LBB117_124
; %bb.115:                              ;   in Loop: Header=BB117_114 Depth=1
                                        ; implicit-def: $vgpr50_vgpr51
                                        ; implicit-def: $vgpr52_vgpr53
	s_and_saveexec_b64 s[2:3], s[0:1]
	s_xor_b64 s[4:5], exec, s[2:3]
	s_cbranch_execz .LBB117_121
; %bb.116:                              ;   in Loop: Header=BB117_114 Depth=1
	v_cmp_neq_f64_e32 vcc, 0, v[46:47]
	v_cmp_neq_f64_e64 s[2:3], 0, v[48:49]
                                        ; implicit-def: $vgpr50_vgpr51
                                        ; implicit-def: $vgpr52_vgpr53
	s_or_b64 s[2:3], vcc, s[2:3]
	s_and_saveexec_b64 s[12:13], s[2:3]
	s_xor_b64 s[2:3], exec, s[12:13]
	s_cbranch_execz .LBB117_118
; %bb.117:                              ;   in Loop: Header=BB117_114 Depth=1
	v_div_scale_f64 v[50:51], s[12:13], v[46:47], v[46:47], v[48:49]
	v_rcp_f64_e32 v[52:53], v[50:51]
	v_fma_f64 v[59:60], -v[50:51], v[52:53], 1.0
	v_fma_f64 v[52:53], v[52:53], v[59:60], v[52:53]
	v_div_scale_f64 v[59:60], vcc, v[48:49], v[46:47], v[48:49]
	v_fma_f64 v[61:62], -v[50:51], v[52:53], 1.0
	v_fma_f64 v[52:53], v[52:53], v[61:62], v[52:53]
	v_mul_f64 v[61:62], v[59:60], v[52:53]
	v_fma_f64 v[50:51], -v[50:51], v[61:62], v[59:60]
	v_div_fmas_f64 v[50:51], v[50:51], v[52:53], v[61:62]
	v_div_fixup_f64 v[50:51], v[50:51], v[46:47], v[48:49]
	v_fma_f64 v[52:53], v[48:49], v[50:51], v[46:47]
	v_div_scale_f64 v[59:60], s[12:13], v[52:53], v[52:53], 1.0
	v_rcp_f64_e32 v[61:62], v[59:60]
	v_fma_f64 v[63:64], -v[59:60], v[61:62], 1.0
	v_fma_f64 v[61:62], v[61:62], v[63:64], v[61:62]
	v_div_scale_f64 v[63:64], vcc, 1.0, v[52:53], 1.0
	v_fma_f64 v[65:66], -v[59:60], v[61:62], 1.0
	v_fma_f64 v[61:62], v[61:62], v[65:66], v[61:62]
	v_mul_f64 v[65:66], v[63:64], v[61:62]
	v_fma_f64 v[59:60], -v[59:60], v[65:66], v[63:64]
	v_div_fmas_f64 v[59:60], v[59:60], v[61:62], v[65:66]
	s_waitcnt vmcnt(3)
	v_fma_f64 v[61:62], v[44:45], v[50:51], v[42:43]
	v_fma_f64 v[50:51], -v[42:43], v[50:51], v[44:45]
	v_div_fixup_f64 v[59:60], v[59:60], v[52:53], 1.0
	v_mul_f64 v[52:53], v[61:62], v[59:60]
	v_mul_f64 v[50:51], v[50:51], v[59:60]
.LBB117_118:                            ;   in Loop: Header=BB117_114 Depth=1
	s_andn2_saveexec_b64 s[12:13], s[2:3]
	s_cbranch_execz .LBB117_120
; %bb.119:                              ;   in Loop: Header=BB117_114 Depth=1
	s_waitcnt vmcnt(3)
	v_div_scale_f64 v[50:51], s[2:3], v[56:57], v[56:57], v[42:43]
	v_div_scale_f64 v[52:53], s[2:3], v[54:55], v[54:55], v[44:45]
	;; [unrolled: 1-line block ×3, first 2 shown]
	v_rcp_f64_e32 v[59:60], v[50:51]
	v_rcp_f64_e32 v[61:62], v[52:53]
	v_fma_f64 v[63:64], -v[50:51], v[59:60], 1.0
	v_fma_f64 v[65:66], -v[52:53], v[61:62], 1.0
	v_fma_f64 v[59:60], v[59:60], v[63:64], v[59:60]
	v_div_scale_f64 v[63:64], vcc, v[42:43], v[56:57], v[42:43]
	v_fma_f64 v[61:62], v[61:62], v[65:66], v[61:62]
	v_fma_f64 v[65:66], -v[50:51], v[59:60], 1.0
	v_fma_f64 v[69:70], -v[52:53], v[61:62], 1.0
	v_fma_f64 v[59:60], v[59:60], v[65:66], v[59:60]
	v_fma_f64 v[61:62], v[61:62], v[69:70], v[61:62]
	v_mul_f64 v[65:66], v[63:64], v[59:60]
	v_mul_f64 v[69:70], v[67:68], v[61:62]
	v_fma_f64 v[50:51], -v[50:51], v[65:66], v[63:64]
	v_fma_f64 v[52:53], -v[52:53], v[69:70], v[67:68]
	v_div_fmas_f64 v[50:51], v[50:51], v[59:60], v[65:66]
	s_mov_b64 vcc, s[2:3]
	v_div_fmas_f64 v[59:60], v[52:53], v[61:62], v[69:70]
	v_div_fixup_f64 v[52:53], v[50:51], v[56:57], v[42:43]
	v_div_fixup_f64 v[50:51], v[59:60], v[54:55], v[44:45]
.LBB117_120:                            ;   in Loop: Header=BB117_114 Depth=1
	s_or_b64 exec, exec, s[12:13]
.LBB117_121:                            ;   in Loop: Header=BB117_114 Depth=1
	s_andn2_saveexec_b64 s[2:3], s[4:5]
	s_cbranch_execz .LBB117_123
; %bb.122:                              ;   in Loop: Header=BB117_114 Depth=1
	v_div_scale_f64 v[50:51], s[4:5], v[48:49], v[48:49], v[46:47]
	v_rcp_f64_e32 v[52:53], v[50:51]
	v_fma_f64 v[59:60], -v[50:51], v[52:53], 1.0
	v_fma_f64 v[52:53], v[52:53], v[59:60], v[52:53]
	v_div_scale_f64 v[59:60], vcc, v[46:47], v[48:49], v[46:47]
	v_fma_f64 v[61:62], -v[50:51], v[52:53], 1.0
	v_fma_f64 v[52:53], v[52:53], v[61:62], v[52:53]
	v_mul_f64 v[61:62], v[59:60], v[52:53]
	v_fma_f64 v[50:51], -v[50:51], v[61:62], v[59:60]
	v_div_fmas_f64 v[50:51], v[50:51], v[52:53], v[61:62]
	v_div_fixup_f64 v[50:51], v[50:51], v[48:49], v[46:47]
	v_fma_f64 v[52:53], v[46:47], v[50:51], v[48:49]
	v_div_scale_f64 v[59:60], s[4:5], v[52:53], v[52:53], 1.0
	v_rcp_f64_e32 v[61:62], v[59:60]
	v_fma_f64 v[63:64], -v[59:60], v[61:62], 1.0
	v_fma_f64 v[61:62], v[61:62], v[63:64], v[61:62]
	v_div_scale_f64 v[63:64], vcc, 1.0, v[52:53], 1.0
	v_fma_f64 v[65:66], -v[59:60], v[61:62], 1.0
	v_fma_f64 v[61:62], v[61:62], v[65:66], v[61:62]
	v_mul_f64 v[65:66], v[63:64], v[61:62]
	v_fma_f64 v[59:60], -v[59:60], v[65:66], v[63:64]
	v_div_fmas_f64 v[59:60], v[59:60], v[61:62], v[65:66]
	s_waitcnt vmcnt(3)
	v_fma_f64 v[61:62], v[42:43], v[50:51], v[44:45]
	v_fma_f64 v[50:51], v[44:45], v[50:51], -v[42:43]
	v_div_fixup_f64 v[59:60], v[59:60], v[52:53], 1.0
	v_mul_f64 v[52:53], v[61:62], v[59:60]
	v_mul_f64 v[50:51], v[50:51], v[59:60]
.LBB117_123:                            ;   in Loop: Header=BB117_114 Depth=1
	s_or_b64 exec, exec, s[2:3]
	v_mul_f64 v[59:60], s[18:19], v[50:51]
	v_mul_f64 v[61:62], s[16:17], v[50:51]
	s_mov_b64 s[2:3], 0
	v_fma_f64 v[50:51], s[16:17], v[52:53], -v[59:60]
	v_fma_f64 v[52:53], s[18:19], v[52:53], v[61:62]
.LBB117_124:                            ;   in Loop: Header=BB117_114 Depth=1
	s_and_b64 vcc, exec, s[2:3]
	s_cbranch_vccz .LBB117_134
; %bb.125:                              ;   in Loop: Header=BB117_114 Depth=1
                                        ; implicit-def: $vgpr52_vgpr53
                                        ; implicit-def: $vgpr50_vgpr51
	s_and_saveexec_b64 s[2:3], s[0:1]
	s_xor_b64 s[2:3], exec, s[2:3]
	s_cbranch_execz .LBB117_131
; %bb.126:                              ;   in Loop: Header=BB117_114 Depth=1
	v_cmp_neq_f64_e32 vcc, 0, v[46:47]
	v_cmp_neq_f64_e64 s[0:1], 0, v[48:49]
                                        ; implicit-def: $vgpr52_vgpr53
                                        ; implicit-def: $vgpr50_vgpr51
	s_or_b64 s[0:1], vcc, s[0:1]
	s_and_saveexec_b64 s[4:5], s[0:1]
	s_xor_b64 s[0:1], exec, s[4:5]
	s_cbranch_execz .LBB117_128
; %bb.127:                              ;   in Loop: Header=BB117_114 Depth=1
	v_div_scale_f64 v[50:51], s[4:5], v[46:47], v[46:47], v[48:49]
	v_rcp_f64_e32 v[52:53], v[50:51]
	v_fma_f64 v[54:55], -v[50:51], v[52:53], 1.0
	v_fma_f64 v[52:53], v[52:53], v[54:55], v[52:53]
	v_div_scale_f64 v[54:55], vcc, v[48:49], v[46:47], v[48:49]
	v_fma_f64 v[56:57], -v[50:51], v[52:53], 1.0
	v_fma_f64 v[52:53], v[52:53], v[56:57], v[52:53]
	v_mul_f64 v[56:57], v[54:55], v[52:53]
	v_fma_f64 v[50:51], -v[50:51], v[56:57], v[54:55]
	v_div_fmas_f64 v[50:51], v[50:51], v[52:53], v[56:57]
	v_div_fixup_f64 v[50:51], v[50:51], v[46:47], v[48:49]
	v_fma_f64 v[46:47], v[48:49], v[50:51], v[46:47]
	v_div_scale_f64 v[48:49], s[4:5], v[46:47], v[46:47], 1.0
	v_rcp_f64_e32 v[52:53], v[48:49]
	v_fma_f64 v[54:55], -v[48:49], v[52:53], 1.0
	v_fma_f64 v[52:53], v[52:53], v[54:55], v[52:53]
	v_div_scale_f64 v[54:55], vcc, 1.0, v[46:47], 1.0
	v_fma_f64 v[56:57], -v[48:49], v[52:53], 1.0
	v_fma_f64 v[52:53], v[52:53], v[56:57], v[52:53]
	v_mul_f64 v[56:57], v[54:55], v[52:53]
	v_fma_f64 v[48:49], -v[48:49], v[56:57], v[54:55]
                                        ; implicit-def: $vgpr54_vgpr55
	v_div_fmas_f64 v[48:49], v[48:49], v[52:53], v[56:57]
	s_waitcnt vmcnt(3)
	v_fma_f64 v[52:53], v[44:45], v[50:51], v[42:43]
	v_fma_f64 v[42:43], -v[42:43], v[50:51], v[44:45]
                                        ; implicit-def: $vgpr56_vgpr57
	v_div_fixup_f64 v[46:47], v[48:49], v[46:47], 1.0
	v_mul_f64 v[50:51], v[52:53], v[46:47]
	v_mul_f64 v[52:53], v[42:43], v[46:47]
                                        ; implicit-def: $vgpr42_vgpr43
.LBB117_128:                            ;   in Loop: Header=BB117_114 Depth=1
	s_andn2_saveexec_b64 s[0:1], s[0:1]
	s_cbranch_execz .LBB117_130
; %bb.129:                              ;   in Loop: Header=BB117_114 Depth=1
	s_waitcnt vmcnt(3)
	v_div_scale_f64 v[46:47], s[4:5], v[56:57], v[56:57], v[42:43]
	v_rcp_f64_e32 v[48:49], v[46:47]
	v_fma_f64 v[50:51], -v[46:47], v[48:49], 1.0
	v_fma_f64 v[48:49], v[48:49], v[50:51], v[48:49]
	v_fma_f64 v[50:51], -v[46:47], v[48:49], 1.0
	v_fma_f64 v[48:49], v[48:49], v[50:51], v[48:49]
	v_div_scale_f64 v[50:51], vcc, v[42:43], v[56:57], v[42:43]
	v_mul_f64 v[52:53], v[50:51], v[48:49]
	v_fma_f64 v[46:47], -v[46:47], v[52:53], v[50:51]
	s_nop 1
	v_div_fmas_f64 v[46:47], v[46:47], v[48:49], v[52:53]
	v_div_fixup_f64 v[50:51], v[46:47], v[56:57], v[42:43]
	v_div_scale_f64 v[42:43], s[4:5], v[54:55], v[54:55], v[44:45]
	v_rcp_f64_e32 v[46:47], v[42:43]
	v_fma_f64 v[48:49], -v[42:43], v[46:47], 1.0
	v_fma_f64 v[46:47], v[46:47], v[48:49], v[46:47]
	v_fma_f64 v[48:49], -v[42:43], v[46:47], 1.0
	v_fma_f64 v[46:47], v[46:47], v[48:49], v[46:47]
	v_div_scale_f64 v[48:49], vcc, v[44:45], v[54:55], v[44:45]
	v_mul_f64 v[52:53], v[48:49], v[46:47]
	v_fma_f64 v[42:43], -v[42:43], v[52:53], v[48:49]
	s_nop 1
	v_div_fmas_f64 v[42:43], v[42:43], v[46:47], v[52:53]
	v_div_fixup_f64 v[52:53], v[42:43], v[54:55], v[44:45]
.LBB117_130:                            ;   in Loop: Header=BB117_114 Depth=1
	s_or_b64 exec, exec, s[0:1]
                                        ; implicit-def: $vgpr48_vgpr49
                                        ; implicit-def: $vgpr42_vgpr43
.LBB117_131:                            ;   in Loop: Header=BB117_114 Depth=1
	s_andn2_saveexec_b64 s[0:1], s[2:3]
	s_cbranch_execz .LBB117_133
; %bb.132:                              ;   in Loop: Header=BB117_114 Depth=1
	v_div_scale_f64 v[50:51], s[2:3], v[48:49], v[48:49], v[46:47]
	v_rcp_f64_e32 v[52:53], v[50:51]
	v_fma_f64 v[54:55], -v[50:51], v[52:53], 1.0
	v_fma_f64 v[52:53], v[52:53], v[54:55], v[52:53]
	v_div_scale_f64 v[54:55], vcc, v[46:47], v[48:49], v[46:47]
	v_fma_f64 v[56:57], -v[50:51], v[52:53], 1.0
	v_fma_f64 v[52:53], v[52:53], v[56:57], v[52:53]
	v_mul_f64 v[56:57], v[54:55], v[52:53]
	v_fma_f64 v[50:51], -v[50:51], v[56:57], v[54:55]
	v_div_fmas_f64 v[50:51], v[50:51], v[52:53], v[56:57]
	v_div_fixup_f64 v[50:51], v[50:51], v[48:49], v[46:47]
	v_fma_f64 v[46:47], v[46:47], v[50:51], v[48:49]
	v_div_scale_f64 v[48:49], s[2:3], v[46:47], v[46:47], 1.0
	v_rcp_f64_e32 v[52:53], v[48:49]
	v_fma_f64 v[54:55], -v[48:49], v[52:53], 1.0
	v_fma_f64 v[52:53], v[52:53], v[54:55], v[52:53]
	v_div_scale_f64 v[54:55], vcc, 1.0, v[46:47], 1.0
	v_fma_f64 v[56:57], -v[48:49], v[52:53], 1.0
	v_fma_f64 v[52:53], v[52:53], v[56:57], v[52:53]
	v_mul_f64 v[56:57], v[54:55], v[52:53]
	v_fma_f64 v[48:49], -v[48:49], v[56:57], v[54:55]
	v_div_fmas_f64 v[48:49], v[48:49], v[52:53], v[56:57]
	s_waitcnt vmcnt(3)
	v_fma_f64 v[52:53], v[42:43], v[50:51], v[44:45]
	v_fma_f64 v[42:43], v[44:45], v[50:51], -v[42:43]
	v_div_fixup_f64 v[46:47], v[48:49], v[46:47], 1.0
	v_mul_f64 v[50:51], v[52:53], v[46:47]
	v_mul_f64 v[52:53], v[42:43], v[46:47]
.LBB117_133:                            ;   in Loop: Header=BB117_114 Depth=1
	s_or_b64 exec, exec, s[0:1]
.LBB117_134:                            ;   in Loop: Header=BB117_114 Depth=1
	s_waitcnt vmcnt(2)
	v_cmp_gt_f64_e32 vcc, 0, v[38:39]
	v_xor_b32_e32 v42, 0x80000000, v39
	v_mov_b32_e32 v46, v38
	v_mov_b32_e32 v48, v40
	s_mov_b64 s[4:5], -1
                                        ; implicit-def: $vgpr44_vgpr45
	v_cndmask_b32_e32 v47, v39, v42, vcc
	v_cmp_gt_f64_e32 vcc, 0, v[40:41]
	v_xor_b32_e32 v42, 0x80000000, v41
	v_cndmask_b32_e32 v49, v41, v42, vcc
	v_cmp_ge_f64_e64 s[2:3], v[46:47], v[48:49]
	v_cndmask_b32_e64 v42, 0, 1, s[10:11]
	v_cmp_ne_u32_e64 s[0:1], 1, v42
	s_andn2_b64 vcc, exec, s[10:11]
                                        ; implicit-def: $vgpr42_vgpr43
	s_cbranch_vccnz .LBB117_144
; %bb.135:                              ;   in Loop: Header=BB117_114 Depth=1
                                        ; implicit-def: $vgpr42_vgpr43
                                        ; implicit-def: $vgpr44_vgpr45
	s_and_saveexec_b64 s[4:5], s[2:3]
	s_xor_b64 s[12:13], exec, s[4:5]
	s_cbranch_execz .LBB117_141
; %bb.136:                              ;   in Loop: Header=BB117_114 Depth=1
	v_cmp_neq_f64_e32 vcc, 0, v[38:39]
	v_cmp_neq_f64_e64 s[4:5], 0, v[40:41]
                                        ; implicit-def: $vgpr42_vgpr43
                                        ; implicit-def: $vgpr44_vgpr45
	s_or_b64 s[4:5], vcc, s[4:5]
	s_and_saveexec_b64 s[14:15], s[4:5]
	s_xor_b64 s[4:5], exec, s[14:15]
	s_cbranch_execz .LBB117_138
; %bb.137:                              ;   in Loop: Header=BB117_114 Depth=1
	v_div_scale_f64 v[42:43], s[14:15], v[38:39], v[38:39], v[40:41]
	v_rcp_f64_e32 v[44:45], v[42:43]
	v_fma_f64 v[54:55], -v[42:43], v[44:45], 1.0
	v_fma_f64 v[44:45], v[44:45], v[54:55], v[44:45]
	v_div_scale_f64 v[54:55], vcc, v[40:41], v[38:39], v[40:41]
	v_fma_f64 v[56:57], -v[42:43], v[44:45], 1.0
	v_fma_f64 v[44:45], v[44:45], v[56:57], v[44:45]
	v_mul_f64 v[56:57], v[54:55], v[44:45]
	v_fma_f64 v[42:43], -v[42:43], v[56:57], v[54:55]
	v_div_fmas_f64 v[42:43], v[42:43], v[44:45], v[56:57]
	v_div_fixup_f64 v[42:43], v[42:43], v[38:39], v[40:41]
	v_fma_f64 v[44:45], v[40:41], v[42:43], v[38:39]
	v_div_scale_f64 v[54:55], s[14:15], v[44:45], v[44:45], 1.0
	v_rcp_f64_e32 v[56:57], v[54:55]
	v_fma_f64 v[59:60], -v[54:55], v[56:57], 1.0
	v_fma_f64 v[56:57], v[56:57], v[59:60], v[56:57]
	v_div_scale_f64 v[59:60], vcc, 1.0, v[44:45], 1.0
	v_fma_f64 v[61:62], -v[54:55], v[56:57], 1.0
	v_fma_f64 v[56:57], v[56:57], v[61:62], v[56:57]
	v_mul_f64 v[61:62], v[59:60], v[56:57]
	v_fma_f64 v[54:55], -v[54:55], v[61:62], v[59:60]
	v_div_fmas_f64 v[54:55], v[54:55], v[56:57], v[61:62]
	v_fma_f64 v[56:57], v[36:37], v[42:43], v[34:35]
	v_fma_f64 v[42:43], -v[34:35], v[42:43], v[36:37]
	v_div_fixup_f64 v[54:55], v[54:55], v[44:45], 1.0
	v_mul_f64 v[44:45], v[56:57], v[54:55]
	v_mul_f64 v[42:43], v[42:43], v[54:55]
.LBB117_138:                            ;   in Loop: Header=BB117_114 Depth=1
	s_andn2_saveexec_b64 s[14:15], s[4:5]
	s_cbranch_execz .LBB117_140
; %bb.139:                              ;   in Loop: Header=BB117_114 Depth=1
	v_div_scale_f64 v[42:43], s[4:5], v[46:47], v[46:47], v[34:35]
	v_div_scale_f64 v[44:45], s[4:5], v[48:49], v[48:49], v[36:37]
	;; [unrolled: 1-line block ×3, first 2 shown]
	v_rcp_f64_e32 v[54:55], v[42:43]
	v_rcp_f64_e32 v[56:57], v[44:45]
	v_fma_f64 v[59:60], -v[42:43], v[54:55], 1.0
	v_fma_f64 v[61:62], -v[44:45], v[56:57], 1.0
	v_fma_f64 v[54:55], v[54:55], v[59:60], v[54:55]
	v_div_scale_f64 v[59:60], vcc, v[34:35], v[46:47], v[34:35]
	v_fma_f64 v[56:57], v[56:57], v[61:62], v[56:57]
	v_fma_f64 v[61:62], -v[42:43], v[54:55], 1.0
	v_fma_f64 v[65:66], -v[44:45], v[56:57], 1.0
	v_fma_f64 v[54:55], v[54:55], v[61:62], v[54:55]
	v_fma_f64 v[56:57], v[56:57], v[65:66], v[56:57]
	v_mul_f64 v[61:62], v[59:60], v[54:55]
	v_mul_f64 v[65:66], v[63:64], v[56:57]
	v_fma_f64 v[42:43], -v[42:43], v[61:62], v[59:60]
	v_fma_f64 v[44:45], -v[44:45], v[65:66], v[63:64]
	v_div_fmas_f64 v[42:43], v[42:43], v[54:55], v[61:62]
	s_mov_b64 vcc, s[4:5]
	v_div_fmas_f64 v[54:55], v[44:45], v[56:57], v[65:66]
	v_div_fixup_f64 v[44:45], v[42:43], v[46:47], v[34:35]
	v_div_fixup_f64 v[42:43], v[54:55], v[48:49], v[36:37]
.LBB117_140:                            ;   in Loop: Header=BB117_114 Depth=1
	s_or_b64 exec, exec, s[14:15]
.LBB117_141:                            ;   in Loop: Header=BB117_114 Depth=1
	s_andn2_saveexec_b64 s[4:5], s[12:13]
	s_cbranch_execz .LBB117_143
; %bb.142:                              ;   in Loop: Header=BB117_114 Depth=1
	v_div_scale_f64 v[42:43], s[12:13], v[40:41], v[40:41], v[38:39]
	v_rcp_f64_e32 v[44:45], v[42:43]
	v_fma_f64 v[54:55], -v[42:43], v[44:45], 1.0
	v_fma_f64 v[44:45], v[44:45], v[54:55], v[44:45]
	v_div_scale_f64 v[54:55], vcc, v[38:39], v[40:41], v[38:39]
	v_fma_f64 v[56:57], -v[42:43], v[44:45], 1.0
	v_fma_f64 v[44:45], v[44:45], v[56:57], v[44:45]
	v_mul_f64 v[56:57], v[54:55], v[44:45]
	v_fma_f64 v[42:43], -v[42:43], v[56:57], v[54:55]
	v_div_fmas_f64 v[42:43], v[42:43], v[44:45], v[56:57]
	v_div_fixup_f64 v[42:43], v[42:43], v[40:41], v[38:39]
	v_fma_f64 v[44:45], v[38:39], v[42:43], v[40:41]
	v_div_scale_f64 v[54:55], s[12:13], v[44:45], v[44:45], 1.0
	v_rcp_f64_e32 v[56:57], v[54:55]
	v_fma_f64 v[59:60], -v[54:55], v[56:57], 1.0
	v_fma_f64 v[56:57], v[56:57], v[59:60], v[56:57]
	v_div_scale_f64 v[59:60], vcc, 1.0, v[44:45], 1.0
	v_fma_f64 v[61:62], -v[54:55], v[56:57], 1.0
	v_fma_f64 v[56:57], v[56:57], v[61:62], v[56:57]
	v_mul_f64 v[61:62], v[59:60], v[56:57]
	v_fma_f64 v[54:55], -v[54:55], v[61:62], v[59:60]
	v_div_fmas_f64 v[54:55], v[54:55], v[56:57], v[61:62]
	v_fma_f64 v[56:57], v[34:35], v[42:43], v[36:37]
	v_fma_f64 v[42:43], v[36:37], v[42:43], -v[34:35]
	v_div_fixup_f64 v[54:55], v[54:55], v[44:45], 1.0
	v_mul_f64 v[44:45], v[56:57], v[54:55]
	v_mul_f64 v[42:43], v[42:43], v[54:55]
.LBB117_143:                            ;   in Loop: Header=BB117_114 Depth=1
	s_or_b64 exec, exec, s[4:5]
	v_mul_f64 v[54:55], s[18:19], v[42:43]
	v_mul_f64 v[56:57], s[16:17], v[42:43]
	s_mov_b64 s[4:5], 0
	v_fma_f64 v[42:43], s[16:17], v[44:45], -v[54:55]
	v_fma_f64 v[44:45], s[18:19], v[44:45], v[56:57]
.LBB117_144:                            ;   in Loop: Header=BB117_114 Depth=1
	s_and_b64 vcc, exec, s[4:5]
	s_cbranch_vccz .LBB117_154
; %bb.145:                              ;   in Loop: Header=BB117_114 Depth=1
                                        ; implicit-def: $vgpr44_vgpr45
                                        ; implicit-def: $vgpr42_vgpr43
	s_and_saveexec_b64 s[4:5], s[2:3]
	s_xor_b64 s[4:5], exec, s[4:5]
	s_cbranch_execz .LBB117_151
; %bb.146:                              ;   in Loop: Header=BB117_114 Depth=1
	v_cmp_neq_f64_e32 vcc, 0, v[38:39]
	v_cmp_neq_f64_e64 s[2:3], 0, v[40:41]
                                        ; implicit-def: $vgpr44_vgpr45
                                        ; implicit-def: $vgpr42_vgpr43
	s_or_b64 s[2:3], vcc, s[2:3]
	s_and_saveexec_b64 s[12:13], s[2:3]
	s_xor_b64 s[2:3], exec, s[12:13]
	s_cbranch_execz .LBB117_148
; %bb.147:                              ;   in Loop: Header=BB117_114 Depth=1
	v_div_scale_f64 v[42:43], s[12:13], v[38:39], v[38:39], v[40:41]
	v_rcp_f64_e32 v[44:45], v[42:43]
	v_fma_f64 v[46:47], -v[42:43], v[44:45], 1.0
	v_fma_f64 v[44:45], v[44:45], v[46:47], v[44:45]
	v_div_scale_f64 v[46:47], vcc, v[40:41], v[38:39], v[40:41]
	v_fma_f64 v[48:49], -v[42:43], v[44:45], 1.0
	v_fma_f64 v[44:45], v[44:45], v[48:49], v[44:45]
	v_mul_f64 v[48:49], v[46:47], v[44:45]
	v_fma_f64 v[42:43], -v[42:43], v[48:49], v[46:47]
	v_div_fmas_f64 v[42:43], v[42:43], v[44:45], v[48:49]
	v_div_fixup_f64 v[42:43], v[42:43], v[38:39], v[40:41]
	v_fma_f64 v[38:39], v[40:41], v[42:43], v[38:39]
	v_div_scale_f64 v[40:41], s[12:13], v[38:39], v[38:39], 1.0
	v_rcp_f64_e32 v[44:45], v[40:41]
	v_fma_f64 v[46:47], -v[40:41], v[44:45], 1.0
	v_fma_f64 v[44:45], v[44:45], v[46:47], v[44:45]
	v_div_scale_f64 v[46:47], vcc, 1.0, v[38:39], 1.0
	v_fma_f64 v[48:49], -v[40:41], v[44:45], 1.0
	v_fma_f64 v[44:45], v[44:45], v[48:49], v[44:45]
	v_mul_f64 v[48:49], v[46:47], v[44:45]
	v_fma_f64 v[40:41], -v[40:41], v[48:49], v[46:47]
                                        ; implicit-def: $vgpr46_vgpr47
	v_div_fmas_f64 v[40:41], v[40:41], v[44:45], v[48:49]
	v_fma_f64 v[44:45], v[36:37], v[42:43], v[34:35]
	v_fma_f64 v[34:35], -v[34:35], v[42:43], v[36:37]
                                        ; implicit-def: $vgpr48_vgpr49
	v_div_fixup_f64 v[38:39], v[40:41], v[38:39], 1.0
	v_mul_f64 v[42:43], v[44:45], v[38:39]
	v_mul_f64 v[44:45], v[34:35], v[38:39]
                                        ; implicit-def: $vgpr34_vgpr35
.LBB117_148:                            ;   in Loop: Header=BB117_114 Depth=1
	s_andn2_saveexec_b64 s[12:13], s[2:3]
	s_cbranch_execz .LBB117_150
; %bb.149:                              ;   in Loop: Header=BB117_114 Depth=1
	v_div_scale_f64 v[38:39], s[2:3], v[46:47], v[46:47], v[34:35]
	v_div_scale_f64 v[40:41], s[2:3], v[48:49], v[48:49], v[36:37]
	;; [unrolled: 1-line block ×3, first 2 shown]
	v_rcp_f64_e32 v[42:43], v[38:39]
	v_rcp_f64_e32 v[44:45], v[40:41]
	v_fma_f64 v[54:55], -v[38:39], v[42:43], 1.0
	v_fma_f64 v[56:57], -v[40:41], v[44:45], 1.0
	v_fma_f64 v[42:43], v[42:43], v[54:55], v[42:43]
	v_div_scale_f64 v[54:55], vcc, v[34:35], v[46:47], v[34:35]
	v_fma_f64 v[44:45], v[44:45], v[56:57], v[44:45]
	v_fma_f64 v[56:57], -v[38:39], v[42:43], 1.0
	v_fma_f64 v[61:62], -v[40:41], v[44:45], 1.0
	v_fma_f64 v[42:43], v[42:43], v[56:57], v[42:43]
	v_fma_f64 v[44:45], v[44:45], v[61:62], v[44:45]
	v_mul_f64 v[56:57], v[54:55], v[42:43]
	v_mul_f64 v[61:62], v[59:60], v[44:45]
	v_fma_f64 v[38:39], -v[38:39], v[56:57], v[54:55]
	v_fma_f64 v[40:41], -v[40:41], v[61:62], v[59:60]
	v_div_fmas_f64 v[38:39], v[38:39], v[42:43], v[56:57]
	s_mov_b64 vcc, s[2:3]
	v_div_fmas_f64 v[40:41], v[40:41], v[44:45], v[61:62]
	v_div_fixup_f64 v[42:43], v[38:39], v[46:47], v[34:35]
	v_div_fixup_f64 v[44:45], v[40:41], v[48:49], v[36:37]
.LBB117_150:                            ;   in Loop: Header=BB117_114 Depth=1
	s_or_b64 exec, exec, s[12:13]
                                        ; implicit-def: $vgpr40_vgpr41
                                        ; implicit-def: $vgpr34_vgpr35
.LBB117_151:                            ;   in Loop: Header=BB117_114 Depth=1
	s_andn2_saveexec_b64 s[2:3], s[4:5]
	s_cbranch_execz .LBB117_153
; %bb.152:                              ;   in Loop: Header=BB117_114 Depth=1
	v_div_scale_f64 v[42:43], s[4:5], v[40:41], v[40:41], v[38:39]
	v_rcp_f64_e32 v[44:45], v[42:43]
	v_fma_f64 v[46:47], -v[42:43], v[44:45], 1.0
	v_fma_f64 v[44:45], v[44:45], v[46:47], v[44:45]
	v_div_scale_f64 v[46:47], vcc, v[38:39], v[40:41], v[38:39]
	v_fma_f64 v[48:49], -v[42:43], v[44:45], 1.0
	v_fma_f64 v[44:45], v[44:45], v[48:49], v[44:45]
	v_mul_f64 v[48:49], v[46:47], v[44:45]
	v_fma_f64 v[42:43], -v[42:43], v[48:49], v[46:47]
	v_div_fmas_f64 v[42:43], v[42:43], v[44:45], v[48:49]
	v_div_fixup_f64 v[42:43], v[42:43], v[40:41], v[38:39]
	v_fma_f64 v[38:39], v[38:39], v[42:43], v[40:41]
	v_div_scale_f64 v[40:41], s[4:5], v[38:39], v[38:39], 1.0
	v_rcp_f64_e32 v[44:45], v[40:41]
	v_fma_f64 v[46:47], -v[40:41], v[44:45], 1.0
	v_fma_f64 v[44:45], v[44:45], v[46:47], v[44:45]
	v_div_scale_f64 v[46:47], vcc, 1.0, v[38:39], 1.0
	v_fma_f64 v[48:49], -v[40:41], v[44:45], 1.0
	v_fma_f64 v[44:45], v[44:45], v[48:49], v[44:45]
	v_mul_f64 v[48:49], v[46:47], v[44:45]
	v_fma_f64 v[40:41], -v[40:41], v[48:49], v[46:47]
	v_div_fmas_f64 v[40:41], v[40:41], v[44:45], v[48:49]
	v_fma_f64 v[44:45], v[34:35], v[42:43], v[36:37]
	v_fma_f64 v[34:35], v[36:37], v[42:43], -v[34:35]
	v_div_fixup_f64 v[38:39], v[40:41], v[38:39], 1.0
	v_mul_f64 v[42:43], v[44:45], v[38:39]
	v_mul_f64 v[44:45], v[34:35], v[38:39]
.LBB117_153:                            ;   in Loop: Header=BB117_114 Depth=1
	s_or_b64 exec, exec, s[2:3]
.LBB117_154:                            ;   in Loop: Header=BB117_114 Depth=1
	s_waitcnt vmcnt(0)
	v_cmp_gt_f64_e32 vcc, 0, v[30:31]
	v_xor_b32_e32 v34, 0x80000000, v31
	v_mov_b32_e32 v38, v30
	v_mov_b32_e32 v40, v32
	s_mov_b64 s[4:5], -1
                                        ; implicit-def: $vgpr36_vgpr37
	v_cndmask_b32_e32 v39, v31, v34, vcc
	v_cmp_gt_f64_e32 vcc, 0, v[32:33]
	v_xor_b32_e32 v34, 0x80000000, v33
	v_cndmask_b32_e32 v41, v33, v34, vcc
	v_cmp_ge_f64_e64 s[2:3], v[38:39], v[40:41]
	s_and_b64 vcc, exec, s[0:1]
                                        ; implicit-def: $vgpr34_vgpr35
	s_cbranch_vccnz .LBB117_164
; %bb.155:                              ;   in Loop: Header=BB117_114 Depth=1
                                        ; implicit-def: $vgpr34_vgpr35
                                        ; implicit-def: $vgpr36_vgpr37
	s_and_saveexec_b64 s[4:5], s[2:3]
	s_xor_b64 s[12:13], exec, s[4:5]
	s_cbranch_execz .LBB117_161
; %bb.156:                              ;   in Loop: Header=BB117_114 Depth=1
	v_cmp_neq_f64_e32 vcc, 0, v[30:31]
	v_cmp_neq_f64_e64 s[4:5], 0, v[32:33]
                                        ; implicit-def: $vgpr34_vgpr35
                                        ; implicit-def: $vgpr36_vgpr37
	s_or_b64 s[4:5], vcc, s[4:5]
	s_and_saveexec_b64 s[14:15], s[4:5]
	s_xor_b64 s[4:5], exec, s[14:15]
	s_cbranch_execz .LBB117_158
; %bb.157:                              ;   in Loop: Header=BB117_114 Depth=1
	v_div_scale_f64 v[34:35], s[14:15], v[30:31], v[30:31], v[32:33]
	v_rcp_f64_e32 v[36:37], v[34:35]
	v_fma_f64 v[46:47], -v[34:35], v[36:37], 1.0
	v_fma_f64 v[36:37], v[36:37], v[46:47], v[36:37]
	v_div_scale_f64 v[46:47], vcc, v[32:33], v[30:31], v[32:33]
	v_fma_f64 v[48:49], -v[34:35], v[36:37], 1.0
	v_fma_f64 v[36:37], v[36:37], v[48:49], v[36:37]
	v_mul_f64 v[48:49], v[46:47], v[36:37]
	v_fma_f64 v[34:35], -v[34:35], v[48:49], v[46:47]
	v_div_fmas_f64 v[34:35], v[34:35], v[36:37], v[48:49]
	v_div_fixup_f64 v[34:35], v[34:35], v[30:31], v[32:33]
	v_fma_f64 v[36:37], v[32:33], v[34:35], v[30:31]
	v_div_scale_f64 v[46:47], s[14:15], v[36:37], v[36:37], 1.0
	v_rcp_f64_e32 v[48:49], v[46:47]
	v_fma_f64 v[54:55], -v[46:47], v[48:49], 1.0
	v_fma_f64 v[48:49], v[48:49], v[54:55], v[48:49]
	v_div_scale_f64 v[54:55], vcc, 1.0, v[36:37], 1.0
	v_fma_f64 v[56:57], -v[46:47], v[48:49], 1.0
	v_fma_f64 v[48:49], v[48:49], v[56:57], v[48:49]
	v_mul_f64 v[56:57], v[54:55], v[48:49]
	v_fma_f64 v[46:47], -v[46:47], v[56:57], v[54:55]
	v_div_fmas_f64 v[46:47], v[46:47], v[48:49], v[56:57]
	v_fma_f64 v[48:49], v[28:29], v[34:35], v[26:27]
	v_fma_f64 v[34:35], -v[26:27], v[34:35], v[28:29]
	v_div_fixup_f64 v[46:47], v[46:47], v[36:37], 1.0
	v_mul_f64 v[36:37], v[48:49], v[46:47]
	v_mul_f64 v[34:35], v[34:35], v[46:47]
.LBB117_158:                            ;   in Loop: Header=BB117_114 Depth=1
	s_andn2_saveexec_b64 s[14:15], s[4:5]
	s_cbranch_execz .LBB117_160
; %bb.159:                              ;   in Loop: Header=BB117_114 Depth=1
	v_div_scale_f64 v[34:35], s[4:5], v[38:39], v[38:39], v[26:27]
	v_div_scale_f64 v[36:37], s[4:5], v[40:41], v[40:41], v[28:29]
	;; [unrolled: 1-line block ×3, first 2 shown]
	v_rcp_f64_e32 v[46:47], v[34:35]
	v_rcp_f64_e32 v[48:49], v[36:37]
	v_fma_f64 v[54:55], -v[34:35], v[46:47], 1.0
	v_fma_f64 v[56:57], -v[36:37], v[48:49], 1.0
	v_fma_f64 v[46:47], v[46:47], v[54:55], v[46:47]
	v_div_scale_f64 v[54:55], vcc, v[26:27], v[38:39], v[26:27]
	v_fma_f64 v[48:49], v[48:49], v[56:57], v[48:49]
	v_fma_f64 v[56:57], -v[34:35], v[46:47], 1.0
	v_fma_f64 v[61:62], -v[36:37], v[48:49], 1.0
	v_fma_f64 v[46:47], v[46:47], v[56:57], v[46:47]
	v_fma_f64 v[48:49], v[48:49], v[61:62], v[48:49]
	v_mul_f64 v[56:57], v[54:55], v[46:47]
	v_mul_f64 v[61:62], v[59:60], v[48:49]
	v_fma_f64 v[34:35], -v[34:35], v[56:57], v[54:55]
	v_fma_f64 v[36:37], -v[36:37], v[61:62], v[59:60]
	v_div_fmas_f64 v[34:35], v[34:35], v[46:47], v[56:57]
	s_mov_b64 vcc, s[4:5]
	v_div_fmas_f64 v[46:47], v[36:37], v[48:49], v[61:62]
	v_div_fixup_f64 v[36:37], v[34:35], v[38:39], v[26:27]
	v_div_fixup_f64 v[34:35], v[46:47], v[40:41], v[28:29]
.LBB117_160:                            ;   in Loop: Header=BB117_114 Depth=1
	s_or_b64 exec, exec, s[14:15]
.LBB117_161:                            ;   in Loop: Header=BB117_114 Depth=1
	s_andn2_saveexec_b64 s[4:5], s[12:13]
	s_cbranch_execz .LBB117_163
; %bb.162:                              ;   in Loop: Header=BB117_114 Depth=1
	v_div_scale_f64 v[34:35], s[12:13], v[32:33], v[32:33], v[30:31]
	v_rcp_f64_e32 v[36:37], v[34:35]
	v_fma_f64 v[46:47], -v[34:35], v[36:37], 1.0
	v_fma_f64 v[36:37], v[36:37], v[46:47], v[36:37]
	v_div_scale_f64 v[46:47], vcc, v[30:31], v[32:33], v[30:31]
	v_fma_f64 v[48:49], -v[34:35], v[36:37], 1.0
	v_fma_f64 v[36:37], v[36:37], v[48:49], v[36:37]
	v_mul_f64 v[48:49], v[46:47], v[36:37]
	v_fma_f64 v[34:35], -v[34:35], v[48:49], v[46:47]
	v_div_fmas_f64 v[34:35], v[34:35], v[36:37], v[48:49]
	v_div_fixup_f64 v[34:35], v[34:35], v[32:33], v[30:31]
	v_fma_f64 v[36:37], v[30:31], v[34:35], v[32:33]
	v_div_scale_f64 v[46:47], s[12:13], v[36:37], v[36:37], 1.0
	v_rcp_f64_e32 v[48:49], v[46:47]
	v_fma_f64 v[54:55], -v[46:47], v[48:49], 1.0
	v_fma_f64 v[48:49], v[48:49], v[54:55], v[48:49]
	v_div_scale_f64 v[54:55], vcc, 1.0, v[36:37], 1.0
	v_fma_f64 v[56:57], -v[46:47], v[48:49], 1.0
	v_fma_f64 v[48:49], v[48:49], v[56:57], v[48:49]
	v_mul_f64 v[56:57], v[54:55], v[48:49]
	v_fma_f64 v[46:47], -v[46:47], v[56:57], v[54:55]
	v_div_fmas_f64 v[46:47], v[46:47], v[48:49], v[56:57]
	v_fma_f64 v[48:49], v[26:27], v[34:35], v[28:29]
	v_fma_f64 v[34:35], v[28:29], v[34:35], -v[26:27]
	v_div_fixup_f64 v[46:47], v[46:47], v[36:37], 1.0
	v_mul_f64 v[36:37], v[48:49], v[46:47]
	v_mul_f64 v[34:35], v[34:35], v[46:47]
.LBB117_163:                            ;   in Loop: Header=BB117_114 Depth=1
	s_or_b64 exec, exec, s[4:5]
	v_mul_f64 v[46:47], s[18:19], v[34:35]
	v_mul_f64 v[48:49], s[16:17], v[34:35]
	s_mov_b64 s[4:5], 0
	v_fma_f64 v[34:35], s[16:17], v[36:37], -v[46:47]
	v_fma_f64 v[36:37], s[18:19], v[36:37], v[48:49]
.LBB117_164:                            ;   in Loop: Header=BB117_114 Depth=1
	s_and_b64 vcc, exec, s[4:5]
	s_cbranch_vccz .LBB117_174
; %bb.165:                              ;   in Loop: Header=BB117_114 Depth=1
                                        ; implicit-def: $vgpr36_vgpr37
                                        ; implicit-def: $vgpr34_vgpr35
	s_and_saveexec_b64 s[4:5], s[2:3]
	s_xor_b64 s[4:5], exec, s[4:5]
	s_cbranch_execz .LBB117_171
; %bb.166:                              ;   in Loop: Header=BB117_114 Depth=1
	v_cmp_neq_f64_e32 vcc, 0, v[30:31]
	v_cmp_neq_f64_e64 s[2:3], 0, v[32:33]
                                        ; implicit-def: $vgpr36_vgpr37
                                        ; implicit-def: $vgpr34_vgpr35
	s_or_b64 s[2:3], vcc, s[2:3]
	s_and_saveexec_b64 s[12:13], s[2:3]
	s_xor_b64 s[2:3], exec, s[12:13]
	s_cbranch_execz .LBB117_168
; %bb.167:                              ;   in Loop: Header=BB117_114 Depth=1
	v_div_scale_f64 v[34:35], s[12:13], v[30:31], v[30:31], v[32:33]
	v_rcp_f64_e32 v[36:37], v[34:35]
	v_fma_f64 v[38:39], -v[34:35], v[36:37], 1.0
	v_fma_f64 v[36:37], v[36:37], v[38:39], v[36:37]
	v_div_scale_f64 v[38:39], vcc, v[32:33], v[30:31], v[32:33]
	v_fma_f64 v[40:41], -v[34:35], v[36:37], 1.0
	v_fma_f64 v[36:37], v[36:37], v[40:41], v[36:37]
	v_mul_f64 v[40:41], v[38:39], v[36:37]
	v_fma_f64 v[34:35], -v[34:35], v[40:41], v[38:39]
	v_div_fmas_f64 v[34:35], v[34:35], v[36:37], v[40:41]
	v_div_fixup_f64 v[34:35], v[34:35], v[30:31], v[32:33]
	v_fma_f64 v[30:31], v[32:33], v[34:35], v[30:31]
	v_div_scale_f64 v[32:33], s[12:13], v[30:31], v[30:31], 1.0
	v_rcp_f64_e32 v[36:37], v[32:33]
	v_fma_f64 v[38:39], -v[32:33], v[36:37], 1.0
	v_fma_f64 v[36:37], v[36:37], v[38:39], v[36:37]
	v_div_scale_f64 v[38:39], vcc, 1.0, v[30:31], 1.0
	v_fma_f64 v[40:41], -v[32:33], v[36:37], 1.0
	v_fma_f64 v[36:37], v[36:37], v[40:41], v[36:37]
	v_mul_f64 v[40:41], v[38:39], v[36:37]
	v_fma_f64 v[32:33], -v[32:33], v[40:41], v[38:39]
                                        ; implicit-def: $vgpr38_vgpr39
	v_div_fmas_f64 v[32:33], v[32:33], v[36:37], v[40:41]
	v_fma_f64 v[36:37], v[28:29], v[34:35], v[26:27]
	v_fma_f64 v[26:27], -v[26:27], v[34:35], v[28:29]
                                        ; implicit-def: $vgpr40_vgpr41
	v_div_fixup_f64 v[30:31], v[32:33], v[30:31], 1.0
	v_mul_f64 v[34:35], v[36:37], v[30:31]
	v_mul_f64 v[36:37], v[26:27], v[30:31]
                                        ; implicit-def: $vgpr26_vgpr27
.LBB117_168:                            ;   in Loop: Header=BB117_114 Depth=1
	s_andn2_saveexec_b64 s[12:13], s[2:3]
	s_cbranch_execz .LBB117_170
; %bb.169:                              ;   in Loop: Header=BB117_114 Depth=1
	v_div_scale_f64 v[30:31], s[2:3], v[38:39], v[38:39], v[26:27]
	v_div_scale_f64 v[32:33], s[2:3], v[40:41], v[40:41], v[28:29]
	;; [unrolled: 1-line block ×3, first 2 shown]
	v_rcp_f64_e32 v[34:35], v[30:31]
	v_rcp_f64_e32 v[36:37], v[32:33]
	v_fma_f64 v[46:47], -v[30:31], v[34:35], 1.0
	v_fma_f64 v[48:49], -v[32:33], v[36:37], 1.0
	v_fma_f64 v[34:35], v[34:35], v[46:47], v[34:35]
	v_div_scale_f64 v[46:47], vcc, v[26:27], v[38:39], v[26:27]
	v_fma_f64 v[36:37], v[36:37], v[48:49], v[36:37]
	v_fma_f64 v[48:49], -v[30:31], v[34:35], 1.0
	v_fma_f64 v[56:57], -v[32:33], v[36:37], 1.0
	v_fma_f64 v[34:35], v[34:35], v[48:49], v[34:35]
	v_fma_f64 v[36:37], v[36:37], v[56:57], v[36:37]
	v_mul_f64 v[48:49], v[46:47], v[34:35]
	v_mul_f64 v[56:57], v[54:55], v[36:37]
	v_fma_f64 v[30:31], -v[30:31], v[48:49], v[46:47]
	v_fma_f64 v[32:33], -v[32:33], v[56:57], v[54:55]
	v_div_fmas_f64 v[30:31], v[30:31], v[34:35], v[48:49]
	s_mov_b64 vcc, s[2:3]
	v_div_fmas_f64 v[32:33], v[32:33], v[36:37], v[56:57]
	v_div_fixup_f64 v[34:35], v[30:31], v[38:39], v[26:27]
	v_div_fixup_f64 v[36:37], v[32:33], v[40:41], v[28:29]
.LBB117_170:                            ;   in Loop: Header=BB117_114 Depth=1
	s_or_b64 exec, exec, s[12:13]
                                        ; implicit-def: $vgpr32_vgpr33
                                        ; implicit-def: $vgpr26_vgpr27
.LBB117_171:                            ;   in Loop: Header=BB117_114 Depth=1
	s_andn2_saveexec_b64 s[2:3], s[4:5]
	s_cbranch_execz .LBB117_173
; %bb.172:                              ;   in Loop: Header=BB117_114 Depth=1
	v_div_scale_f64 v[34:35], s[4:5], v[32:33], v[32:33], v[30:31]
	v_rcp_f64_e32 v[36:37], v[34:35]
	v_fma_f64 v[38:39], -v[34:35], v[36:37], 1.0
	v_fma_f64 v[36:37], v[36:37], v[38:39], v[36:37]
	v_div_scale_f64 v[38:39], vcc, v[30:31], v[32:33], v[30:31]
	v_fma_f64 v[40:41], -v[34:35], v[36:37], 1.0
	v_fma_f64 v[36:37], v[36:37], v[40:41], v[36:37]
	v_mul_f64 v[40:41], v[38:39], v[36:37]
	v_fma_f64 v[34:35], -v[34:35], v[40:41], v[38:39]
	v_div_fmas_f64 v[34:35], v[34:35], v[36:37], v[40:41]
	v_div_fixup_f64 v[34:35], v[34:35], v[32:33], v[30:31]
	v_fma_f64 v[30:31], v[30:31], v[34:35], v[32:33]
	v_div_scale_f64 v[32:33], s[4:5], v[30:31], v[30:31], 1.0
	v_rcp_f64_e32 v[36:37], v[32:33]
	v_fma_f64 v[38:39], -v[32:33], v[36:37], 1.0
	v_fma_f64 v[36:37], v[36:37], v[38:39], v[36:37]
	v_div_scale_f64 v[38:39], vcc, 1.0, v[30:31], 1.0
	v_fma_f64 v[40:41], -v[32:33], v[36:37], 1.0
	v_fma_f64 v[36:37], v[36:37], v[40:41], v[36:37]
	v_mul_f64 v[40:41], v[38:39], v[36:37]
	v_fma_f64 v[32:33], -v[32:33], v[40:41], v[38:39]
	v_div_fmas_f64 v[32:33], v[32:33], v[36:37], v[40:41]
	v_fma_f64 v[36:37], v[26:27], v[34:35], v[28:29]
	v_fma_f64 v[26:27], v[28:29], v[34:35], -v[26:27]
	v_div_fixup_f64 v[30:31], v[32:33], v[30:31], 1.0
	v_mul_f64 v[34:35], v[36:37], v[30:31]
	v_mul_f64 v[36:37], v[26:27], v[30:31]
.LBB117_173:                            ;   in Loop: Header=BB117_114 Depth=1
	s_or_b64 exec, exec, s[2:3]
.LBB117_174:                            ;   in Loop: Header=BB117_114 Depth=1
	v_cmp_gt_f64_e32 vcc, 0, v[22:23]
	v_xor_b32_e32 v26, 0x80000000, v23
	v_xor_b32_e32 v28, 0x80000000, v25
                                        ; implicit-def: $vgpr32_vgpr33
                                        ; implicit-def: $vgpr30_vgpr31
	v_cndmask_b32_e32 v27, v23, v26, vcc
	v_cmp_gt_f64_e32 vcc, 0, v[24:25]
	v_mov_b32_e32 v26, v22
	v_cndmask_b32_e32 v29, v25, v28, vcc
	v_mov_b32_e32 v28, v24
	v_cmp_ge_f64_e64 s[2:3], v[26:27], v[28:29]
	s_and_b64 vcc, exec, s[0:1]
	s_mov_b64 s[0:1], -1
	s_cbranch_vccnz .LBB117_184
; %bb.175:                              ;   in Loop: Header=BB117_114 Depth=1
                                        ; implicit-def: $vgpr30_vgpr31
                                        ; implicit-def: $vgpr32_vgpr33
	s_and_saveexec_b64 s[0:1], s[2:3]
	s_xor_b64 s[4:5], exec, s[0:1]
	s_cbranch_execz .LBB117_181
; %bb.176:                              ;   in Loop: Header=BB117_114 Depth=1
	v_cmp_neq_f64_e32 vcc, 0, v[22:23]
	v_cmp_neq_f64_e64 s[0:1], 0, v[24:25]
                                        ; implicit-def: $vgpr30_vgpr31
                                        ; implicit-def: $vgpr32_vgpr33
	s_or_b64 s[0:1], vcc, s[0:1]
	s_and_saveexec_b64 s[12:13], s[0:1]
	s_xor_b64 s[0:1], exec, s[12:13]
	s_cbranch_execz .LBB117_178
; %bb.177:                              ;   in Loop: Header=BB117_114 Depth=1
	v_div_scale_f64 v[30:31], s[12:13], v[22:23], v[22:23], v[24:25]
	v_rcp_f64_e32 v[32:33], v[30:31]
	v_fma_f64 v[38:39], -v[30:31], v[32:33], 1.0
	v_fma_f64 v[32:33], v[32:33], v[38:39], v[32:33]
	v_div_scale_f64 v[38:39], vcc, v[24:25], v[22:23], v[24:25]
	v_fma_f64 v[40:41], -v[30:31], v[32:33], 1.0
	v_fma_f64 v[32:33], v[32:33], v[40:41], v[32:33]
	v_mul_f64 v[40:41], v[38:39], v[32:33]
	v_fma_f64 v[30:31], -v[30:31], v[40:41], v[38:39]
	v_div_fmas_f64 v[30:31], v[30:31], v[32:33], v[40:41]
	v_div_fixup_f64 v[30:31], v[30:31], v[22:23], v[24:25]
	v_fma_f64 v[32:33], v[24:25], v[30:31], v[22:23]
	v_div_scale_f64 v[38:39], s[12:13], v[32:33], v[32:33], 1.0
	v_rcp_f64_e32 v[40:41], v[38:39]
	v_fma_f64 v[46:47], -v[38:39], v[40:41], 1.0
	v_fma_f64 v[40:41], v[40:41], v[46:47], v[40:41]
	v_div_scale_f64 v[46:47], vcc, 1.0, v[32:33], 1.0
	v_fma_f64 v[48:49], -v[38:39], v[40:41], 1.0
	v_fma_f64 v[40:41], v[40:41], v[48:49], v[40:41]
	v_mul_f64 v[48:49], v[46:47], v[40:41]
	v_fma_f64 v[38:39], -v[38:39], v[48:49], v[46:47]
	v_div_fmas_f64 v[38:39], v[38:39], v[40:41], v[48:49]
	v_fma_f64 v[40:41], v[20:21], v[30:31], v[18:19]
	v_fma_f64 v[30:31], -v[18:19], v[30:31], v[20:21]
	v_div_fixup_f64 v[38:39], v[38:39], v[32:33], 1.0
	v_mul_f64 v[32:33], v[40:41], v[38:39]
	v_mul_f64 v[30:31], v[30:31], v[38:39]
.LBB117_178:                            ;   in Loop: Header=BB117_114 Depth=1
	s_andn2_saveexec_b64 s[12:13], s[0:1]
	s_cbranch_execz .LBB117_180
; %bb.179:                              ;   in Loop: Header=BB117_114 Depth=1
	v_div_scale_f64 v[30:31], s[0:1], v[26:27], v[26:27], v[18:19]
	v_div_scale_f64 v[32:33], s[0:1], v[28:29], v[28:29], v[20:21]
	;; [unrolled: 1-line block ×3, first 2 shown]
	v_rcp_f64_e32 v[38:39], v[30:31]
	v_rcp_f64_e32 v[40:41], v[32:33]
	v_fma_f64 v[46:47], -v[30:31], v[38:39], 1.0
	v_fma_f64 v[48:49], -v[32:33], v[40:41], 1.0
	v_fma_f64 v[38:39], v[38:39], v[46:47], v[38:39]
	v_div_scale_f64 v[46:47], vcc, v[18:19], v[26:27], v[18:19]
	v_fma_f64 v[40:41], v[40:41], v[48:49], v[40:41]
	v_fma_f64 v[48:49], -v[30:31], v[38:39], 1.0
	v_fma_f64 v[56:57], -v[32:33], v[40:41], 1.0
	v_fma_f64 v[38:39], v[38:39], v[48:49], v[38:39]
	v_fma_f64 v[40:41], v[40:41], v[56:57], v[40:41]
	v_mul_f64 v[48:49], v[46:47], v[38:39]
	v_mul_f64 v[56:57], v[54:55], v[40:41]
	v_fma_f64 v[30:31], -v[30:31], v[48:49], v[46:47]
	v_fma_f64 v[32:33], -v[32:33], v[56:57], v[54:55]
	v_div_fmas_f64 v[30:31], v[30:31], v[38:39], v[48:49]
	s_mov_b64 vcc, s[0:1]
	v_div_fmas_f64 v[38:39], v[32:33], v[40:41], v[56:57]
	v_div_fixup_f64 v[32:33], v[30:31], v[26:27], v[18:19]
	v_div_fixup_f64 v[30:31], v[38:39], v[28:29], v[20:21]
.LBB117_180:                            ;   in Loop: Header=BB117_114 Depth=1
	s_or_b64 exec, exec, s[12:13]
.LBB117_181:                            ;   in Loop: Header=BB117_114 Depth=1
	s_andn2_saveexec_b64 s[0:1], s[4:5]
	s_cbranch_execz .LBB117_183
; %bb.182:                              ;   in Loop: Header=BB117_114 Depth=1
	v_div_scale_f64 v[30:31], s[4:5], v[24:25], v[24:25], v[22:23]
	v_rcp_f64_e32 v[32:33], v[30:31]
	v_fma_f64 v[38:39], -v[30:31], v[32:33], 1.0
	v_fma_f64 v[32:33], v[32:33], v[38:39], v[32:33]
	v_div_scale_f64 v[38:39], vcc, v[22:23], v[24:25], v[22:23]
	v_fma_f64 v[40:41], -v[30:31], v[32:33], 1.0
	v_fma_f64 v[32:33], v[32:33], v[40:41], v[32:33]
	v_mul_f64 v[40:41], v[38:39], v[32:33]
	v_fma_f64 v[30:31], -v[30:31], v[40:41], v[38:39]
	v_div_fmas_f64 v[30:31], v[30:31], v[32:33], v[40:41]
	v_div_fixup_f64 v[30:31], v[30:31], v[24:25], v[22:23]
	v_fma_f64 v[32:33], v[22:23], v[30:31], v[24:25]
	v_div_scale_f64 v[38:39], s[4:5], v[32:33], v[32:33], 1.0
	v_rcp_f64_e32 v[40:41], v[38:39]
	v_fma_f64 v[46:47], -v[38:39], v[40:41], 1.0
	v_fma_f64 v[40:41], v[40:41], v[46:47], v[40:41]
	v_div_scale_f64 v[46:47], vcc, 1.0, v[32:33], 1.0
	v_fma_f64 v[48:49], -v[38:39], v[40:41], 1.0
	v_fma_f64 v[40:41], v[40:41], v[48:49], v[40:41]
	v_mul_f64 v[48:49], v[46:47], v[40:41]
	v_fma_f64 v[38:39], -v[38:39], v[48:49], v[46:47]
	v_div_fmas_f64 v[38:39], v[38:39], v[40:41], v[48:49]
	v_fma_f64 v[40:41], v[18:19], v[30:31], v[20:21]
	v_fma_f64 v[30:31], v[20:21], v[30:31], -v[18:19]
	v_div_fixup_f64 v[38:39], v[38:39], v[32:33], 1.0
	v_mul_f64 v[32:33], v[40:41], v[38:39]
	v_mul_f64 v[30:31], v[30:31], v[38:39]
.LBB117_183:                            ;   in Loop: Header=BB117_114 Depth=1
	s_or_b64 exec, exec, s[0:1]
	v_mul_f64 v[38:39], s[18:19], v[30:31]
	v_mul_f64 v[40:41], s[16:17], v[30:31]
	s_mov_b64 s[0:1], 0
	v_fma_f64 v[30:31], s[16:17], v[32:33], -v[38:39]
	v_fma_f64 v[32:33], s[18:19], v[32:33], v[40:41]
.LBB117_184:                            ;   in Loop: Header=BB117_114 Depth=1
	s_and_b64 vcc, exec, s[0:1]
	s_cbranch_vccz .LBB117_113
; %bb.185:                              ;   in Loop: Header=BB117_114 Depth=1
                                        ; implicit-def: $vgpr32_vgpr33
                                        ; implicit-def: $vgpr30_vgpr31
	s_and_saveexec_b64 s[0:1], s[2:3]
	s_xor_b64 s[2:3], exec, s[0:1]
	s_cbranch_execz .LBB117_191
; %bb.186:                              ;   in Loop: Header=BB117_114 Depth=1
	v_cmp_neq_f64_e32 vcc, 0, v[22:23]
	v_cmp_neq_f64_e64 s[0:1], 0, v[24:25]
                                        ; implicit-def: $vgpr32_vgpr33
                                        ; implicit-def: $vgpr30_vgpr31
	s_or_b64 s[0:1], vcc, s[0:1]
	s_and_saveexec_b64 s[4:5], s[0:1]
	s_xor_b64 s[0:1], exec, s[4:5]
	s_cbranch_execz .LBB117_188
; %bb.187:                              ;   in Loop: Header=BB117_114 Depth=1
	v_div_scale_f64 v[26:27], s[4:5], v[22:23], v[22:23], v[24:25]
	v_rcp_f64_e32 v[28:29], v[26:27]
	v_fma_f64 v[30:31], -v[26:27], v[28:29], 1.0
	v_fma_f64 v[28:29], v[28:29], v[30:31], v[28:29]
	v_div_scale_f64 v[30:31], vcc, v[24:25], v[22:23], v[24:25]
	v_fma_f64 v[32:33], -v[26:27], v[28:29], 1.0
	v_fma_f64 v[28:29], v[28:29], v[32:33], v[28:29]
	v_mul_f64 v[32:33], v[30:31], v[28:29]
	v_fma_f64 v[26:27], -v[26:27], v[32:33], v[30:31]
	v_div_fmas_f64 v[26:27], v[26:27], v[28:29], v[32:33]
	v_div_fixup_f64 v[26:27], v[26:27], v[22:23], v[24:25]
	v_fma_f64 v[22:23], v[24:25], v[26:27], v[22:23]
	v_div_scale_f64 v[24:25], s[4:5], v[22:23], v[22:23], 1.0
	v_rcp_f64_e32 v[28:29], v[24:25]
	v_fma_f64 v[30:31], -v[24:25], v[28:29], 1.0
	v_fma_f64 v[28:29], v[28:29], v[30:31], v[28:29]
	v_div_scale_f64 v[30:31], vcc, 1.0, v[22:23], 1.0
	v_fma_f64 v[32:33], -v[24:25], v[28:29], 1.0
	v_fma_f64 v[28:29], v[28:29], v[32:33], v[28:29]
	v_mul_f64 v[32:33], v[30:31], v[28:29]
	v_fma_f64 v[24:25], -v[24:25], v[32:33], v[30:31]
	v_div_fmas_f64 v[24:25], v[24:25], v[28:29], v[32:33]
	v_fma_f64 v[28:29], v[20:21], v[26:27], v[18:19]
	v_fma_f64 v[18:19], -v[18:19], v[26:27], v[20:21]
                                        ; implicit-def: $vgpr26_vgpr27
	v_div_fixup_f64 v[22:23], v[24:25], v[22:23], 1.0
	v_mul_f64 v[30:31], v[28:29], v[22:23]
	v_mul_f64 v[32:33], v[18:19], v[22:23]
                                        ; implicit-def: $vgpr18_vgpr19
                                        ; implicit-def: $vgpr28_vgpr29
.LBB117_188:                            ;   in Loop: Header=BB117_114 Depth=1
	s_andn2_saveexec_b64 s[4:5], s[0:1]
	s_cbranch_execz .LBB117_190
; %bb.189:                              ;   in Loop: Header=BB117_114 Depth=1
	v_div_scale_f64 v[22:23], s[0:1], v[26:27], v[26:27], v[18:19]
	v_div_scale_f64 v[24:25], s[0:1], v[28:29], v[28:29], v[20:21]
	;; [unrolled: 1-line block ×3, first 2 shown]
	v_rcp_f64_e32 v[30:31], v[22:23]
	v_rcp_f64_e32 v[32:33], v[24:25]
	v_fma_f64 v[38:39], -v[22:23], v[30:31], 1.0
	v_fma_f64 v[40:41], -v[24:25], v[32:33], 1.0
	v_fma_f64 v[30:31], v[30:31], v[38:39], v[30:31]
	v_div_scale_f64 v[38:39], vcc, v[18:19], v[26:27], v[18:19]
	v_fma_f64 v[32:33], v[32:33], v[40:41], v[32:33]
	v_fma_f64 v[40:41], -v[22:23], v[30:31], 1.0
	v_fma_f64 v[48:49], -v[24:25], v[32:33], 1.0
	v_fma_f64 v[30:31], v[30:31], v[40:41], v[30:31]
	v_fma_f64 v[32:33], v[32:33], v[48:49], v[32:33]
	v_mul_f64 v[40:41], v[38:39], v[30:31]
	v_mul_f64 v[48:49], v[46:47], v[32:33]
	v_fma_f64 v[22:23], -v[22:23], v[40:41], v[38:39]
	v_fma_f64 v[24:25], -v[24:25], v[48:49], v[46:47]
	v_div_fmas_f64 v[22:23], v[22:23], v[30:31], v[40:41]
	s_mov_b64 vcc, s[0:1]
	v_div_fmas_f64 v[24:25], v[24:25], v[32:33], v[48:49]
	v_div_fixup_f64 v[30:31], v[22:23], v[26:27], v[18:19]
	v_div_fixup_f64 v[32:33], v[24:25], v[28:29], v[20:21]
.LBB117_190:                            ;   in Loop: Header=BB117_114 Depth=1
	s_or_b64 exec, exec, s[4:5]
                                        ; implicit-def: $vgpr24_vgpr25
                                        ; implicit-def: $vgpr18_vgpr19
.LBB117_191:                            ;   in Loop: Header=BB117_114 Depth=1
	s_andn2_saveexec_b64 s[0:1], s[2:3]
	s_cbranch_execz .LBB117_112
; %bb.192:                              ;   in Loop: Header=BB117_114 Depth=1
	v_div_scale_f64 v[26:27], s[2:3], v[24:25], v[24:25], v[22:23]
	v_rcp_f64_e32 v[28:29], v[26:27]
	v_fma_f64 v[30:31], -v[26:27], v[28:29], 1.0
	v_fma_f64 v[28:29], v[28:29], v[30:31], v[28:29]
	v_div_scale_f64 v[30:31], vcc, v[22:23], v[24:25], v[22:23]
	v_fma_f64 v[32:33], -v[26:27], v[28:29], 1.0
	v_fma_f64 v[28:29], v[28:29], v[32:33], v[28:29]
	v_mul_f64 v[32:33], v[30:31], v[28:29]
	v_fma_f64 v[26:27], -v[26:27], v[32:33], v[30:31]
	v_div_fmas_f64 v[26:27], v[26:27], v[28:29], v[32:33]
	v_div_fixup_f64 v[26:27], v[26:27], v[24:25], v[22:23]
	v_fma_f64 v[22:23], v[22:23], v[26:27], v[24:25]
	v_div_scale_f64 v[24:25], s[2:3], v[22:23], v[22:23], 1.0
	v_rcp_f64_e32 v[28:29], v[24:25]
	v_fma_f64 v[30:31], -v[24:25], v[28:29], 1.0
	v_fma_f64 v[28:29], v[28:29], v[30:31], v[28:29]
	v_div_scale_f64 v[30:31], vcc, 1.0, v[22:23], 1.0
	v_fma_f64 v[32:33], -v[24:25], v[28:29], 1.0
	v_fma_f64 v[28:29], v[28:29], v[32:33], v[28:29]
	v_mul_f64 v[32:33], v[30:31], v[28:29]
	v_fma_f64 v[24:25], -v[24:25], v[32:33], v[30:31]
	v_div_fmas_f64 v[24:25], v[24:25], v[28:29], v[32:33]
	v_fma_f64 v[28:29], v[18:19], v[26:27], v[20:21]
	v_fma_f64 v[18:19], v[20:21], v[26:27], -v[18:19]
	v_div_fixup_f64 v[22:23], v[24:25], v[22:23], 1.0
	v_mul_f64 v[30:31], v[28:29], v[22:23]
	v_mul_f64 v[32:33], v[18:19], v[22:23]
	s_branch .LBB117_112
.LBB117_193:
	s_endpgm
	.section	.rodata,"a",@progbits
	.p2align	6, 0x0
	.amdhsa_kernel _ZN2at6native12_GLOBAL__N_125multi_tensor_apply_kernelINS1_28TensorListScalarListMetadataIN3c107complexIdEELi4EEENS1_28PointwiseOpScalarListFunctorIS6_Li4ELi3ELi3EEEJSt7dividesIS6_EEEEvT_T0_DpT1_
		.amdhsa_group_segment_fixed_size 0
		.amdhsa_private_segment_fixed_size 0
		.amdhsa_kernarg_size 3880
		.amdhsa_user_sgpr_count 6
		.amdhsa_user_sgpr_private_segment_buffer 1
		.amdhsa_user_sgpr_dispatch_ptr 0
		.amdhsa_user_sgpr_queue_ptr 0
		.amdhsa_user_sgpr_kernarg_segment_ptr 1
		.amdhsa_user_sgpr_dispatch_id 0
		.amdhsa_user_sgpr_flat_scratch_init 0
		.amdhsa_user_sgpr_private_segment_size 0
		.amdhsa_uses_dynamic_stack 0
		.amdhsa_system_sgpr_private_segment_wavefront_offset 0
		.amdhsa_system_sgpr_workgroup_id_x 1
		.amdhsa_system_sgpr_workgroup_id_y 0
		.amdhsa_system_sgpr_workgroup_id_z 0
		.amdhsa_system_sgpr_workgroup_info 0
		.amdhsa_system_vgpr_workitem_id 0
		.amdhsa_next_free_vgpr 77
		.amdhsa_next_free_sgpr 47
		.amdhsa_reserve_vcc 1
		.amdhsa_reserve_flat_scratch 0
		.amdhsa_float_round_mode_32 0
		.amdhsa_float_round_mode_16_64 0
		.amdhsa_float_denorm_mode_32 3
		.amdhsa_float_denorm_mode_16_64 3
		.amdhsa_dx10_clamp 1
		.amdhsa_ieee_mode 1
		.amdhsa_fp16_overflow 0
		.amdhsa_exception_fp_ieee_invalid_op 0
		.amdhsa_exception_fp_denorm_src 0
		.amdhsa_exception_fp_ieee_div_zero 0
		.amdhsa_exception_fp_ieee_overflow 0
		.amdhsa_exception_fp_ieee_underflow 0
		.amdhsa_exception_fp_ieee_inexact 0
		.amdhsa_exception_int_div_zero 0
	.end_amdhsa_kernel
	.section	.text._ZN2at6native12_GLOBAL__N_125multi_tensor_apply_kernelINS1_28TensorListScalarListMetadataIN3c107complexIdEELi4EEENS1_28PointwiseOpScalarListFunctorIS6_Li4ELi3ELi3EEEJSt7dividesIS6_EEEEvT_T0_DpT1_,"axG",@progbits,_ZN2at6native12_GLOBAL__N_125multi_tensor_apply_kernelINS1_28TensorListScalarListMetadataIN3c107complexIdEELi4EEENS1_28PointwiseOpScalarListFunctorIS6_Li4ELi3ELi3EEEJSt7dividesIS6_EEEEvT_T0_DpT1_,comdat
.Lfunc_end117:
	.size	_ZN2at6native12_GLOBAL__N_125multi_tensor_apply_kernelINS1_28TensorListScalarListMetadataIN3c107complexIdEELi4EEENS1_28PointwiseOpScalarListFunctorIS6_Li4ELi3ELi3EEEJSt7dividesIS6_EEEEvT_T0_DpT1_, .Lfunc_end117-_ZN2at6native12_GLOBAL__N_125multi_tensor_apply_kernelINS1_28TensorListScalarListMetadataIN3c107complexIdEELi4EEENS1_28PointwiseOpScalarListFunctorIS6_Li4ELi3ELi3EEEJSt7dividesIS6_EEEEvT_T0_DpT1_
                                        ; -- End function
	.set _ZN2at6native12_GLOBAL__N_125multi_tensor_apply_kernelINS1_28TensorListScalarListMetadataIN3c107complexIdEELi4EEENS1_28PointwiseOpScalarListFunctorIS6_Li4ELi3ELi3EEEJSt7dividesIS6_EEEEvT_T0_DpT1_.num_vgpr, 77
	.set _ZN2at6native12_GLOBAL__N_125multi_tensor_apply_kernelINS1_28TensorListScalarListMetadataIN3c107complexIdEELi4EEENS1_28PointwiseOpScalarListFunctorIS6_Li4ELi3ELi3EEEJSt7dividesIS6_EEEEvT_T0_DpT1_.num_agpr, 0
	.set _ZN2at6native12_GLOBAL__N_125multi_tensor_apply_kernelINS1_28TensorListScalarListMetadataIN3c107complexIdEELi4EEENS1_28PointwiseOpScalarListFunctorIS6_Li4ELi3ELi3EEEJSt7dividesIS6_EEEEvT_T0_DpT1_.numbered_sgpr, 47
	.set _ZN2at6native12_GLOBAL__N_125multi_tensor_apply_kernelINS1_28TensorListScalarListMetadataIN3c107complexIdEELi4EEENS1_28PointwiseOpScalarListFunctorIS6_Li4ELi3ELi3EEEJSt7dividesIS6_EEEEvT_T0_DpT1_.num_named_barrier, 0
	.set _ZN2at6native12_GLOBAL__N_125multi_tensor_apply_kernelINS1_28TensorListScalarListMetadataIN3c107complexIdEELi4EEENS1_28PointwiseOpScalarListFunctorIS6_Li4ELi3ELi3EEEJSt7dividesIS6_EEEEvT_T0_DpT1_.private_seg_size, 0
	.set _ZN2at6native12_GLOBAL__N_125multi_tensor_apply_kernelINS1_28TensorListScalarListMetadataIN3c107complexIdEELi4EEENS1_28PointwiseOpScalarListFunctorIS6_Li4ELi3ELi3EEEJSt7dividesIS6_EEEEvT_T0_DpT1_.uses_vcc, 1
	.set _ZN2at6native12_GLOBAL__N_125multi_tensor_apply_kernelINS1_28TensorListScalarListMetadataIN3c107complexIdEELi4EEENS1_28PointwiseOpScalarListFunctorIS6_Li4ELi3ELi3EEEJSt7dividesIS6_EEEEvT_T0_DpT1_.uses_flat_scratch, 0
	.set _ZN2at6native12_GLOBAL__N_125multi_tensor_apply_kernelINS1_28TensorListScalarListMetadataIN3c107complexIdEELi4EEENS1_28PointwiseOpScalarListFunctorIS6_Li4ELi3ELi3EEEJSt7dividesIS6_EEEEvT_T0_DpT1_.has_dyn_sized_stack, 0
	.set _ZN2at6native12_GLOBAL__N_125multi_tensor_apply_kernelINS1_28TensorListScalarListMetadataIN3c107complexIdEELi4EEENS1_28PointwiseOpScalarListFunctorIS6_Li4ELi3ELi3EEEJSt7dividesIS6_EEEEvT_T0_DpT1_.has_recursion, 0
	.set _ZN2at6native12_GLOBAL__N_125multi_tensor_apply_kernelINS1_28TensorListScalarListMetadataIN3c107complexIdEELi4EEENS1_28PointwiseOpScalarListFunctorIS6_Li4ELi3ELi3EEEJSt7dividesIS6_EEEEvT_T0_DpT1_.has_indirect_call, 0
	.section	.AMDGPU.csdata,"",@progbits
; Kernel info:
; codeLenInByte = 13128
; TotalNumSgprs: 51
; NumVgprs: 77
; ScratchSize: 0
; MemoryBound: 1
; FloatMode: 240
; IeeeMode: 1
; LDSByteSize: 0 bytes/workgroup (compile time only)
; SGPRBlocks: 6
; VGPRBlocks: 19
; NumSGPRsForWavesPerEU: 51
; NumVGPRsForWavesPerEU: 77
; Occupancy: 3
; WaveLimiterHint : 0
; COMPUTE_PGM_RSRC2:SCRATCH_EN: 0
; COMPUTE_PGM_RSRC2:USER_SGPR: 6
; COMPUTE_PGM_RSRC2:TRAP_HANDLER: 0
; COMPUTE_PGM_RSRC2:TGID_X_EN: 1
; COMPUTE_PGM_RSRC2:TGID_Y_EN: 0
; COMPUTE_PGM_RSRC2:TGID_Z_EN: 0
; COMPUTE_PGM_RSRC2:TIDIG_COMP_CNT: 0
	.section	.text._ZN2at6native12_GLOBAL__N_125multi_tensor_apply_kernelINS1_28TensorListScalarListMetadataIN3c107complexIfEELi4EEENS1_28PointwiseOpScalarListFunctorIS6_Li4ELi3ELi3EEEJSt7dividesIS6_EEEEvT_T0_DpT1_,"axG",@progbits,_ZN2at6native12_GLOBAL__N_125multi_tensor_apply_kernelINS1_28TensorListScalarListMetadataIN3c107complexIfEELi4EEENS1_28PointwiseOpScalarListFunctorIS6_Li4ELi3ELi3EEEJSt7dividesIS6_EEEEvT_T0_DpT1_,comdat
	.globl	_ZN2at6native12_GLOBAL__N_125multi_tensor_apply_kernelINS1_28TensorListScalarListMetadataIN3c107complexIfEELi4EEENS1_28PointwiseOpScalarListFunctorIS6_Li4ELi3ELi3EEEJSt7dividesIS6_EEEEvT_T0_DpT1_ ; -- Begin function _ZN2at6native12_GLOBAL__N_125multi_tensor_apply_kernelINS1_28TensorListScalarListMetadataIN3c107complexIfEELi4EEENS1_28PointwiseOpScalarListFunctorIS6_Li4ELi3ELi3EEEJSt7dividesIS6_EEEEvT_T0_DpT1_
	.p2align	8
	.type	_ZN2at6native12_GLOBAL__N_125multi_tensor_apply_kernelINS1_28TensorListScalarListMetadataIN3c107complexIfEELi4EEENS1_28PointwiseOpScalarListFunctorIS6_Li4ELi3ELi3EEEJSt7dividesIS6_EEEEvT_T0_DpT1_,@function
_ZN2at6native12_GLOBAL__N_125multi_tensor_apply_kernelINS1_28TensorListScalarListMetadataIN3c107complexIfEELi4EEENS1_28PointwiseOpScalarListFunctorIS6_Li4ELi3ELi3EEEJSt7dividesIS6_EEEEvT_T0_DpT1_: ; @_ZN2at6native12_GLOBAL__N_125multi_tensor_apply_kernelINS1_28TensorListScalarListMetadataIN3c107complexIfEELi4EEENS1_28PointwiseOpScalarListFunctorIS6_Li4ELi3ELi3EEEJSt7dividesIS6_EEEEvT_T0_DpT1_
; %bb.0:
	v_mov_b32_e32 v1, s6
	global_load_ubyte v1, v1, s[4:5] offset:1728
	s_add_u32 s0, s4, s6
	s_mul_hi_u32 s2, s6, 3
	s_mul_i32 s6, s6, 3
	s_addc_u32 s7, s5, 0
	s_add_u32 s6, s0, s6
	s_addc_u32 s7, s7, s2
	s_load_dword s6, s[6:7], 0x800
	s_mov_b32 s1, 0
	s_mov_b32 s3, s1
	s_waitcnt lgkmcnt(0)
	s_ashr_i32 s7, s6, 31
	s_lshl_b64 s[20:21], s[6:7], 19
	s_waitcnt vmcnt(0)
	v_readfirstlane_b32 s0, v1
	s_lshl_b32 s0, s0, 3
	s_load_dwordx2 s[8:9], s[4:5], s0 offset:0x480
	s_load_dwordx2 s[16:17], s[4:5], s0 offset:0x5a0
	;; [unrolled: 1-line block ×6, first 2 shown]
	s_waitcnt lgkmcnt(0)
	s_add_u32 s33, s10, s20
	s_addc_u32 s34, s11, s21
	s_add_u32 s35, s12, s20
	s_addc_u32 s36, s13, s21
	s_and_b32 s0, s35, 31
	s_add_u32 s37, s14, s20
	s_addc_u32 s38, s15, s21
	s_add_u32 s39, s18, s20
	s_addc_u32 s40, s19, s21
	s_or_b32 s2, s39, s37
	s_and_b32 s2, s2, 31
	s_cmp_eq_u32 s2, 0
	s_cselect_b64 s[10:11], -1, 0
	s_and_b32 s2, s33, 31
	s_cmp_eq_u64 s[0:1], 0
	s_cselect_b64 s[12:13], -1, 0
	s_lshl_b64 s[6:7], s[6:7], 16
	s_and_b64 s[10:11], s[10:11], s[12:13]
	s_sub_u32 s18, s8, s6
	s_subb_u32 s19, s9, s7
	s_and_b32 s0, s8, 3
	s_or_b64 s[0:1], s[2:3], s[0:1]
	s_cmp_eq_u64 s[0:1], 0
	s_cselect_b64 s[0:1], -1, 0
	s_and_b64 s[2:3], s[10:11], s[0:1]
	s_mov_b64 s[0:1], -1
	s_and_b64 vcc, exec, s[2:3]
	s_cbranch_vccnz .LBB118_109
; %bb.1:
	v_cmp_lt_i64_e64 s[0:1], s[18:19], 1
	s_and_b64 vcc, exec, s[0:1]
	s_cbranch_vccnz .LBB118_108
; %bb.2:
	v_mov_b32_e32 v1, 0x10000
	s_load_dword s2, s[4:5], 0xd14
	v_mov_b32_e32 v2, 0
	v_cmp_lt_i64_e32 vcc, s[18:19], v[1:2]
	s_mov_b64 s[26:27], 0
	s_and_b64 s[0:1], vcc, exec
	v_cmp_lt_u64_e32 vcc, s[18:19], v[1:2]
	s_cselect_b32 s21, s19, 0
	s_cselect_b32 s20, s18, 0x10000
	s_waitcnt lgkmcnt(0)
	s_and_b32 s41, s2, 0xffff
	s_and_b64 s[0:1], vcc, exec
	s_cselect_b32 s23, s19, 0
	s_cselect_b32 s22, s18, 0x10000
	s_lshl_b32 s42, s41, 1
	s_and_b32 s2, s17, 0x7fffffff
	s_cmp_lg_u32 s2, 0
	v_cmp_neq_f32_e64 s[0:1], s16, 1.0
	s_cselect_b64 s[2:3], -1, 0
	s_mul_i32 s43, s41, 3
	s_or_b64 s[24:25], s[0:1], s[2:3]
	s_lshl_b32 s44, s41, 2
	s_branch .LBB118_4
.LBB118_3:                              ;   in Loop: Header=BB118_4 Depth=1
	s_or_b64 exec, exec, s[0:1]
	s_add_u32 s26, s26, s44
	v_mov_b32_e32 v1, s20
	s_addc_u32 s27, s27, 0
	v_mov_b32_e32 v2, s21
	v_cmp_ge_i64_e32 vcc, s[26:27], v[1:2]
	s_cbranch_vccnz .LBB118_108
.LBB118_4:                              ; =>This Inner Loop Header: Depth=1
	v_mov_b32_e32 v2, s27
	v_add_co_u32_e32 v1, vcc, s26, v0
	v_addc_co_u32_e32 v2, vcc, 0, v2, vcc
	v_cmp_gt_u64_e64 s[0:1], s[22:23], v[1:2]
	v_mov_b32_e32 v30, 0
	v_mov_b32_e32 v29, 0
	;; [unrolled: 1-line block ×4, first 2 shown]
	s_and_saveexec_b64 s[2:3], s[0:1]
	s_cbranch_execz .LBB118_6
; %bb.5:                                ;   in Loop: Header=BB118_4 Depth=1
	v_lshlrev_b64 v[5:6], 3, v[1:2]
	v_mov_b32_e32 v4, s34
	v_add_co_u32_e32 v3, vcc, s33, v5
	v_addc_co_u32_e32 v4, vcc, v4, v6, vcc
	v_mov_b32_e32 v7, s36
	v_add_co_u32_e32 v5, vcc, s35, v5
	v_addc_co_u32_e32 v6, vcc, v7, v6, vcc
	global_load_dwordx2 v[3:4], v[3:4], off
	s_nop 0
	global_load_dwordx2 v[29:30], v[5:6], off
.LBB118_6:                              ;   in Loop: Header=BB118_4 Depth=1
	s_or_b64 exec, exec, s[2:3]
	v_mov_b32_e32 v26, 0
	v_mov_b32_e32 v32, 0
	;; [unrolled: 1-line block ×3, first 2 shown]
	s_and_saveexec_b64 s[2:3], s[0:1]
	s_cbranch_execz .LBB118_8
; %bb.7:                                ;   in Loop: Header=BB118_4 Depth=1
	v_lshlrev_b64 v[5:6], 3, v[1:2]
	v_mov_b32_e32 v7, s38
	v_add_co_u32_e32 v5, vcc, s37, v5
	v_addc_co_u32_e32 v6, vcc, v7, v6, vcc
	global_load_dwordx2 v[31:32], v[5:6], off
.LBB118_8:                              ;   in Loop: Header=BB118_4 Depth=1
	s_or_b64 exec, exec, s[2:3]
	v_add_co_u32_e32 v5, vcc, s41, v1
	v_addc_co_u32_e32 v6, vcc, 0, v2, vcc
	v_cmp_gt_u64_e64 s[2:3], s[22:23], v[5:6]
	v_mov_b32_e32 v25, 0
	v_mov_b32_e32 v8, 0
	;; [unrolled: 1-line block ×3, first 2 shown]
	s_and_saveexec_b64 s[6:7], s[2:3]
	s_cbranch_execz .LBB118_10
; %bb.9:                                ;   in Loop: Header=BB118_4 Depth=1
	v_lshlrev_b64 v[9:10], 3, v[5:6]
	v_mov_b32_e32 v8, s34
	v_add_co_u32_e32 v7, vcc, s33, v9
	v_addc_co_u32_e32 v8, vcc, v8, v10, vcc
	v_mov_b32_e32 v11, s36
	v_add_co_u32_e32 v9, vcc, s35, v9
	v_addc_co_u32_e32 v10, vcc, v11, v10, vcc
	global_load_dwordx2 v[7:8], v[7:8], off
	s_nop 0
	global_load_dwordx2 v[25:26], v[9:10], off
.LBB118_10:                             ;   in Loop: Header=BB118_4 Depth=1
	s_or_b64 exec, exec, s[6:7]
	v_mov_b32_e32 v22, 0
	v_mov_b32_e32 v28, 0
	;; [unrolled: 1-line block ×3, first 2 shown]
	s_and_saveexec_b64 s[6:7], s[2:3]
	s_cbranch_execz .LBB118_12
; %bb.11:                               ;   in Loop: Header=BB118_4 Depth=1
	v_lshlrev_b64 v[9:10], 3, v[5:6]
	v_mov_b32_e32 v11, s38
	v_add_co_u32_e32 v9, vcc, s37, v9
	v_addc_co_u32_e32 v10, vcc, v11, v10, vcc
	global_load_dwordx2 v[27:28], v[9:10], off
.LBB118_12:                             ;   in Loop: Header=BB118_4 Depth=1
	s_or_b64 exec, exec, s[6:7]
	v_add_co_u32_e32 v9, vcc, s42, v1
	v_addc_co_u32_e32 v10, vcc, 0, v2, vcc
	v_cmp_gt_u64_e64 s[6:7], s[22:23], v[9:10]
	v_mov_b32_e32 v21, 0
	v_mov_b32_e32 v12, 0
	;; [unrolled: 1-line block ×3, first 2 shown]
	s_and_saveexec_b64 s[8:9], s[6:7]
	s_cbranch_execz .LBB118_14
; %bb.13:                               ;   in Loop: Header=BB118_4 Depth=1
	v_lshlrev_b64 v[13:14], 3, v[9:10]
	v_mov_b32_e32 v12, s34
	v_add_co_u32_e32 v11, vcc, s33, v13
	v_addc_co_u32_e32 v12, vcc, v12, v14, vcc
	v_mov_b32_e32 v15, s36
	v_add_co_u32_e32 v13, vcc, s35, v13
	v_addc_co_u32_e32 v14, vcc, v15, v14, vcc
	global_load_dwordx2 v[11:12], v[11:12], off
	s_nop 0
	global_load_dwordx2 v[21:22], v[13:14], off
.LBB118_14:                             ;   in Loop: Header=BB118_4 Depth=1
	s_or_b64 exec, exec, s[8:9]
	v_mov_b32_e32 v18, 0
	v_mov_b32_e32 v24, 0
	;; [unrolled: 1-line block ×3, first 2 shown]
	s_and_saveexec_b64 s[8:9], s[6:7]
	s_cbranch_execz .LBB118_16
; %bb.15:                               ;   in Loop: Header=BB118_4 Depth=1
	v_lshlrev_b64 v[13:14], 3, v[9:10]
	v_mov_b32_e32 v15, s38
	v_add_co_u32_e32 v13, vcc, s37, v13
	v_addc_co_u32_e32 v14, vcc, v15, v14, vcc
	global_load_dwordx2 v[23:24], v[13:14], off
.LBB118_16:                             ;   in Loop: Header=BB118_4 Depth=1
	s_or_b64 exec, exec, s[8:9]
	v_add_co_u32_e32 v13, vcc, s43, v1
	v_addc_co_u32_e32 v14, vcc, 0, v2, vcc
	v_cmp_gt_u64_e64 s[8:9], s[22:23], v[13:14]
	v_mov_b32_e32 v17, 0
	v_mov_b32_e32 v16, 0
	;; [unrolled: 1-line block ×3, first 2 shown]
	s_and_saveexec_b64 s[10:11], s[8:9]
	s_cbranch_execz .LBB118_18
; %bb.17:                               ;   in Loop: Header=BB118_4 Depth=1
	v_lshlrev_b64 v[17:18], 3, v[13:14]
	v_mov_b32_e32 v16, s34
	v_add_co_u32_e32 v15, vcc, s33, v17
	v_addc_co_u32_e32 v16, vcc, v16, v18, vcc
	v_mov_b32_e32 v19, s36
	v_add_co_u32_e32 v17, vcc, s35, v17
	v_addc_co_u32_e32 v18, vcc, v19, v18, vcc
	global_load_dwordx2 v[15:16], v[15:16], off
	s_nop 0
	global_load_dwordx2 v[17:18], v[17:18], off
.LBB118_18:                             ;   in Loop: Header=BB118_4 Depth=1
	s_or_b64 exec, exec, s[10:11]
	v_mov_b32_e32 v20, 0
	v_mov_b32_e32 v19, 0
	s_and_saveexec_b64 s[10:11], s[8:9]
	s_cbranch_execz .LBB118_20
; %bb.19:                               ;   in Loop: Header=BB118_4 Depth=1
	v_lshlrev_b64 v[19:20], 3, v[13:14]
	v_mov_b32_e32 v33, s38
	v_add_co_u32_e32 v19, vcc, s37, v19
	v_addc_co_u32_e32 v20, vcc, v33, v20, vcc
	global_load_dwordx2 v[19:20], v[19:20], off
.LBB118_20:                             ;   in Loop: Header=BB118_4 Depth=1
	s_or_b64 exec, exec, s[10:11]
	s_waitcnt vmcnt(0)
	v_cmp_gt_f32_e32 vcc, 0, v31
	v_cndmask_b32_e64 v35, v31, -v31, vcc
	v_cmp_gt_f32_e32 vcc, 0, v32
	v_cndmask_b32_e64 v36, v32, -v32, vcc
	v_cmp_ge_f32_e64 s[10:11], v35, v36
	s_mov_b64 s[12:13], -1
	s_and_b64 vcc, exec, s[24:25]
                                        ; implicit-def: $vgpr33
                                        ; implicit-def: $vgpr34
	s_cbranch_vccz .LBB118_30
; %bb.21:                               ;   in Loop: Header=BB118_4 Depth=1
                                        ; implicit-def: $vgpr33
                                        ; implicit-def: $vgpr37
	s_and_saveexec_b64 s[12:13], s[10:11]
	s_xor_b64 s[14:15], exec, s[12:13]
	s_cbranch_execz .LBB118_27
; %bb.22:                               ;   in Loop: Header=BB118_4 Depth=1
	v_cmp_neq_f32_e32 vcc, 0, v31
	v_cmp_neq_f32_e64 s[12:13], 0, v32
	s_or_b64 s[12:13], s[12:13], vcc
                                        ; implicit-def: $vgpr33
                                        ; implicit-def: $vgpr37
	s_and_saveexec_b64 s[28:29], s[12:13]
	s_xor_b64 s[12:13], exec, s[28:29]
	s_cbranch_execz .LBB118_24
; %bb.23:                               ;   in Loop: Header=BB118_4 Depth=1
	v_div_scale_f32 v33, s[28:29], v31, v31, v32
	v_div_scale_f32 v34, vcc, v32, v31, v32
	v_rcp_f32_e32 v37, v33
	v_fma_f32 v38, -v33, v37, 1.0
	v_fmac_f32_e32 v37, v38, v37
	v_mul_f32_e32 v38, v34, v37
	v_fma_f32 v39, -v33, v38, v34
	v_fmac_f32_e32 v38, v39, v37
	v_fma_f32 v33, -v33, v38, v34
	v_div_fmas_f32 v33, v33, v37, v38
	v_div_fixup_f32 v33, v33, v31, v32
	v_fma_f32 v34, v32, v33, v31
	v_div_scale_f32 v37, s[28:29], v34, v34, 1.0
	v_div_scale_f32 v38, vcc, 1.0, v34, 1.0
	v_rcp_f32_e32 v39, v37
	v_fma_f32 v40, -v37, v39, 1.0
	v_fmac_f32_e32 v39, v40, v39
	v_mul_f32_e32 v40, v38, v39
	v_fma_f32 v41, -v37, v40, v38
	v_fmac_f32_e32 v40, v41, v39
	v_fma_f32 v37, -v37, v40, v38
	v_div_fmas_f32 v37, v37, v39, v40
	v_fma_f32 v38, v30, v33, v29
	v_fma_f32 v33, -v29, v33, v30
	v_div_fixup_f32 v34, v37, v34, 1.0
	v_mul_f32_e32 v37, v38, v34
	v_mul_f32_e32 v33, v33, v34
.LBB118_24:                             ;   in Loop: Header=BB118_4 Depth=1
	s_andn2_saveexec_b64 s[28:29], s[12:13]
	s_cbranch_execz .LBB118_26
; %bb.25:                               ;   in Loop: Header=BB118_4 Depth=1
	v_div_scale_f32 v33, s[12:13], v35, v35, v29
	v_div_scale_f32 v34, s[12:13], v36, v36, v30
	v_div_scale_f32 v37, vcc, v29, v35, v29
	v_div_scale_f32 v38, s[12:13], v30, v36, v30
	v_rcp_f32_e32 v39, v33
	v_rcp_f32_e32 v40, v34
	v_fma_f32 v41, -v33, v39, 1.0
	v_fmac_f32_e32 v39, v41, v39
	v_fma_f32 v42, -v34, v40, 1.0
	v_fmac_f32_e32 v40, v42, v40
	v_mul_f32_e32 v41, v37, v39
	v_mul_f32_e32 v42, v38, v40
	v_fma_f32 v43, -v33, v41, v37
	v_fma_f32 v44, -v34, v42, v38
	v_fmac_f32_e32 v41, v43, v39
	v_fmac_f32_e32 v42, v44, v40
	v_fma_f32 v33, -v33, v41, v37
	v_fma_f32 v34, -v34, v42, v38
	v_div_fmas_f32 v33, v33, v39, v41
	s_mov_b64 vcc, s[12:13]
	v_div_fmas_f32 v34, v34, v40, v42
	v_div_fixup_f32 v37, v33, v35, v29
	v_div_fixup_f32 v33, v34, v36, v30
.LBB118_26:                             ;   in Loop: Header=BB118_4 Depth=1
	s_or_b64 exec, exec, s[28:29]
.LBB118_27:                             ;   in Loop: Header=BB118_4 Depth=1
	s_andn2_saveexec_b64 s[12:13], s[14:15]
	s_cbranch_execz .LBB118_29
; %bb.28:                               ;   in Loop: Header=BB118_4 Depth=1
	v_div_scale_f32 v33, s[14:15], v32, v32, v31
	v_div_scale_f32 v34, vcc, v31, v32, v31
	v_rcp_f32_e32 v37, v33
	v_fma_f32 v38, -v33, v37, 1.0
	v_fmac_f32_e32 v37, v38, v37
	v_mul_f32_e32 v38, v34, v37
	v_fma_f32 v39, -v33, v38, v34
	v_fmac_f32_e32 v38, v39, v37
	v_fma_f32 v33, -v33, v38, v34
	v_div_fmas_f32 v33, v33, v37, v38
	v_div_fixup_f32 v33, v33, v32, v31
	v_fma_f32 v34, v31, v33, v32
	v_div_scale_f32 v37, s[14:15], v34, v34, 1.0
	v_div_scale_f32 v38, vcc, 1.0, v34, 1.0
	v_rcp_f32_e32 v39, v37
	v_fma_f32 v40, -v37, v39, 1.0
	v_fmac_f32_e32 v39, v40, v39
	v_mul_f32_e32 v40, v38, v39
	v_fma_f32 v41, -v37, v40, v38
	v_fmac_f32_e32 v40, v41, v39
	v_fma_f32 v37, -v37, v40, v38
	v_div_fmas_f32 v37, v37, v39, v40
	v_fma_f32 v38, v29, v33, v30
	v_fma_f32 v33, v30, v33, -v29
	v_div_fixup_f32 v34, v37, v34, 1.0
	v_mul_f32_e32 v37, v38, v34
	v_mul_f32_e32 v33, v33, v34
.LBB118_29:                             ;   in Loop: Header=BB118_4 Depth=1
	s_or_b64 exec, exec, s[12:13]
	v_mul_f32_e32 v34, s17, v33
	v_mul_f32_e32 v33, s16, v33
	v_fma_f32 v34, v37, s16, -v34
	v_fmac_f32_e32 v33, s17, v37
	s_mov_b64 s[12:13], 0
.LBB118_30:                             ;   in Loop: Header=BB118_4 Depth=1
	s_and_b64 vcc, exec, s[12:13]
	s_cbranch_vccz .LBB118_40
; %bb.31:                               ;   in Loop: Header=BB118_4 Depth=1
                                        ; implicit-def: $vgpr33
                                        ; implicit-def: $vgpr34
	s_and_saveexec_b64 s[12:13], s[10:11]
	s_xor_b64 s[12:13], exec, s[12:13]
	s_cbranch_execz .LBB118_37
; %bb.32:                               ;   in Loop: Header=BB118_4 Depth=1
	v_cmp_neq_f32_e32 vcc, 0, v31
	v_cmp_neq_f32_e64 s[10:11], 0, v32
	s_or_b64 s[10:11], s[10:11], vcc
                                        ; implicit-def: $vgpr33
                                        ; implicit-def: $vgpr34
	s_and_saveexec_b64 s[14:15], s[10:11]
	s_xor_b64 s[10:11], exec, s[14:15]
	s_cbranch_execz .LBB118_34
; %bb.33:                               ;   in Loop: Header=BB118_4 Depth=1
	v_div_scale_f32 v33, s[14:15], v31, v31, v32
	v_div_scale_f32 v34, vcc, v32, v31, v32
	v_rcp_f32_e32 v35, v33
	v_fma_f32 v36, -v33, v35, 1.0
	v_fmac_f32_e32 v35, v36, v35
	v_mul_f32_e32 v36, v34, v35
	v_fma_f32 v37, -v33, v36, v34
	v_fmac_f32_e32 v36, v37, v35
	v_fma_f32 v33, -v33, v36, v34
	v_div_fmas_f32 v33, v33, v35, v36
	v_div_fixup_f32 v33, v33, v31, v32
	v_fmac_f32_e32 v31, v32, v33
	v_div_scale_f32 v32, s[14:15], v31, v31, 1.0
	v_div_scale_f32 v34, vcc, 1.0, v31, 1.0
	v_rcp_f32_e32 v35, v32
	v_fma_f32 v36, -v32, v35, 1.0
	v_fmac_f32_e32 v35, v36, v35
	v_mul_f32_e32 v36, v34, v35
	v_fma_f32 v37, -v32, v36, v34
	v_fmac_f32_e32 v36, v37, v35
	v_fma_f32 v32, -v32, v36, v34
	v_div_fmas_f32 v32, v32, v35, v36
	v_fma_f32 v34, v30, v33, v29
	v_fma_f32 v29, -v29, v33, v30
                                        ; implicit-def: $vgpr35
                                        ; implicit-def: $vgpr36
	v_div_fixup_f32 v30, v32, v31, 1.0
	v_mul_f32_e32 v34, v34, v30
	v_mul_f32_e32 v33, v29, v30
                                        ; implicit-def: $vgpr29
.LBB118_34:                             ;   in Loop: Header=BB118_4 Depth=1
	s_andn2_saveexec_b64 s[14:15], s[10:11]
	s_cbranch_execz .LBB118_36
; %bb.35:                               ;   in Loop: Header=BB118_4 Depth=1
	v_div_scale_f32 v31, s[10:11], v35, v35, v29
	v_div_scale_f32 v32, s[10:11], v36, v36, v30
	v_div_scale_f32 v33, vcc, v29, v35, v29
	v_div_scale_f32 v34, s[10:11], v30, v36, v30
	v_rcp_f32_e32 v37, v31
	v_rcp_f32_e32 v38, v32
	v_fma_f32 v39, -v31, v37, 1.0
	v_fmac_f32_e32 v37, v39, v37
	v_fma_f32 v40, -v32, v38, 1.0
	v_fmac_f32_e32 v38, v40, v38
	v_mul_f32_e32 v39, v33, v37
	v_mul_f32_e32 v40, v34, v38
	v_fma_f32 v41, -v31, v39, v33
	v_fma_f32 v42, -v32, v40, v34
	v_fmac_f32_e32 v39, v41, v37
	v_fmac_f32_e32 v40, v42, v38
	v_fma_f32 v31, -v31, v39, v33
	v_fma_f32 v32, -v32, v40, v34
	v_div_fmas_f32 v31, v31, v37, v39
	s_mov_b64 vcc, s[10:11]
	v_div_fmas_f32 v32, v32, v38, v40
	v_div_fixup_f32 v34, v31, v35, v29
	v_div_fixup_f32 v33, v32, v36, v30
.LBB118_36:                             ;   in Loop: Header=BB118_4 Depth=1
	s_or_b64 exec, exec, s[14:15]
                                        ; implicit-def: $vgpr32
                                        ; implicit-def: $vgpr29
.LBB118_37:                             ;   in Loop: Header=BB118_4 Depth=1
	s_andn2_saveexec_b64 s[10:11], s[12:13]
	s_cbranch_execz .LBB118_39
; %bb.38:                               ;   in Loop: Header=BB118_4 Depth=1
	v_div_scale_f32 v33, s[12:13], v32, v32, v31
	v_div_scale_f32 v34, vcc, v31, v32, v31
	v_rcp_f32_e32 v35, v33
	v_fma_f32 v36, -v33, v35, 1.0
	v_fmac_f32_e32 v35, v36, v35
	v_mul_f32_e32 v36, v34, v35
	v_fma_f32 v37, -v33, v36, v34
	v_fmac_f32_e32 v36, v37, v35
	v_fma_f32 v33, -v33, v36, v34
	v_div_fmas_f32 v33, v33, v35, v36
	v_div_fixup_f32 v33, v33, v32, v31
	v_fmac_f32_e32 v32, v31, v33
	v_div_scale_f32 v31, s[12:13], v32, v32, 1.0
	v_div_scale_f32 v34, vcc, 1.0, v32, 1.0
	v_rcp_f32_e32 v35, v31
	v_fma_f32 v36, -v31, v35, 1.0
	v_fmac_f32_e32 v35, v36, v35
	v_mul_f32_e32 v36, v34, v35
	v_fma_f32 v37, -v31, v36, v34
	v_fmac_f32_e32 v36, v37, v35
	v_fma_f32 v31, -v31, v36, v34
	v_div_fmas_f32 v31, v31, v35, v36
	v_fma_f32 v34, v29, v33, v30
	v_fma_f32 v29, v30, v33, -v29
	v_div_fixup_f32 v30, v31, v32, 1.0
	v_mul_f32_e32 v34, v34, v30
	v_mul_f32_e32 v33, v29, v30
.LBB118_39:                             ;   in Loop: Header=BB118_4 Depth=1
	s_or_b64 exec, exec, s[10:11]
.LBB118_40:                             ;   in Loop: Header=BB118_4 Depth=1
	v_cmp_gt_f32_e32 vcc, 0, v27
	v_cndmask_b32_e64 v31, v27, -v27, vcc
	v_cmp_gt_f32_e32 vcc, 0, v28
	v_cndmask_b32_e64 v32, v28, -v28, vcc
	v_cndmask_b32_e64 v29, 0, 1, s[24:25]
	v_cmp_ge_f32_e64 s[12:13], v31, v32
	v_cmp_ne_u32_e64 s[10:11], 1, v29
	s_andn2_b64 vcc, exec, s[24:25]
	s_mov_b64 s[14:15], -1
                                        ; implicit-def: $vgpr29
                                        ; implicit-def: $vgpr30
	s_cbranch_vccnz .LBB118_50
; %bb.41:                               ;   in Loop: Header=BB118_4 Depth=1
                                        ; implicit-def: $vgpr29
                                        ; implicit-def: $vgpr35
	s_and_saveexec_b64 s[14:15], s[12:13]
	s_xor_b64 s[28:29], exec, s[14:15]
	s_cbranch_execz .LBB118_47
; %bb.42:                               ;   in Loop: Header=BB118_4 Depth=1
	v_cmp_neq_f32_e32 vcc, 0, v27
	v_cmp_neq_f32_e64 s[14:15], 0, v28
	s_or_b64 s[14:15], s[14:15], vcc
                                        ; implicit-def: $vgpr29
                                        ; implicit-def: $vgpr35
	s_and_saveexec_b64 s[30:31], s[14:15]
	s_xor_b64 s[14:15], exec, s[30:31]
	s_cbranch_execz .LBB118_44
; %bb.43:                               ;   in Loop: Header=BB118_4 Depth=1
	v_div_scale_f32 v29, s[30:31], v27, v27, v28
	v_div_scale_f32 v30, vcc, v28, v27, v28
	v_rcp_f32_e32 v35, v29
	v_fma_f32 v36, -v29, v35, 1.0
	v_fmac_f32_e32 v35, v36, v35
	v_mul_f32_e32 v36, v30, v35
	v_fma_f32 v37, -v29, v36, v30
	v_fmac_f32_e32 v36, v37, v35
	v_fma_f32 v29, -v29, v36, v30
	v_div_fmas_f32 v29, v29, v35, v36
	v_div_fixup_f32 v29, v29, v27, v28
	v_fma_f32 v30, v28, v29, v27
	v_div_scale_f32 v35, s[30:31], v30, v30, 1.0
	v_div_scale_f32 v36, vcc, 1.0, v30, 1.0
	v_rcp_f32_e32 v37, v35
	v_fma_f32 v38, -v35, v37, 1.0
	v_fmac_f32_e32 v37, v38, v37
	v_mul_f32_e32 v38, v36, v37
	v_fma_f32 v39, -v35, v38, v36
	v_fmac_f32_e32 v38, v39, v37
	v_fma_f32 v35, -v35, v38, v36
	v_div_fmas_f32 v35, v35, v37, v38
	v_fma_f32 v36, v26, v29, v25
	v_fma_f32 v29, -v25, v29, v26
	v_div_fixup_f32 v30, v35, v30, 1.0
	v_mul_f32_e32 v35, v36, v30
	v_mul_f32_e32 v29, v29, v30
.LBB118_44:                             ;   in Loop: Header=BB118_4 Depth=1
	s_andn2_saveexec_b64 s[30:31], s[14:15]
	s_cbranch_execz .LBB118_46
; %bb.45:                               ;   in Loop: Header=BB118_4 Depth=1
	v_div_scale_f32 v29, s[14:15], v31, v31, v25
	v_div_scale_f32 v30, s[14:15], v32, v32, v26
	v_div_scale_f32 v35, vcc, v25, v31, v25
	v_div_scale_f32 v36, s[14:15], v26, v32, v26
	v_rcp_f32_e32 v37, v29
	v_rcp_f32_e32 v38, v30
	v_fma_f32 v39, -v29, v37, 1.0
	v_fmac_f32_e32 v37, v39, v37
	v_fma_f32 v40, -v30, v38, 1.0
	v_fmac_f32_e32 v38, v40, v38
	v_mul_f32_e32 v39, v35, v37
	v_mul_f32_e32 v40, v36, v38
	v_fma_f32 v41, -v29, v39, v35
	v_fma_f32 v42, -v30, v40, v36
	v_fmac_f32_e32 v39, v41, v37
	v_fmac_f32_e32 v40, v42, v38
	v_fma_f32 v29, -v29, v39, v35
	v_fma_f32 v30, -v30, v40, v36
	v_div_fmas_f32 v29, v29, v37, v39
	s_mov_b64 vcc, s[14:15]
	v_div_fmas_f32 v30, v30, v38, v40
	v_div_fixup_f32 v35, v29, v31, v25
	v_div_fixup_f32 v29, v30, v32, v26
.LBB118_46:                             ;   in Loop: Header=BB118_4 Depth=1
	s_or_b64 exec, exec, s[30:31]
.LBB118_47:                             ;   in Loop: Header=BB118_4 Depth=1
	s_andn2_saveexec_b64 s[14:15], s[28:29]
	s_cbranch_execz .LBB118_49
; %bb.48:                               ;   in Loop: Header=BB118_4 Depth=1
	v_div_scale_f32 v29, s[28:29], v28, v28, v27
	v_div_scale_f32 v30, vcc, v27, v28, v27
	v_rcp_f32_e32 v35, v29
	v_fma_f32 v36, -v29, v35, 1.0
	v_fmac_f32_e32 v35, v36, v35
	v_mul_f32_e32 v36, v30, v35
	v_fma_f32 v37, -v29, v36, v30
	v_fmac_f32_e32 v36, v37, v35
	v_fma_f32 v29, -v29, v36, v30
	v_div_fmas_f32 v29, v29, v35, v36
	v_div_fixup_f32 v29, v29, v28, v27
	v_fma_f32 v30, v27, v29, v28
	v_div_scale_f32 v35, s[28:29], v30, v30, 1.0
	v_div_scale_f32 v36, vcc, 1.0, v30, 1.0
	v_rcp_f32_e32 v37, v35
	v_fma_f32 v38, -v35, v37, 1.0
	v_fmac_f32_e32 v37, v38, v37
	v_mul_f32_e32 v38, v36, v37
	v_fma_f32 v39, -v35, v38, v36
	v_fmac_f32_e32 v38, v39, v37
	v_fma_f32 v35, -v35, v38, v36
	v_div_fmas_f32 v35, v35, v37, v38
	v_fma_f32 v36, v25, v29, v26
	v_fma_f32 v29, v26, v29, -v25
	v_div_fixup_f32 v30, v35, v30, 1.0
	v_mul_f32_e32 v35, v36, v30
	v_mul_f32_e32 v29, v29, v30
.LBB118_49:                             ;   in Loop: Header=BB118_4 Depth=1
	s_or_b64 exec, exec, s[14:15]
	v_mul_f32_e32 v30, s17, v29
	v_mul_f32_e32 v29, s16, v29
	v_fma_f32 v30, v35, s16, -v30
	v_fmac_f32_e32 v29, s17, v35
	s_mov_b64 s[14:15], 0
.LBB118_50:                             ;   in Loop: Header=BB118_4 Depth=1
	s_and_b64 vcc, exec, s[14:15]
	s_cbranch_vccz .LBB118_60
; %bb.51:                               ;   in Loop: Header=BB118_4 Depth=1
                                        ; implicit-def: $vgpr29
                                        ; implicit-def: $vgpr30
	s_and_saveexec_b64 s[14:15], s[12:13]
	s_xor_b64 s[14:15], exec, s[14:15]
	s_cbranch_execz .LBB118_57
; %bb.52:                               ;   in Loop: Header=BB118_4 Depth=1
	v_cmp_neq_f32_e32 vcc, 0, v27
	v_cmp_neq_f32_e64 s[12:13], 0, v28
	s_or_b64 s[12:13], s[12:13], vcc
                                        ; implicit-def: $vgpr29
                                        ; implicit-def: $vgpr30
	s_and_saveexec_b64 s[28:29], s[12:13]
	s_xor_b64 s[12:13], exec, s[28:29]
	s_cbranch_execz .LBB118_54
; %bb.53:                               ;   in Loop: Header=BB118_4 Depth=1
	v_div_scale_f32 v29, s[28:29], v27, v27, v28
	v_div_scale_f32 v30, vcc, v28, v27, v28
	v_rcp_f32_e32 v31, v29
	v_fma_f32 v32, -v29, v31, 1.0
	v_fmac_f32_e32 v31, v32, v31
	v_mul_f32_e32 v32, v30, v31
	v_fma_f32 v35, -v29, v32, v30
	v_fmac_f32_e32 v32, v35, v31
	v_fma_f32 v29, -v29, v32, v30
	v_div_fmas_f32 v29, v29, v31, v32
	v_div_fixup_f32 v29, v29, v27, v28
	v_fmac_f32_e32 v27, v28, v29
	v_div_scale_f32 v28, s[28:29], v27, v27, 1.0
	v_div_scale_f32 v30, vcc, 1.0, v27, 1.0
	v_rcp_f32_e32 v31, v28
	v_fma_f32 v32, -v28, v31, 1.0
	v_fmac_f32_e32 v31, v32, v31
	v_mul_f32_e32 v32, v30, v31
	v_fma_f32 v35, -v28, v32, v30
	v_fmac_f32_e32 v32, v35, v31
	v_fma_f32 v28, -v28, v32, v30
	v_div_fmas_f32 v28, v28, v31, v32
	v_fma_f32 v30, v26, v29, v25
	v_fma_f32 v25, -v25, v29, v26
                                        ; implicit-def: $vgpr31
                                        ; implicit-def: $vgpr32
	v_div_fixup_f32 v26, v28, v27, 1.0
	v_mul_f32_e32 v30, v30, v26
	v_mul_f32_e32 v29, v25, v26
                                        ; implicit-def: $vgpr25
.LBB118_54:                             ;   in Loop: Header=BB118_4 Depth=1
	s_andn2_saveexec_b64 s[28:29], s[12:13]
	s_cbranch_execz .LBB118_56
; %bb.55:                               ;   in Loop: Header=BB118_4 Depth=1
	v_div_scale_f32 v27, s[12:13], v31, v31, v25
	v_div_scale_f32 v28, s[12:13], v32, v32, v26
	v_div_scale_f32 v29, vcc, v25, v31, v25
	v_div_scale_f32 v30, s[12:13], v26, v32, v26
	v_rcp_f32_e32 v35, v27
	v_rcp_f32_e32 v36, v28
	v_fma_f32 v37, -v27, v35, 1.0
	v_fmac_f32_e32 v35, v37, v35
	v_fma_f32 v38, -v28, v36, 1.0
	v_fmac_f32_e32 v36, v38, v36
	v_mul_f32_e32 v37, v29, v35
	v_mul_f32_e32 v38, v30, v36
	v_fma_f32 v39, -v27, v37, v29
	v_fma_f32 v40, -v28, v38, v30
	v_fmac_f32_e32 v37, v39, v35
	v_fmac_f32_e32 v38, v40, v36
	v_fma_f32 v27, -v27, v37, v29
	v_fma_f32 v28, -v28, v38, v30
	v_div_fmas_f32 v27, v27, v35, v37
	s_mov_b64 vcc, s[12:13]
	v_div_fmas_f32 v28, v28, v36, v38
	v_div_fixup_f32 v30, v27, v31, v25
	v_div_fixup_f32 v29, v28, v32, v26
.LBB118_56:                             ;   in Loop: Header=BB118_4 Depth=1
	s_or_b64 exec, exec, s[28:29]
                                        ; implicit-def: $vgpr28
                                        ; implicit-def: $vgpr25
.LBB118_57:                             ;   in Loop: Header=BB118_4 Depth=1
	s_andn2_saveexec_b64 s[12:13], s[14:15]
	s_cbranch_execz .LBB118_59
; %bb.58:                               ;   in Loop: Header=BB118_4 Depth=1
	v_div_scale_f32 v29, s[14:15], v28, v28, v27
	v_div_scale_f32 v30, vcc, v27, v28, v27
	v_rcp_f32_e32 v31, v29
	v_fma_f32 v32, -v29, v31, 1.0
	v_fmac_f32_e32 v31, v32, v31
	v_mul_f32_e32 v32, v30, v31
	v_fma_f32 v35, -v29, v32, v30
	v_fmac_f32_e32 v32, v35, v31
	v_fma_f32 v29, -v29, v32, v30
	v_div_fmas_f32 v29, v29, v31, v32
	v_div_fixup_f32 v29, v29, v28, v27
	v_fmac_f32_e32 v28, v27, v29
	v_div_scale_f32 v27, s[14:15], v28, v28, 1.0
	v_div_scale_f32 v30, vcc, 1.0, v28, 1.0
	v_rcp_f32_e32 v31, v27
	v_fma_f32 v32, -v27, v31, 1.0
	v_fmac_f32_e32 v31, v32, v31
	v_mul_f32_e32 v32, v30, v31
	v_fma_f32 v35, -v27, v32, v30
	v_fmac_f32_e32 v32, v35, v31
	v_fma_f32 v27, -v27, v32, v30
	v_div_fmas_f32 v27, v27, v31, v32
	v_fma_f32 v30, v25, v29, v26
	v_fma_f32 v25, v26, v29, -v25
	v_div_fixup_f32 v26, v27, v28, 1.0
	v_mul_f32_e32 v30, v30, v26
	v_mul_f32_e32 v29, v25, v26
.LBB118_59:                             ;   in Loop: Header=BB118_4 Depth=1
	s_or_b64 exec, exec, s[12:13]
.LBB118_60:                             ;   in Loop: Header=BB118_4 Depth=1
	v_cmp_gt_f32_e32 vcc, 0, v23
	v_cndmask_b32_e64 v27, v23, -v23, vcc
	v_cmp_gt_f32_e32 vcc, 0, v24
	v_cndmask_b32_e64 v28, v24, -v24, vcc
	v_cmp_ge_f32_e64 s[12:13], v27, v28
	s_and_b64 vcc, exec, s[10:11]
	s_mov_b64 s[14:15], -1
                                        ; implicit-def: $vgpr25
                                        ; implicit-def: $vgpr26
	s_cbranch_vccnz .LBB118_70
; %bb.61:                               ;   in Loop: Header=BB118_4 Depth=1
                                        ; implicit-def: $vgpr25
                                        ; implicit-def: $vgpr31
	s_and_saveexec_b64 s[14:15], s[12:13]
	s_xor_b64 s[28:29], exec, s[14:15]
	s_cbranch_execz .LBB118_67
; %bb.62:                               ;   in Loop: Header=BB118_4 Depth=1
	v_cmp_neq_f32_e32 vcc, 0, v23
	v_cmp_neq_f32_e64 s[14:15], 0, v24
	s_or_b64 s[14:15], s[14:15], vcc
                                        ; implicit-def: $vgpr25
                                        ; implicit-def: $vgpr31
	s_and_saveexec_b64 s[30:31], s[14:15]
	s_xor_b64 s[14:15], exec, s[30:31]
	s_cbranch_execz .LBB118_64
; %bb.63:                               ;   in Loop: Header=BB118_4 Depth=1
	v_div_scale_f32 v25, s[30:31], v23, v23, v24
	v_div_scale_f32 v26, vcc, v24, v23, v24
	v_rcp_f32_e32 v31, v25
	v_fma_f32 v32, -v25, v31, 1.0
	v_fmac_f32_e32 v31, v32, v31
	v_mul_f32_e32 v32, v26, v31
	v_fma_f32 v35, -v25, v32, v26
	v_fmac_f32_e32 v32, v35, v31
	v_fma_f32 v25, -v25, v32, v26
	v_div_fmas_f32 v25, v25, v31, v32
	v_div_fixup_f32 v25, v25, v23, v24
	v_fma_f32 v26, v24, v25, v23
	v_div_scale_f32 v31, s[30:31], v26, v26, 1.0
	v_div_scale_f32 v32, vcc, 1.0, v26, 1.0
	v_rcp_f32_e32 v35, v31
	v_fma_f32 v36, -v31, v35, 1.0
	v_fmac_f32_e32 v35, v36, v35
	v_mul_f32_e32 v36, v32, v35
	v_fma_f32 v37, -v31, v36, v32
	v_fmac_f32_e32 v36, v37, v35
	v_fma_f32 v31, -v31, v36, v32
	v_div_fmas_f32 v31, v31, v35, v36
	v_fma_f32 v32, v22, v25, v21
	v_fma_f32 v25, -v21, v25, v22
	v_div_fixup_f32 v26, v31, v26, 1.0
	v_mul_f32_e32 v31, v32, v26
	v_mul_f32_e32 v25, v25, v26
.LBB118_64:                             ;   in Loop: Header=BB118_4 Depth=1
	s_andn2_saveexec_b64 s[30:31], s[14:15]
	s_cbranch_execz .LBB118_66
; %bb.65:                               ;   in Loop: Header=BB118_4 Depth=1
	v_div_scale_f32 v25, s[14:15], v27, v27, v21
	v_div_scale_f32 v26, s[14:15], v28, v28, v22
	v_div_scale_f32 v31, vcc, v21, v27, v21
	v_div_scale_f32 v32, s[14:15], v22, v28, v22
	v_rcp_f32_e32 v35, v25
	v_rcp_f32_e32 v36, v26
	v_fma_f32 v37, -v25, v35, 1.0
	v_fmac_f32_e32 v35, v37, v35
	v_fma_f32 v38, -v26, v36, 1.0
	v_fmac_f32_e32 v36, v38, v36
	v_mul_f32_e32 v37, v31, v35
	v_mul_f32_e32 v38, v32, v36
	v_fma_f32 v39, -v25, v37, v31
	v_fma_f32 v40, -v26, v38, v32
	v_fmac_f32_e32 v37, v39, v35
	v_fmac_f32_e32 v38, v40, v36
	v_fma_f32 v25, -v25, v37, v31
	v_fma_f32 v26, -v26, v38, v32
	v_div_fmas_f32 v25, v25, v35, v37
	s_mov_b64 vcc, s[14:15]
	v_div_fmas_f32 v26, v26, v36, v38
	v_div_fixup_f32 v31, v25, v27, v21
	v_div_fixup_f32 v25, v26, v28, v22
.LBB118_66:                             ;   in Loop: Header=BB118_4 Depth=1
	s_or_b64 exec, exec, s[30:31]
.LBB118_67:                             ;   in Loop: Header=BB118_4 Depth=1
	s_andn2_saveexec_b64 s[14:15], s[28:29]
	s_cbranch_execz .LBB118_69
; %bb.68:                               ;   in Loop: Header=BB118_4 Depth=1
	v_div_scale_f32 v25, s[28:29], v24, v24, v23
	v_div_scale_f32 v26, vcc, v23, v24, v23
	v_rcp_f32_e32 v31, v25
	v_fma_f32 v32, -v25, v31, 1.0
	v_fmac_f32_e32 v31, v32, v31
	v_mul_f32_e32 v32, v26, v31
	v_fma_f32 v35, -v25, v32, v26
	v_fmac_f32_e32 v32, v35, v31
	v_fma_f32 v25, -v25, v32, v26
	v_div_fmas_f32 v25, v25, v31, v32
	v_div_fixup_f32 v25, v25, v24, v23
	v_fma_f32 v26, v23, v25, v24
	v_div_scale_f32 v31, s[28:29], v26, v26, 1.0
	v_div_scale_f32 v32, vcc, 1.0, v26, 1.0
	v_rcp_f32_e32 v35, v31
	v_fma_f32 v36, -v31, v35, 1.0
	v_fmac_f32_e32 v35, v36, v35
	v_mul_f32_e32 v36, v32, v35
	v_fma_f32 v37, -v31, v36, v32
	v_fmac_f32_e32 v36, v37, v35
	v_fma_f32 v31, -v31, v36, v32
	v_div_fmas_f32 v31, v31, v35, v36
	v_fma_f32 v32, v21, v25, v22
	v_fma_f32 v25, v22, v25, -v21
	v_div_fixup_f32 v26, v31, v26, 1.0
	v_mul_f32_e32 v31, v32, v26
	v_mul_f32_e32 v25, v25, v26
.LBB118_69:                             ;   in Loop: Header=BB118_4 Depth=1
	s_or_b64 exec, exec, s[14:15]
	v_mul_f32_e32 v26, s17, v25
	v_mul_f32_e32 v25, s16, v25
	v_fma_f32 v26, v31, s16, -v26
	v_fmac_f32_e32 v25, s17, v31
	s_mov_b64 s[14:15], 0
.LBB118_70:                             ;   in Loop: Header=BB118_4 Depth=1
	s_and_b64 vcc, exec, s[14:15]
	s_cbranch_vccz .LBB118_80
; %bb.71:                               ;   in Loop: Header=BB118_4 Depth=1
                                        ; implicit-def: $vgpr25
                                        ; implicit-def: $vgpr26
	s_and_saveexec_b64 s[14:15], s[12:13]
	s_xor_b64 s[14:15], exec, s[14:15]
	s_cbranch_execz .LBB118_77
; %bb.72:                               ;   in Loop: Header=BB118_4 Depth=1
	v_cmp_neq_f32_e32 vcc, 0, v23
	v_cmp_neq_f32_e64 s[12:13], 0, v24
	s_or_b64 s[12:13], s[12:13], vcc
                                        ; implicit-def: $vgpr25
                                        ; implicit-def: $vgpr26
	s_and_saveexec_b64 s[28:29], s[12:13]
	s_xor_b64 s[12:13], exec, s[28:29]
	s_cbranch_execz .LBB118_74
; %bb.73:                               ;   in Loop: Header=BB118_4 Depth=1
	v_div_scale_f32 v25, s[28:29], v23, v23, v24
	v_div_scale_f32 v26, vcc, v24, v23, v24
	v_rcp_f32_e32 v27, v25
	v_fma_f32 v28, -v25, v27, 1.0
	v_fmac_f32_e32 v27, v28, v27
	v_mul_f32_e32 v28, v26, v27
	v_fma_f32 v31, -v25, v28, v26
	v_fmac_f32_e32 v28, v31, v27
	v_fma_f32 v25, -v25, v28, v26
	v_div_fmas_f32 v25, v25, v27, v28
	v_div_fixup_f32 v25, v25, v23, v24
	v_fmac_f32_e32 v23, v24, v25
	v_div_scale_f32 v24, s[28:29], v23, v23, 1.0
	v_div_scale_f32 v26, vcc, 1.0, v23, 1.0
	v_rcp_f32_e32 v27, v24
	v_fma_f32 v28, -v24, v27, 1.0
	v_fmac_f32_e32 v27, v28, v27
	v_mul_f32_e32 v28, v26, v27
	v_fma_f32 v31, -v24, v28, v26
	v_fmac_f32_e32 v28, v31, v27
	v_fma_f32 v24, -v24, v28, v26
	v_div_fmas_f32 v24, v24, v27, v28
	v_fma_f32 v26, v22, v25, v21
	v_fma_f32 v21, -v21, v25, v22
                                        ; implicit-def: $vgpr27
                                        ; implicit-def: $vgpr28
	v_div_fixup_f32 v22, v24, v23, 1.0
	v_mul_f32_e32 v26, v26, v22
	v_mul_f32_e32 v25, v21, v22
                                        ; implicit-def: $vgpr21
.LBB118_74:                             ;   in Loop: Header=BB118_4 Depth=1
	s_andn2_saveexec_b64 s[28:29], s[12:13]
	s_cbranch_execz .LBB118_76
; %bb.75:                               ;   in Loop: Header=BB118_4 Depth=1
	v_div_scale_f32 v23, s[12:13], v27, v27, v21
	v_div_scale_f32 v24, s[12:13], v28, v28, v22
	v_div_scale_f32 v25, vcc, v21, v27, v21
	v_div_scale_f32 v26, s[12:13], v22, v28, v22
	v_rcp_f32_e32 v31, v23
	v_rcp_f32_e32 v32, v24
	v_fma_f32 v35, -v23, v31, 1.0
	v_fmac_f32_e32 v31, v35, v31
	v_fma_f32 v36, -v24, v32, 1.0
	v_fmac_f32_e32 v32, v36, v32
	v_mul_f32_e32 v35, v25, v31
	v_mul_f32_e32 v36, v26, v32
	v_fma_f32 v37, -v23, v35, v25
	v_fma_f32 v38, -v24, v36, v26
	v_fmac_f32_e32 v35, v37, v31
	v_fmac_f32_e32 v36, v38, v32
	v_fma_f32 v23, -v23, v35, v25
	v_fma_f32 v24, -v24, v36, v26
	v_div_fmas_f32 v23, v23, v31, v35
	s_mov_b64 vcc, s[12:13]
	v_div_fmas_f32 v24, v24, v32, v36
	v_div_fixup_f32 v26, v23, v27, v21
	v_div_fixup_f32 v25, v24, v28, v22
.LBB118_76:                             ;   in Loop: Header=BB118_4 Depth=1
	s_or_b64 exec, exec, s[28:29]
                                        ; implicit-def: $vgpr24
                                        ; implicit-def: $vgpr21
.LBB118_77:                             ;   in Loop: Header=BB118_4 Depth=1
	s_andn2_saveexec_b64 s[12:13], s[14:15]
	s_cbranch_execz .LBB118_79
; %bb.78:                               ;   in Loop: Header=BB118_4 Depth=1
	v_div_scale_f32 v25, s[14:15], v24, v24, v23
	v_div_scale_f32 v26, vcc, v23, v24, v23
	v_rcp_f32_e32 v27, v25
	v_fma_f32 v28, -v25, v27, 1.0
	v_fmac_f32_e32 v27, v28, v27
	v_mul_f32_e32 v28, v26, v27
	v_fma_f32 v31, -v25, v28, v26
	v_fmac_f32_e32 v28, v31, v27
	v_fma_f32 v25, -v25, v28, v26
	v_div_fmas_f32 v25, v25, v27, v28
	v_div_fixup_f32 v25, v25, v24, v23
	v_fmac_f32_e32 v24, v23, v25
	v_div_scale_f32 v23, s[14:15], v24, v24, 1.0
	v_div_scale_f32 v26, vcc, 1.0, v24, 1.0
	v_rcp_f32_e32 v27, v23
	v_fma_f32 v28, -v23, v27, 1.0
	v_fmac_f32_e32 v27, v28, v27
	v_mul_f32_e32 v28, v26, v27
	v_fma_f32 v31, -v23, v28, v26
	v_fmac_f32_e32 v28, v31, v27
	v_fma_f32 v23, -v23, v28, v26
	v_div_fmas_f32 v23, v23, v27, v28
	v_fma_f32 v26, v21, v25, v22
	v_fma_f32 v21, v22, v25, -v21
	v_div_fixup_f32 v22, v23, v24, 1.0
	v_mul_f32_e32 v26, v26, v22
	v_mul_f32_e32 v25, v21, v22
.LBB118_79:                             ;   in Loop: Header=BB118_4 Depth=1
	s_or_b64 exec, exec, s[12:13]
.LBB118_80:                             ;   in Loop: Header=BB118_4 Depth=1
	v_cmp_gt_f32_e32 vcc, 0, v19
	v_cndmask_b32_e64 v21, v19, -v19, vcc
	v_cmp_gt_f32_e32 vcc, 0, v20
	v_cndmask_b32_e64 v22, v20, -v20, vcc
	v_cmp_ge_f32_e64 s[12:13], v21, v22
	s_and_b64 vcc, exec, s[10:11]
	s_mov_b64 s[10:11], -1
                                        ; implicit-def: $vgpr23
                                        ; implicit-def: $vgpr24
	s_cbranch_vccz .LBB118_86
; %bb.81:                               ;   in Loop: Header=BB118_4 Depth=1
	s_and_b64 vcc, exec, s[10:11]
	s_cbranch_vccnz .LBB118_95
.LBB118_82:                             ;   in Loop: Header=BB118_4 Depth=1
	s_and_saveexec_b64 s[10:11], s[0:1]
	s_xor_b64 s[0:1], exec, s[10:11]
	s_cbranch_execnz .LBB118_104
.LBB118_83:                             ;   in Loop: Header=BB118_4 Depth=1
	s_or_b64 exec, exec, s[0:1]
	s_and_saveexec_b64 s[0:1], s[2:3]
	s_cbranch_execnz .LBB118_105
.LBB118_84:                             ;   in Loop: Header=BB118_4 Depth=1
	s_or_b64 exec, exec, s[0:1]
	s_and_saveexec_b64 s[0:1], s[6:7]
	s_cbranch_execnz .LBB118_106
.LBB118_85:                             ;   in Loop: Header=BB118_4 Depth=1
	s_or_b64 exec, exec, s[0:1]
	s_and_saveexec_b64 s[0:1], s[8:9]
	s_cbranch_execz .LBB118_3
	s_branch .LBB118_107
.LBB118_86:                             ;   in Loop: Header=BB118_4 Depth=1
                                        ; implicit-def: $vgpr23
                                        ; implicit-def: $vgpr27
	s_and_saveexec_b64 s[10:11], s[12:13]
	s_xor_b64 s[14:15], exec, s[10:11]
	s_cbranch_execz .LBB118_92
; %bb.87:                               ;   in Loop: Header=BB118_4 Depth=1
	v_cmp_neq_f32_e32 vcc, 0, v19
	v_cmp_neq_f32_e64 s[10:11], 0, v20
	s_or_b64 s[10:11], s[10:11], vcc
                                        ; implicit-def: $vgpr23
                                        ; implicit-def: $vgpr27
	s_and_saveexec_b64 s[28:29], s[10:11]
	s_xor_b64 s[10:11], exec, s[28:29]
	s_cbranch_execz .LBB118_89
; %bb.88:                               ;   in Loop: Header=BB118_4 Depth=1
	v_div_scale_f32 v23, s[28:29], v19, v19, v20
	v_div_scale_f32 v24, vcc, v20, v19, v20
	v_rcp_f32_e32 v27, v23
	v_fma_f32 v28, -v23, v27, 1.0
	v_fmac_f32_e32 v27, v28, v27
	v_mul_f32_e32 v28, v24, v27
	v_fma_f32 v31, -v23, v28, v24
	v_fmac_f32_e32 v28, v31, v27
	v_fma_f32 v23, -v23, v28, v24
	v_div_fmas_f32 v23, v23, v27, v28
	v_div_fixup_f32 v23, v23, v19, v20
	v_fma_f32 v24, v20, v23, v19
	v_div_scale_f32 v27, s[28:29], v24, v24, 1.0
	v_div_scale_f32 v28, vcc, 1.0, v24, 1.0
	v_rcp_f32_e32 v31, v27
	v_fma_f32 v32, -v27, v31, 1.0
	v_fmac_f32_e32 v31, v32, v31
	v_mul_f32_e32 v32, v28, v31
	v_fma_f32 v35, -v27, v32, v28
	v_fmac_f32_e32 v32, v35, v31
	v_fma_f32 v27, -v27, v32, v28
	v_div_fmas_f32 v27, v27, v31, v32
	v_fma_f32 v28, v18, v23, v17
	v_fma_f32 v23, -v17, v23, v18
	v_div_fixup_f32 v24, v27, v24, 1.0
	v_mul_f32_e32 v27, v28, v24
	v_mul_f32_e32 v23, v23, v24
.LBB118_89:                             ;   in Loop: Header=BB118_4 Depth=1
	s_andn2_saveexec_b64 s[28:29], s[10:11]
	s_cbranch_execz .LBB118_91
; %bb.90:                               ;   in Loop: Header=BB118_4 Depth=1
	v_div_scale_f32 v23, s[10:11], v21, v21, v17
	v_div_scale_f32 v24, s[10:11], v22, v22, v18
	v_div_scale_f32 v27, vcc, v17, v21, v17
	v_div_scale_f32 v28, s[10:11], v18, v22, v18
	v_rcp_f32_e32 v31, v23
	v_rcp_f32_e32 v32, v24
	v_fma_f32 v35, -v23, v31, 1.0
	v_fmac_f32_e32 v31, v35, v31
	v_fma_f32 v36, -v24, v32, 1.0
	v_fmac_f32_e32 v32, v36, v32
	v_mul_f32_e32 v35, v27, v31
	v_mul_f32_e32 v36, v28, v32
	v_fma_f32 v37, -v23, v35, v27
	v_fma_f32 v38, -v24, v36, v28
	v_fmac_f32_e32 v35, v37, v31
	v_fmac_f32_e32 v36, v38, v32
	v_fma_f32 v23, -v23, v35, v27
	v_fma_f32 v24, -v24, v36, v28
	v_div_fmas_f32 v23, v23, v31, v35
	s_mov_b64 vcc, s[10:11]
	v_div_fmas_f32 v24, v24, v32, v36
	v_div_fixup_f32 v27, v23, v21, v17
	v_div_fixup_f32 v23, v24, v22, v18
.LBB118_91:                             ;   in Loop: Header=BB118_4 Depth=1
	s_or_b64 exec, exec, s[28:29]
.LBB118_92:                             ;   in Loop: Header=BB118_4 Depth=1
	s_andn2_saveexec_b64 s[10:11], s[14:15]
	s_cbranch_execz .LBB118_94
; %bb.93:                               ;   in Loop: Header=BB118_4 Depth=1
	v_div_scale_f32 v23, s[14:15], v20, v20, v19
	v_div_scale_f32 v24, vcc, v19, v20, v19
	v_rcp_f32_e32 v27, v23
	v_fma_f32 v28, -v23, v27, 1.0
	v_fmac_f32_e32 v27, v28, v27
	v_mul_f32_e32 v28, v24, v27
	v_fma_f32 v31, -v23, v28, v24
	v_fmac_f32_e32 v28, v31, v27
	v_fma_f32 v23, -v23, v28, v24
	v_div_fmas_f32 v23, v23, v27, v28
	v_div_fixup_f32 v23, v23, v20, v19
	v_fma_f32 v24, v19, v23, v20
	v_div_scale_f32 v27, s[14:15], v24, v24, 1.0
	v_div_scale_f32 v28, vcc, 1.0, v24, 1.0
	v_rcp_f32_e32 v31, v27
	v_fma_f32 v32, -v27, v31, 1.0
	v_fmac_f32_e32 v31, v32, v31
	v_mul_f32_e32 v32, v28, v31
	v_fma_f32 v35, -v27, v32, v28
	v_fmac_f32_e32 v32, v35, v31
	v_fma_f32 v27, -v27, v32, v28
	v_div_fmas_f32 v27, v27, v31, v32
	v_fma_f32 v28, v17, v23, v18
	v_fma_f32 v23, v18, v23, -v17
	v_div_fixup_f32 v24, v27, v24, 1.0
	v_mul_f32_e32 v27, v28, v24
	v_mul_f32_e32 v23, v23, v24
.LBB118_94:                             ;   in Loop: Header=BB118_4 Depth=1
	s_or_b64 exec, exec, s[10:11]
	v_mul_f32_e32 v24, s17, v23
	v_mul_f32_e32 v23, s16, v23
	v_fma_f32 v24, v27, s16, -v24
	v_fmac_f32_e32 v23, s17, v27
	s_branch .LBB118_82
.LBB118_95:                             ;   in Loop: Header=BB118_4 Depth=1
                                        ; implicit-def: $vgpr23
                                        ; implicit-def: $vgpr24
	s_and_saveexec_b64 s[10:11], s[12:13]
	s_xor_b64 s[12:13], exec, s[10:11]
	s_cbranch_execz .LBB118_101
; %bb.96:                               ;   in Loop: Header=BB118_4 Depth=1
	v_cmp_neq_f32_e32 vcc, 0, v19
	v_cmp_neq_f32_e64 s[10:11], 0, v20
	s_or_b64 s[10:11], s[10:11], vcc
                                        ; implicit-def: $vgpr23
                                        ; implicit-def: $vgpr24
	s_and_saveexec_b64 s[14:15], s[10:11]
	s_xor_b64 s[10:11], exec, s[14:15]
	s_cbranch_execz .LBB118_98
; %bb.97:                               ;   in Loop: Header=BB118_4 Depth=1
	v_div_scale_f32 v21, s[14:15], v19, v19, v20
	v_div_scale_f32 v22, vcc, v20, v19, v20
	v_rcp_f32_e32 v23, v21
	v_fma_f32 v24, -v21, v23, 1.0
	v_fmac_f32_e32 v23, v24, v23
	v_mul_f32_e32 v24, v22, v23
	v_fma_f32 v27, -v21, v24, v22
	v_fmac_f32_e32 v24, v27, v23
	v_fma_f32 v21, -v21, v24, v22
	v_div_fmas_f32 v21, v21, v23, v24
	v_div_fixup_f32 v21, v21, v19, v20
	v_fmac_f32_e32 v19, v20, v21
	v_div_scale_f32 v20, s[14:15], v19, v19, 1.0
	v_div_scale_f32 v22, vcc, 1.0, v19, 1.0
	v_rcp_f32_e32 v23, v20
	v_fma_f32 v24, -v20, v23, 1.0
	v_fmac_f32_e32 v23, v24, v23
	v_mul_f32_e32 v24, v22, v23
	v_fma_f32 v27, -v20, v24, v22
	v_fmac_f32_e32 v24, v27, v23
	v_fma_f32 v20, -v20, v24, v22
	v_div_fmas_f32 v20, v20, v23, v24
	v_fma_f32 v22, v18, v21, v17
	v_fma_f32 v17, -v17, v21, v18
                                        ; implicit-def: $vgpr21
	v_div_fixup_f32 v18, v20, v19, 1.0
	v_mul_f32_e32 v24, v22, v18
	v_mul_f32_e32 v23, v17, v18
                                        ; implicit-def: $vgpr17
                                        ; implicit-def: $vgpr22
.LBB118_98:                             ;   in Loop: Header=BB118_4 Depth=1
	s_andn2_saveexec_b64 s[14:15], s[10:11]
	s_cbranch_execz .LBB118_100
; %bb.99:                               ;   in Loop: Header=BB118_4 Depth=1
	v_div_scale_f32 v19, s[10:11], v21, v21, v17
	v_div_scale_f32 v20, s[10:11], v22, v22, v18
	v_div_scale_f32 v23, vcc, v17, v21, v17
	v_div_scale_f32 v24, s[10:11], v18, v22, v18
	v_rcp_f32_e32 v27, v19
	v_rcp_f32_e32 v28, v20
	v_fma_f32 v31, -v19, v27, 1.0
	v_fmac_f32_e32 v27, v31, v27
	v_fma_f32 v32, -v20, v28, 1.0
	v_fmac_f32_e32 v28, v32, v28
	v_mul_f32_e32 v31, v23, v27
	v_mul_f32_e32 v32, v24, v28
	v_fma_f32 v35, -v19, v31, v23
	v_fma_f32 v36, -v20, v32, v24
	v_fmac_f32_e32 v31, v35, v27
	v_fmac_f32_e32 v32, v36, v28
	v_fma_f32 v19, -v19, v31, v23
	v_fma_f32 v20, -v20, v32, v24
	v_div_fmas_f32 v19, v19, v27, v31
	s_mov_b64 vcc, s[10:11]
	v_div_fmas_f32 v20, v20, v28, v32
	v_div_fixup_f32 v24, v19, v21, v17
	v_div_fixup_f32 v23, v20, v22, v18
.LBB118_100:                            ;   in Loop: Header=BB118_4 Depth=1
	s_or_b64 exec, exec, s[14:15]
                                        ; implicit-def: $vgpr20
                                        ; implicit-def: $vgpr17
.LBB118_101:                            ;   in Loop: Header=BB118_4 Depth=1
	s_andn2_saveexec_b64 s[10:11], s[12:13]
	s_cbranch_execz .LBB118_103
; %bb.102:                              ;   in Loop: Header=BB118_4 Depth=1
	v_div_scale_f32 v21, s[12:13], v20, v20, v19
	v_div_scale_f32 v22, vcc, v19, v20, v19
	v_rcp_f32_e32 v23, v21
	v_fma_f32 v24, -v21, v23, 1.0
	v_fmac_f32_e32 v23, v24, v23
	v_mul_f32_e32 v24, v22, v23
	v_fma_f32 v27, -v21, v24, v22
	v_fmac_f32_e32 v24, v27, v23
	v_fma_f32 v21, -v21, v24, v22
	v_div_fmas_f32 v21, v21, v23, v24
	v_div_fixup_f32 v21, v21, v20, v19
	v_fmac_f32_e32 v20, v19, v21
	v_div_scale_f32 v19, s[12:13], v20, v20, 1.0
	v_div_scale_f32 v22, vcc, 1.0, v20, 1.0
	v_rcp_f32_e32 v23, v19
	v_fma_f32 v24, -v19, v23, 1.0
	v_fmac_f32_e32 v23, v24, v23
	v_mul_f32_e32 v24, v22, v23
	v_fma_f32 v27, -v19, v24, v22
	v_fmac_f32_e32 v24, v27, v23
	v_fma_f32 v19, -v19, v24, v22
	v_div_fmas_f32 v19, v19, v23, v24
	v_fma_f32 v22, v17, v21, v18
	v_fma_f32 v17, v18, v21, -v17
	v_div_fixup_f32 v18, v19, v20, 1.0
	v_mul_f32_e32 v24, v22, v18
	v_mul_f32_e32 v23, v17, v18
.LBB118_103:                            ;   in Loop: Header=BB118_4 Depth=1
	s_or_b64 exec, exec, s[10:11]
	s_and_saveexec_b64 s[10:11], s[0:1]
	s_xor_b64 s[0:1], exec, s[10:11]
	s_cbranch_execz .LBB118_83
.LBB118_104:                            ;   in Loop: Header=BB118_4 Depth=1
	v_lshlrev_b64 v[1:2], 3, v[1:2]
	v_mov_b32_e32 v17, s40
	v_add_co_u32_e32 v1, vcc, s39, v1
	v_add_f32_e32 v3, v3, v34
	v_add_f32_e32 v4, v4, v33
	v_addc_co_u32_e32 v2, vcc, v17, v2, vcc
	global_store_dwordx2 v[1:2], v[3:4], off
	s_or_b64 exec, exec, s[0:1]
	s_and_saveexec_b64 s[0:1], s[2:3]
	s_cbranch_execz .LBB118_84
.LBB118_105:                            ;   in Loop: Header=BB118_4 Depth=1
	v_lshlrev_b64 v[3:4], 3, v[5:6]
	v_mov_b32_e32 v5, s40
	v_add_co_u32_e32 v3, vcc, s39, v3
	v_add_f32_e32 v1, v7, v30
	v_add_f32_e32 v2, v8, v29
	v_addc_co_u32_e32 v4, vcc, v5, v4, vcc
	global_store_dwordx2 v[3:4], v[1:2], off
	s_or_b64 exec, exec, s[0:1]
	s_and_saveexec_b64 s[0:1], s[6:7]
	s_cbranch_execz .LBB118_85
.LBB118_106:                            ;   in Loop: Header=BB118_4 Depth=1
	v_lshlrev_b64 v[3:4], 3, v[9:10]
	v_mov_b32_e32 v5, s40
	v_add_co_u32_e32 v3, vcc, s39, v3
	v_add_f32_e32 v1, v11, v26
	v_add_f32_e32 v2, v12, v25
	v_addc_co_u32_e32 v4, vcc, v5, v4, vcc
	global_store_dwordx2 v[3:4], v[1:2], off
	s_or_b64 exec, exec, s[0:1]
	s_and_saveexec_b64 s[0:1], s[8:9]
	s_cbranch_execz .LBB118_3
.LBB118_107:                            ;   in Loop: Header=BB118_4 Depth=1
	v_lshlrev_b64 v[3:4], 3, v[13:14]
	v_mov_b32_e32 v5, s40
	v_add_co_u32_e32 v3, vcc, s39, v3
	v_add_f32_e32 v1, v15, v24
	v_add_f32_e32 v2, v16, v23
	v_addc_co_u32_e32 v4, vcc, v5, v4, vcc
	global_store_dwordx2 v[3:4], v[1:2], off
	s_branch .LBB118_3
.LBB118_108:
	s_mov_b64 s[0:1], 0
.LBB118_109:
	s_andn2_b64 vcc, exec, s[0:1]
	s_cbranch_vccnz .LBB118_193
; %bb.110:
	v_mov_b32_e32 v1, 0x10000
	v_mov_b32_e32 v2, 0
	v_cmp_lt_i64_e32 vcc, s[18:19], v[1:2]
	v_mov_b32_e32 v2, 0
	s_and_b64 s[0:1], vcc, exec
	s_cselect_b32 s7, s19, 0
	s_cselect_b32 s6, s18, 0x10000
	v_lshlrev_b32_e32 v1, 2, v0
	v_cmp_gt_i64_e32 vcc, s[6:7], v[1:2]
	s_and_saveexec_b64 s[0:1], vcc
	s_cbranch_execz .LBB118_193
; %bb.111:
	s_load_dword s4, s[4:5], 0xd14
	s_and_b32 s2, s17, 0x7fffffff
	s_cmp_lg_u32 s2, 0
	v_cmp_neq_f32_e64 s[0:1], s16, 1.0
	s_cselect_b64 s[2:3], -1, 0
	s_waitcnt lgkmcnt(0)
	s_and_b32 s18, s4, 0xffff
	v_mov_b32_e32 v1, v2
	s_or_b64 s[8:9], s[0:1], s[2:3]
	v_lshlrev_b32_e32 v26, 5, v0
	s_lshl_b32 s19, s18, 5
	s_mov_b64 s[10:11], 0
	s_branch .LBB118_114
.LBB118_112:                            ;   in Loop: Header=BB118_114 Depth=1
	s_or_b64 exec, exec, s[0:1]
.LBB118_113:                            ;   in Loop: Header=BB118_114 Depth=1
	v_mov_b32_e32 v11, s40
	v_add_co_u32_e32 v10, vcc, s39, v26
	s_add_u32 s39, s39, s19
	v_addc_co_u32_e32 v11, vcc, 0, v11, vcc
	s_addc_u32 s40, s40, 0
	v_add_co_u32_e32 v0, vcc, s18, v0
	s_add_u32 s33, s33, s19
	v_add_f32_e32 v8, v8, v30
	v_add_f32_e32 v9, v9, v29
	;; [unrolled: 1-line block ×4, first 2 shown]
	v_addc_co_u32_e32 v1, vcc, 0, v1, vcc
	s_addc_u32 s34, s34, 0
	global_store_dwordx4 v[10:11], v[6:9], off
	s_add_u32 s37, s37, s19
	v_lshlrev_b64 v[6:7], 2, v[0:1]
	s_addc_u32 s38, s38, 0
	s_add_u32 s35, s35, s19
	v_cmp_le_i64_e32 vcc, s[6:7], v[6:7]
	s_addc_u32 s36, s36, 0
	v_add_f32_e32 v2, v2, v19
	v_add_f32_e32 v3, v3, v18
	;; [unrolled: 1-line block ×4, first 2 shown]
	s_or_b64 s[10:11], vcc, s[10:11]
	global_store_dwordx4 v[10:11], v[2:5], off offset:16
	s_andn2_b64 exec, exec, s[10:11]
	s_cbranch_execz .LBB118_193
.LBB118_114:                            ; =>This Inner Loop Header: Depth=1
	v_mov_b32_e32 v3, s38
	v_add_co_u32_e32 v2, vcc, s37, v26
	v_addc_co_u32_e32 v3, vcc, 0, v3, vcc
	global_load_dwordx4 v[22:25], v[2:3], off
	global_load_dwordx4 v[14:17], v[2:3], off offset:16
	v_mov_b32_e32 v2, s34
	v_add_co_u32_e32 v27, vcc, s33, v26
	v_addc_co_u32_e32 v28, vcc, 0, v2, vcc
	v_mov_b32_e32 v3, s36
	v_add_co_u32_e32 v29, vcc, s35, v26
	v_addc_co_u32_e32 v30, vcc, 0, v3, vcc
	global_load_dwordx4 v[2:5], v[27:28], off offset:16
	global_load_dwordx4 v[6:9], v[27:28], off
	global_load_dwordx4 v[10:13], v[29:30], off offset:16
	global_load_dwordx4 v[18:21], v[29:30], off
	s_mov_b64 s[2:3], -1
	s_and_b64 vcc, exec, s[8:9]
                                        ; implicit-def: $vgpr27
                                        ; implicit-def: $vgpr28
	s_waitcnt vmcnt(5)
	v_cmp_gt_f32_e64 s[0:1], 0, v22
	v_cndmask_b32_e64 v29, v22, -v22, s[0:1]
	v_cmp_gt_f32_e64 s[0:1], 0, v23
	v_cndmask_b32_e64 v30, v23, -v23, s[0:1]
	v_cmp_ge_f32_e64 s[0:1], v29, v30
	s_cbranch_vccz .LBB118_124
; %bb.115:                              ;   in Loop: Header=BB118_114 Depth=1
                                        ; implicit-def: $vgpr27
                                        ; implicit-def: $vgpr31
	s_and_saveexec_b64 s[2:3], s[0:1]
	s_xor_b64 s[4:5], exec, s[2:3]
	s_cbranch_execz .LBB118_121
; %bb.116:                              ;   in Loop: Header=BB118_114 Depth=1
	v_cmp_neq_f32_e32 vcc, 0, v22
	v_cmp_neq_f32_e64 s[2:3], 0, v23
	s_or_b64 s[2:3], vcc, s[2:3]
                                        ; implicit-def: $vgpr27
                                        ; implicit-def: $vgpr31
	s_and_saveexec_b64 s[12:13], s[2:3]
	s_xor_b64 s[2:3], exec, s[12:13]
	s_cbranch_execz .LBB118_118
; %bb.117:                              ;   in Loop: Header=BB118_114 Depth=1
	v_div_scale_f32 v27, s[12:13], v22, v22, v23
	v_div_scale_f32 v28, vcc, v23, v22, v23
	v_rcp_f32_e32 v31, v27
	v_fma_f32 v32, -v27, v31, 1.0
	v_fmac_f32_e32 v31, v32, v31
	v_mul_f32_e32 v32, v28, v31
	v_fma_f32 v33, -v27, v32, v28
	v_fmac_f32_e32 v32, v33, v31
	v_fma_f32 v27, -v27, v32, v28
	v_div_fmas_f32 v27, v27, v31, v32
	v_div_fixup_f32 v27, v27, v22, v23
	v_fma_f32 v28, v23, v27, v22
	v_div_scale_f32 v31, s[12:13], v28, v28, 1.0
	v_div_scale_f32 v32, vcc, 1.0, v28, 1.0
	v_rcp_f32_e32 v33, v31
	v_fma_f32 v34, -v31, v33, 1.0
	v_fmac_f32_e32 v33, v34, v33
	v_mul_f32_e32 v34, v32, v33
	v_fma_f32 v35, -v31, v34, v32
	v_fmac_f32_e32 v34, v35, v33
	v_fma_f32 v31, -v31, v34, v32
	v_div_fmas_f32 v31, v31, v33, v34
	s_waitcnt vmcnt(0)
	v_fma_f32 v32, v19, v27, v18
	v_fma_f32 v27, -v18, v27, v19
	v_div_fixup_f32 v28, v31, v28, 1.0
	v_mul_f32_e32 v31, v32, v28
	v_mul_f32_e32 v27, v27, v28
.LBB118_118:                            ;   in Loop: Header=BB118_114 Depth=1
	s_andn2_saveexec_b64 s[12:13], s[2:3]
	s_cbranch_execz .LBB118_120
; %bb.119:                              ;   in Loop: Header=BB118_114 Depth=1
	s_waitcnt vmcnt(0)
	v_div_scale_f32 v27, s[2:3], v29, v29, v18
	v_div_scale_f32 v28, s[2:3], v30, v30, v19
	v_div_scale_f32 v31, vcc, v18, v29, v18
	v_div_scale_f32 v32, s[2:3], v19, v30, v19
	v_rcp_f32_e32 v33, v27
	v_rcp_f32_e32 v34, v28
	v_fma_f32 v35, -v27, v33, 1.0
	v_fmac_f32_e32 v33, v35, v33
	v_fma_f32 v36, -v28, v34, 1.0
	v_fmac_f32_e32 v34, v36, v34
	v_mul_f32_e32 v35, v31, v33
	v_mul_f32_e32 v36, v32, v34
	v_fma_f32 v37, -v27, v35, v31
	v_fma_f32 v38, -v28, v36, v32
	v_fmac_f32_e32 v35, v37, v33
	v_fmac_f32_e32 v36, v38, v34
	v_fma_f32 v27, -v27, v35, v31
	v_fma_f32 v28, -v28, v36, v32
	v_div_fmas_f32 v27, v27, v33, v35
	s_mov_b64 vcc, s[2:3]
	v_div_fmas_f32 v28, v28, v34, v36
	v_div_fixup_f32 v31, v27, v29, v18
	v_div_fixup_f32 v27, v28, v30, v19
.LBB118_120:                            ;   in Loop: Header=BB118_114 Depth=1
	s_or_b64 exec, exec, s[12:13]
.LBB118_121:                            ;   in Loop: Header=BB118_114 Depth=1
	s_andn2_saveexec_b64 s[2:3], s[4:5]
	s_cbranch_execz .LBB118_123
; %bb.122:                              ;   in Loop: Header=BB118_114 Depth=1
	v_div_scale_f32 v27, s[4:5], v23, v23, v22
	v_div_scale_f32 v28, vcc, v22, v23, v22
	v_rcp_f32_e32 v31, v27
	v_fma_f32 v32, -v27, v31, 1.0
	v_fmac_f32_e32 v31, v32, v31
	v_mul_f32_e32 v32, v28, v31
	v_fma_f32 v33, -v27, v32, v28
	v_fmac_f32_e32 v32, v33, v31
	v_fma_f32 v27, -v27, v32, v28
	v_div_fmas_f32 v27, v27, v31, v32
	v_div_fixup_f32 v27, v27, v23, v22
	v_fma_f32 v28, v22, v27, v23
	v_div_scale_f32 v31, s[4:5], v28, v28, 1.0
	v_div_scale_f32 v32, vcc, 1.0, v28, 1.0
	v_rcp_f32_e32 v33, v31
	v_fma_f32 v34, -v31, v33, 1.0
	v_fmac_f32_e32 v33, v34, v33
	v_mul_f32_e32 v34, v32, v33
	v_fma_f32 v35, -v31, v34, v32
	v_fmac_f32_e32 v34, v35, v33
	v_fma_f32 v31, -v31, v34, v32
	v_div_fmas_f32 v31, v31, v33, v34
	s_waitcnt vmcnt(0)
	v_fma_f32 v32, v18, v27, v19
	v_fma_f32 v27, v19, v27, -v18
	v_div_fixup_f32 v28, v31, v28, 1.0
	v_mul_f32_e32 v31, v32, v28
	v_mul_f32_e32 v27, v27, v28
.LBB118_123:                            ;   in Loop: Header=BB118_114 Depth=1
	s_or_b64 exec, exec, s[2:3]
	v_mul_f32_e32 v28, s17, v27
	v_mul_f32_e32 v27, s16, v27
	v_fma_f32 v28, v31, s16, -v28
	v_fmac_f32_e32 v27, s17, v31
	s_mov_b64 s[2:3], 0
.LBB118_124:                            ;   in Loop: Header=BB118_114 Depth=1
	s_and_b64 vcc, exec, s[2:3]
	s_cbranch_vccz .LBB118_134
; %bb.125:                              ;   in Loop: Header=BB118_114 Depth=1
                                        ; implicit-def: $vgpr27
                                        ; implicit-def: $vgpr28
	s_and_saveexec_b64 s[2:3], s[0:1]
	s_xor_b64 s[2:3], exec, s[2:3]
	s_cbranch_execz .LBB118_131
; %bb.126:                              ;   in Loop: Header=BB118_114 Depth=1
	v_cmp_neq_f32_e32 vcc, 0, v22
	v_cmp_neq_f32_e64 s[0:1], 0, v23
	s_or_b64 s[0:1], vcc, s[0:1]
                                        ; implicit-def: $vgpr27
                                        ; implicit-def: $vgpr28
	s_and_saveexec_b64 s[4:5], s[0:1]
	s_xor_b64 s[0:1], exec, s[4:5]
	s_cbranch_execz .LBB118_128
; %bb.127:                              ;   in Loop: Header=BB118_114 Depth=1
	v_div_scale_f32 v27, s[4:5], v22, v22, v23
	v_div_scale_f32 v28, vcc, v23, v22, v23
	v_rcp_f32_e32 v29, v27
	v_fma_f32 v30, -v27, v29, 1.0
	v_fmac_f32_e32 v29, v30, v29
	v_mul_f32_e32 v30, v28, v29
	v_fma_f32 v31, -v27, v30, v28
	v_fmac_f32_e32 v30, v31, v29
	v_fma_f32 v27, -v27, v30, v28
	v_div_fmas_f32 v27, v27, v29, v30
	v_div_fixup_f32 v27, v27, v22, v23
	v_fma_f32 v28, v23, v27, v22
	v_div_scale_f32 v29, s[4:5], v28, v28, 1.0
	v_div_scale_f32 v30, vcc, 1.0, v28, 1.0
	v_rcp_f32_e32 v31, v29
	v_fma_f32 v32, -v29, v31, 1.0
	v_fmac_f32_e32 v31, v32, v31
	v_mul_f32_e32 v32, v30, v31
	v_fma_f32 v33, -v29, v32, v30
	v_fmac_f32_e32 v32, v33, v31
	v_fma_f32 v29, -v29, v32, v30
	v_div_fmas_f32 v29, v29, v31, v32
	s_waitcnt vmcnt(0)
	v_fma_f32 v30, v19, v27, v18
	v_fma_f32 v27, -v18, v27, v19
	v_div_fixup_f32 v29, v29, v28, 1.0
	v_mul_f32_e32 v28, v30, v29
	v_mul_f32_e32 v27, v27, v29
                                        ; implicit-def: $vgpr29
                                        ; implicit-def: $vgpr30
.LBB118_128:                            ;   in Loop: Header=BB118_114 Depth=1
	s_andn2_saveexec_b64 s[4:5], s[0:1]
	s_cbranch_execz .LBB118_130
; %bb.129:                              ;   in Loop: Header=BB118_114 Depth=1
	s_waitcnt vmcnt(0)
	v_div_scale_f32 v27, s[0:1], v29, v29, v18
	v_div_scale_f32 v28, s[0:1], v30, v30, v19
	v_div_scale_f32 v31, vcc, v18, v29, v18
	v_div_scale_f32 v32, s[0:1], v19, v30, v19
	v_rcp_f32_e32 v33, v27
	v_rcp_f32_e32 v34, v28
	v_fma_f32 v35, -v27, v33, 1.0
	v_fmac_f32_e32 v33, v35, v33
	v_fma_f32 v36, -v28, v34, 1.0
	v_fmac_f32_e32 v34, v36, v34
	v_mul_f32_e32 v35, v31, v33
	v_mul_f32_e32 v36, v32, v34
	v_fma_f32 v37, -v27, v35, v31
	v_fma_f32 v38, -v28, v36, v32
	v_fmac_f32_e32 v35, v37, v33
	v_fmac_f32_e32 v36, v38, v34
	v_fma_f32 v27, -v27, v35, v31
	v_fma_f32 v28, -v28, v36, v32
	v_div_fmas_f32 v27, v27, v33, v35
	s_mov_b64 vcc, s[0:1]
	v_div_fmas_f32 v31, v28, v34, v36
	v_div_fixup_f32 v28, v27, v29, v18
	v_div_fixup_f32 v27, v31, v30, v19
.LBB118_130:                            ;   in Loop: Header=BB118_114 Depth=1
	s_or_b64 exec, exec, s[4:5]
.LBB118_131:                            ;   in Loop: Header=BB118_114 Depth=1
	s_andn2_saveexec_b64 s[0:1], s[2:3]
	s_cbranch_execz .LBB118_133
; %bb.132:                              ;   in Loop: Header=BB118_114 Depth=1
	v_div_scale_f32 v27, s[2:3], v23, v23, v22
	v_div_scale_f32 v28, vcc, v22, v23, v22
	v_rcp_f32_e32 v29, v27
	v_fma_f32 v30, -v27, v29, 1.0
	v_fmac_f32_e32 v29, v30, v29
	v_mul_f32_e32 v30, v28, v29
	v_fma_f32 v31, -v27, v30, v28
	v_fmac_f32_e32 v30, v31, v29
	v_fma_f32 v27, -v27, v30, v28
	v_div_fmas_f32 v27, v27, v29, v30
	v_div_fixup_f32 v27, v27, v23, v22
	v_fma_f32 v22, v22, v27, v23
	v_div_scale_f32 v23, s[2:3], v22, v22, 1.0
	v_div_scale_f32 v28, vcc, 1.0, v22, 1.0
	v_rcp_f32_e32 v29, v23
	v_fma_f32 v30, -v23, v29, 1.0
	v_fmac_f32_e32 v29, v30, v29
	v_mul_f32_e32 v30, v28, v29
	v_fma_f32 v31, -v23, v30, v28
	v_fmac_f32_e32 v30, v31, v29
	v_fma_f32 v23, -v23, v30, v28
	v_div_fmas_f32 v23, v23, v29, v30
	s_waitcnt vmcnt(0)
	v_fma_f32 v28, v18, v27, v19
	v_fma_f32 v18, v19, v27, -v18
	v_div_fixup_f32 v19, v23, v22, 1.0
	v_mul_f32_e32 v28, v28, v19
	v_mul_f32_e32 v27, v18, v19
.LBB118_133:                            ;   in Loop: Header=BB118_114 Depth=1
	s_or_b64 exec, exec, s[0:1]
.LBB118_134:                            ;   in Loop: Header=BB118_114 Depth=1
	v_cmp_gt_f32_e32 vcc, 0, v24
	v_cndmask_b32_e64 v22, v24, -v24, vcc
	v_cmp_gt_f32_e32 vcc, 0, v25
	s_waitcnt vmcnt(0)
	v_cndmask_b32_e64 v18, v25, -v25, vcc
	v_cndmask_b32_e64 v19, 0, 1, s[8:9]
	v_cmp_ge_f32_e64 s[2:3], v22, v18
	v_cmp_ne_u32_e64 s[0:1], 1, v19
	s_andn2_b64 vcc, exec, s[8:9]
	s_mov_b64 s[4:5], -1
                                        ; implicit-def: $vgpr29
                                        ; implicit-def: $vgpr30
	s_cbranch_vccnz .LBB118_144
; %bb.135:                              ;   in Loop: Header=BB118_114 Depth=1
                                        ; implicit-def: $vgpr23
                                        ; implicit-def: $vgpr19
	s_and_saveexec_b64 s[4:5], s[2:3]
	s_xor_b64 s[12:13], exec, s[4:5]
	s_cbranch_execz .LBB118_141
; %bb.136:                              ;   in Loop: Header=BB118_114 Depth=1
	v_cmp_neq_f32_e32 vcc, 0, v24
	v_cmp_neq_f32_e64 s[4:5], 0, v25
	s_or_b64 s[4:5], vcc, s[4:5]
                                        ; implicit-def: $vgpr23
                                        ; implicit-def: $vgpr19
	s_and_saveexec_b64 s[14:15], s[4:5]
	s_xor_b64 s[4:5], exec, s[14:15]
	s_cbranch_execz .LBB118_138
; %bb.137:                              ;   in Loop: Header=BB118_114 Depth=1
	v_div_scale_f32 v19, s[14:15], v24, v24, v25
	v_div_scale_f32 v23, vcc, v25, v24, v25
	v_rcp_f32_e32 v29, v19
	v_fma_f32 v30, -v19, v29, 1.0
	v_fmac_f32_e32 v29, v30, v29
	v_mul_f32_e32 v30, v23, v29
	v_fma_f32 v31, -v19, v30, v23
	v_fmac_f32_e32 v30, v31, v29
	v_fma_f32 v19, -v19, v30, v23
	v_div_fmas_f32 v19, v19, v29, v30
	v_div_fixup_f32 v19, v19, v24, v25
	v_fma_f32 v23, v25, v19, v24
	v_div_scale_f32 v29, s[14:15], v23, v23, 1.0
	v_div_scale_f32 v30, vcc, 1.0, v23, 1.0
	v_rcp_f32_e32 v31, v29
	v_fma_f32 v32, -v29, v31, 1.0
	v_fmac_f32_e32 v31, v32, v31
	v_mul_f32_e32 v32, v30, v31
	v_fma_f32 v33, -v29, v32, v30
	v_fmac_f32_e32 v32, v33, v31
	v_fma_f32 v29, -v29, v32, v30
	v_div_fmas_f32 v29, v29, v31, v32
	v_fma_f32 v30, v21, v19, v20
	v_fma_f32 v31, -v20, v19, v21
	v_div_fixup_f32 v23, v29, v23, 1.0
	v_mul_f32_e32 v19, v30, v23
	v_mul_f32_e32 v23, v31, v23
.LBB118_138:                            ;   in Loop: Header=BB118_114 Depth=1
	s_andn2_saveexec_b64 s[14:15], s[4:5]
	s_cbranch_execz .LBB118_140
; %bb.139:                              ;   in Loop: Header=BB118_114 Depth=1
	v_div_scale_f32 v19, s[4:5], v22, v22, v20
	v_div_scale_f32 v23, s[4:5], v18, v18, v21
	v_div_scale_f32 v29, vcc, v20, v22, v20
	v_div_scale_f32 v30, s[4:5], v21, v18, v21
	v_rcp_f32_e32 v31, v19
	v_rcp_f32_e32 v32, v23
	v_fma_f32 v33, -v19, v31, 1.0
	v_fmac_f32_e32 v31, v33, v31
	v_fma_f32 v34, -v23, v32, 1.0
	v_fmac_f32_e32 v32, v34, v32
	v_mul_f32_e32 v33, v29, v31
	v_mul_f32_e32 v34, v30, v32
	v_fma_f32 v35, -v19, v33, v29
	v_fma_f32 v36, -v23, v34, v30
	v_fmac_f32_e32 v33, v35, v31
	v_fmac_f32_e32 v34, v36, v32
	v_fma_f32 v19, -v19, v33, v29
	v_fma_f32 v23, -v23, v34, v30
	v_div_fmas_f32 v19, v19, v31, v33
	s_mov_b64 vcc, s[4:5]
	v_div_fmas_f32 v23, v23, v32, v34
	v_div_fixup_f32 v19, v19, v22, v20
	v_div_fixup_f32 v23, v23, v18, v21
.LBB118_140:                            ;   in Loop: Header=BB118_114 Depth=1
	s_or_b64 exec, exec, s[14:15]
.LBB118_141:                            ;   in Loop: Header=BB118_114 Depth=1
	s_andn2_saveexec_b64 s[4:5], s[12:13]
	s_cbranch_execz .LBB118_143
; %bb.142:                              ;   in Loop: Header=BB118_114 Depth=1
	v_div_scale_f32 v19, s[12:13], v25, v25, v24
	v_div_scale_f32 v23, vcc, v24, v25, v24
	v_rcp_f32_e32 v29, v19
	v_fma_f32 v30, -v19, v29, 1.0
	v_fmac_f32_e32 v29, v30, v29
	v_mul_f32_e32 v30, v23, v29
	v_fma_f32 v31, -v19, v30, v23
	v_fmac_f32_e32 v30, v31, v29
	v_fma_f32 v19, -v19, v30, v23
	v_div_fmas_f32 v19, v19, v29, v30
	v_div_fixup_f32 v19, v19, v25, v24
	v_fma_f32 v23, v24, v19, v25
	v_div_scale_f32 v29, s[12:13], v23, v23, 1.0
	v_div_scale_f32 v30, vcc, 1.0, v23, 1.0
	v_rcp_f32_e32 v31, v29
	v_fma_f32 v32, -v29, v31, 1.0
	v_fmac_f32_e32 v31, v32, v31
	v_mul_f32_e32 v32, v30, v31
	v_fma_f32 v33, -v29, v32, v30
	v_fmac_f32_e32 v32, v33, v31
	v_fma_f32 v29, -v29, v32, v30
	v_div_fmas_f32 v29, v29, v31, v32
	v_fma_f32 v30, v20, v19, v21
	v_fma_f32 v31, v21, v19, -v20
	v_div_fixup_f32 v23, v29, v23, 1.0
	v_mul_f32_e32 v19, v30, v23
	v_mul_f32_e32 v23, v31, v23
.LBB118_143:                            ;   in Loop: Header=BB118_114 Depth=1
	s_or_b64 exec, exec, s[4:5]
	v_mul_f32_e32 v29, s17, v23
	v_fma_f32 v30, v19, s16, -v29
	v_mul_f32_e32 v29, s16, v23
	v_fmac_f32_e32 v29, s17, v19
	s_mov_b64 s[4:5], 0
.LBB118_144:                            ;   in Loop: Header=BB118_114 Depth=1
	s_and_b64 vcc, exec, s[4:5]
	s_cbranch_vccz .LBB118_154
; %bb.145:                              ;   in Loop: Header=BB118_114 Depth=1
                                        ; implicit-def: $vgpr29
                                        ; implicit-def: $vgpr30
	s_and_saveexec_b64 s[4:5], s[2:3]
	s_xor_b64 s[4:5], exec, s[4:5]
	s_cbranch_execz .LBB118_151
; %bb.146:                              ;   in Loop: Header=BB118_114 Depth=1
	v_cmp_neq_f32_e32 vcc, 0, v24
	v_cmp_neq_f32_e64 s[2:3], 0, v25
	s_or_b64 s[2:3], vcc, s[2:3]
                                        ; implicit-def: $vgpr29
                                        ; implicit-def: $vgpr30
	s_and_saveexec_b64 s[12:13], s[2:3]
	s_xor_b64 s[2:3], exec, s[12:13]
	s_cbranch_execz .LBB118_148
; %bb.147:                              ;   in Loop: Header=BB118_114 Depth=1
	v_div_scale_f32 v18, s[12:13], v24, v24, v25
	v_div_scale_f32 v19, vcc, v25, v24, v25
	v_rcp_f32_e32 v22, v18
	v_fma_f32 v23, -v18, v22, 1.0
	v_fmac_f32_e32 v22, v23, v22
	v_mul_f32_e32 v23, v19, v22
	v_fma_f32 v29, -v18, v23, v19
	v_fmac_f32_e32 v23, v29, v22
	v_fma_f32 v18, -v18, v23, v19
	v_div_fmas_f32 v18, v18, v22, v23
	v_div_fixup_f32 v18, v18, v24, v25
	v_fmac_f32_e32 v24, v25, v18
	v_div_scale_f32 v19, s[12:13], v24, v24, 1.0
	v_div_scale_f32 v22, vcc, 1.0, v24, 1.0
	v_rcp_f32_e32 v23, v19
	v_fma_f32 v25, -v19, v23, 1.0
	v_fmac_f32_e32 v23, v25, v23
	v_mul_f32_e32 v25, v22, v23
	v_fma_f32 v29, -v19, v25, v22
	v_fmac_f32_e32 v25, v29, v23
	v_fma_f32 v19, -v19, v25, v22
	v_div_fmas_f32 v19, v19, v23, v25
	v_fma_f32 v22, v21, v18, v20
	v_fma_f32 v18, -v20, v18, v21
	v_div_fixup_f32 v19, v19, v24, 1.0
	v_mul_f32_e32 v30, v22, v19
	v_mul_f32_e32 v29, v18, v19
                                        ; implicit-def: $vgpr18_vgpr19_vgpr20_vgpr21
                                        ; implicit-def: $vgpr22
                                        ; implicit-def: $vgpr18
.LBB118_148:                            ;   in Loop: Header=BB118_114 Depth=1
	s_andn2_saveexec_b64 s[12:13], s[2:3]
	s_cbranch_execz .LBB118_150
; %bb.149:                              ;   in Loop: Header=BB118_114 Depth=1
	v_div_scale_f32 v19, s[2:3], v22, v22, v20
	v_div_scale_f32 v23, s[2:3], v18, v18, v21
	v_div_scale_f32 v24, vcc, v20, v22, v20
	v_div_scale_f32 v25, s[2:3], v21, v18, v21
	v_rcp_f32_e32 v29, v19
	v_rcp_f32_e32 v30, v23
	v_fma_f32 v31, -v19, v29, 1.0
	v_fmac_f32_e32 v29, v31, v29
	v_fma_f32 v32, -v23, v30, 1.0
	v_fmac_f32_e32 v30, v32, v30
	v_mul_f32_e32 v31, v24, v29
	v_mul_f32_e32 v32, v25, v30
	v_fma_f32 v33, -v19, v31, v24
	v_fma_f32 v34, -v23, v32, v25
	v_fmac_f32_e32 v31, v33, v29
	v_fmac_f32_e32 v32, v34, v30
	v_fma_f32 v19, -v19, v31, v24
	v_fma_f32 v23, -v23, v32, v25
	v_div_fmas_f32 v19, v19, v29, v31
	s_mov_b64 vcc, s[2:3]
	v_div_fmas_f32 v23, v23, v30, v32
	v_div_fixup_f32 v30, v19, v22, v20
	v_div_fixup_f32 v29, v23, v18, v21
.LBB118_150:                            ;   in Loop: Header=BB118_114 Depth=1
	s_or_b64 exec, exec, s[12:13]
                                        ; implicit-def: $vgpr22_vgpr23_vgpr24_vgpr25
                                        ; implicit-def: $vgpr18_vgpr19_vgpr20_vgpr21
.LBB118_151:                            ;   in Loop: Header=BB118_114 Depth=1
	s_andn2_saveexec_b64 s[2:3], s[4:5]
	s_cbranch_execz .LBB118_153
; %bb.152:                              ;   in Loop: Header=BB118_114 Depth=1
	v_div_scale_f32 v18, s[4:5], v25, v25, v24
	v_div_scale_f32 v19, vcc, v24, v25, v24
	v_rcp_f32_e32 v22, v18
	v_fma_f32 v23, -v18, v22, 1.0
	v_fmac_f32_e32 v22, v23, v22
	v_mul_f32_e32 v23, v19, v22
	v_fma_f32 v29, -v18, v23, v19
	v_fmac_f32_e32 v23, v29, v22
	v_fma_f32 v18, -v18, v23, v19
	v_div_fmas_f32 v18, v18, v22, v23
	v_div_fixup_f32 v18, v18, v25, v24
	v_fmac_f32_e32 v25, v24, v18
	v_div_scale_f32 v19, s[4:5], v25, v25, 1.0
	v_div_scale_f32 v22, vcc, 1.0, v25, 1.0
	v_rcp_f32_e32 v23, v19
	v_fma_f32 v24, -v19, v23, 1.0
	v_fmac_f32_e32 v23, v24, v23
	v_mul_f32_e32 v24, v22, v23
	v_fma_f32 v29, -v19, v24, v22
	v_fmac_f32_e32 v24, v29, v23
	v_fma_f32 v19, -v19, v24, v22
	v_div_fmas_f32 v19, v19, v23, v24
	v_fma_f32 v22, v20, v18, v21
	v_fma_f32 v18, v21, v18, -v20
	v_div_fixup_f32 v19, v19, v25, 1.0
	v_mul_f32_e32 v30, v22, v19
	v_mul_f32_e32 v29, v18, v19
.LBB118_153:                            ;   in Loop: Header=BB118_114 Depth=1
	s_or_b64 exec, exec, s[2:3]
.LBB118_154:                            ;   in Loop: Header=BB118_114 Depth=1
	v_cmp_gt_f32_e32 vcc, 0, v14
	v_cndmask_b32_e64 v20, v14, -v14, vcc
	v_cmp_gt_f32_e32 vcc, 0, v15
	v_cndmask_b32_e64 v21, v15, -v15, vcc
	v_cmp_ge_f32_e64 s[2:3], v20, v21
	s_and_b64 vcc, exec, s[0:1]
	s_mov_b64 s[4:5], -1
                                        ; implicit-def: $vgpr18
                                        ; implicit-def: $vgpr19
	s_cbranch_vccnz .LBB118_164
; %bb.155:                              ;   in Loop: Header=BB118_114 Depth=1
                                        ; implicit-def: $vgpr18
                                        ; implicit-def: $vgpr22
	s_and_saveexec_b64 s[4:5], s[2:3]
	s_xor_b64 s[12:13], exec, s[4:5]
	s_cbranch_execz .LBB118_161
; %bb.156:                              ;   in Loop: Header=BB118_114 Depth=1
	v_cmp_neq_f32_e32 vcc, 0, v14
	v_cmp_neq_f32_e64 s[4:5], 0, v15
	s_or_b64 s[4:5], vcc, s[4:5]
                                        ; implicit-def: $vgpr18
                                        ; implicit-def: $vgpr22
	s_and_saveexec_b64 s[14:15], s[4:5]
	s_xor_b64 s[4:5], exec, s[14:15]
	s_cbranch_execz .LBB118_158
; %bb.157:                              ;   in Loop: Header=BB118_114 Depth=1
	v_div_scale_f32 v18, s[14:15], v14, v14, v15
	v_div_scale_f32 v19, vcc, v15, v14, v15
	v_rcp_f32_e32 v22, v18
	v_fma_f32 v23, -v18, v22, 1.0
	v_fmac_f32_e32 v22, v23, v22
	v_mul_f32_e32 v23, v19, v22
	v_fma_f32 v24, -v18, v23, v19
	v_fmac_f32_e32 v23, v24, v22
	v_fma_f32 v18, -v18, v23, v19
	v_div_fmas_f32 v18, v18, v22, v23
	v_div_fixup_f32 v18, v18, v14, v15
	v_fma_f32 v19, v15, v18, v14
	v_div_scale_f32 v22, s[14:15], v19, v19, 1.0
	v_div_scale_f32 v23, vcc, 1.0, v19, 1.0
	v_rcp_f32_e32 v24, v22
	v_fma_f32 v25, -v22, v24, 1.0
	v_fmac_f32_e32 v24, v25, v24
	v_mul_f32_e32 v25, v23, v24
	v_fma_f32 v31, -v22, v25, v23
	v_fmac_f32_e32 v25, v31, v24
	v_fma_f32 v22, -v22, v25, v23
	v_div_fmas_f32 v22, v22, v24, v25
	v_fma_f32 v23, v11, v18, v10
	v_fma_f32 v18, -v10, v18, v11
	v_div_fixup_f32 v19, v22, v19, 1.0
	v_mul_f32_e32 v22, v23, v19
	v_mul_f32_e32 v18, v18, v19
.LBB118_158:                            ;   in Loop: Header=BB118_114 Depth=1
	s_andn2_saveexec_b64 s[14:15], s[4:5]
	s_cbranch_execz .LBB118_160
; %bb.159:                              ;   in Loop: Header=BB118_114 Depth=1
	v_div_scale_f32 v18, s[4:5], v20, v20, v10
	v_div_scale_f32 v19, s[4:5], v21, v21, v11
	v_div_scale_f32 v22, vcc, v10, v20, v10
	v_div_scale_f32 v23, s[4:5], v11, v21, v11
	v_rcp_f32_e32 v24, v18
	v_rcp_f32_e32 v25, v19
	v_fma_f32 v31, -v18, v24, 1.0
	v_fmac_f32_e32 v24, v31, v24
	v_fma_f32 v32, -v19, v25, 1.0
	v_fmac_f32_e32 v25, v32, v25
	v_mul_f32_e32 v31, v22, v24
	v_mul_f32_e32 v32, v23, v25
	v_fma_f32 v33, -v18, v31, v22
	v_fma_f32 v34, -v19, v32, v23
	v_fmac_f32_e32 v31, v33, v24
	v_fmac_f32_e32 v32, v34, v25
	v_fma_f32 v18, -v18, v31, v22
	v_fma_f32 v19, -v19, v32, v23
	v_div_fmas_f32 v18, v18, v24, v31
	s_mov_b64 vcc, s[4:5]
	v_div_fmas_f32 v19, v19, v25, v32
	v_div_fixup_f32 v22, v18, v20, v10
	v_div_fixup_f32 v18, v19, v21, v11
.LBB118_160:                            ;   in Loop: Header=BB118_114 Depth=1
	s_or_b64 exec, exec, s[14:15]
.LBB118_161:                            ;   in Loop: Header=BB118_114 Depth=1
	s_andn2_saveexec_b64 s[4:5], s[12:13]
	s_cbranch_execz .LBB118_163
; %bb.162:                              ;   in Loop: Header=BB118_114 Depth=1
	v_div_scale_f32 v18, s[12:13], v15, v15, v14
	v_div_scale_f32 v19, vcc, v14, v15, v14
	v_rcp_f32_e32 v22, v18
	v_fma_f32 v23, -v18, v22, 1.0
	v_fmac_f32_e32 v22, v23, v22
	v_mul_f32_e32 v23, v19, v22
	v_fma_f32 v24, -v18, v23, v19
	v_fmac_f32_e32 v23, v24, v22
	v_fma_f32 v18, -v18, v23, v19
	v_div_fmas_f32 v18, v18, v22, v23
	v_div_fixup_f32 v18, v18, v15, v14
	v_fma_f32 v19, v14, v18, v15
	v_div_scale_f32 v22, s[12:13], v19, v19, 1.0
	v_div_scale_f32 v23, vcc, 1.0, v19, 1.0
	v_rcp_f32_e32 v24, v22
	v_fma_f32 v25, -v22, v24, 1.0
	v_fmac_f32_e32 v24, v25, v24
	v_mul_f32_e32 v25, v23, v24
	v_fma_f32 v31, -v22, v25, v23
	v_fmac_f32_e32 v25, v31, v24
	v_fma_f32 v22, -v22, v25, v23
	v_div_fmas_f32 v22, v22, v24, v25
	v_fma_f32 v23, v10, v18, v11
	v_fma_f32 v18, v11, v18, -v10
	v_div_fixup_f32 v19, v22, v19, 1.0
	v_mul_f32_e32 v22, v23, v19
	v_mul_f32_e32 v18, v18, v19
.LBB118_163:                            ;   in Loop: Header=BB118_114 Depth=1
	s_or_b64 exec, exec, s[4:5]
	v_mul_f32_e32 v19, s17, v18
	v_mul_f32_e32 v18, s16, v18
	v_fma_f32 v19, v22, s16, -v19
	v_fmac_f32_e32 v18, s17, v22
	s_mov_b64 s[4:5], 0
.LBB118_164:                            ;   in Loop: Header=BB118_114 Depth=1
	s_and_b64 vcc, exec, s[4:5]
	s_cbranch_vccz .LBB118_174
; %bb.165:                              ;   in Loop: Header=BB118_114 Depth=1
                                        ; implicit-def: $vgpr18
                                        ; implicit-def: $vgpr19
	s_and_saveexec_b64 s[4:5], s[2:3]
	s_xor_b64 s[4:5], exec, s[4:5]
	s_cbranch_execz .LBB118_171
; %bb.166:                              ;   in Loop: Header=BB118_114 Depth=1
	v_cmp_neq_f32_e32 vcc, 0, v14
	v_cmp_neq_f32_e64 s[2:3], 0, v15
	s_or_b64 s[2:3], vcc, s[2:3]
                                        ; implicit-def: $vgpr18
                                        ; implicit-def: $vgpr19
	s_and_saveexec_b64 s[12:13], s[2:3]
	s_xor_b64 s[2:3], exec, s[12:13]
	s_cbranch_execz .LBB118_168
; %bb.167:                              ;   in Loop: Header=BB118_114 Depth=1
	v_div_scale_f32 v18, s[12:13], v14, v14, v15
	v_div_scale_f32 v19, vcc, v15, v14, v15
	v_rcp_f32_e32 v20, v18
	v_fma_f32 v21, -v18, v20, 1.0
	v_fmac_f32_e32 v20, v21, v20
	v_mul_f32_e32 v21, v19, v20
	v_fma_f32 v22, -v18, v21, v19
	v_fmac_f32_e32 v21, v22, v20
	v_fma_f32 v18, -v18, v21, v19
	v_div_fmas_f32 v18, v18, v20, v21
	v_div_fixup_f32 v18, v18, v14, v15
	v_fma_f32 v19, v15, v18, v14
	v_div_scale_f32 v20, s[12:13], v19, v19, 1.0
	v_div_scale_f32 v21, vcc, 1.0, v19, 1.0
	v_rcp_f32_e32 v22, v20
	v_fma_f32 v23, -v20, v22, 1.0
	v_fmac_f32_e32 v22, v23, v22
	v_mul_f32_e32 v23, v21, v22
	v_fma_f32 v24, -v20, v23, v21
	v_fmac_f32_e32 v23, v24, v22
	v_fma_f32 v20, -v20, v23, v21
	v_div_fmas_f32 v20, v20, v22, v23
	v_fma_f32 v21, v11, v18, v10
	v_fma_f32 v18, -v10, v18, v11
	v_div_fixup_f32 v20, v20, v19, 1.0
	v_mul_f32_e32 v19, v21, v20
	v_mul_f32_e32 v18, v18, v20
                                        ; implicit-def: $vgpr20
                                        ; implicit-def: $vgpr21
.LBB118_168:                            ;   in Loop: Header=BB118_114 Depth=1
	s_andn2_saveexec_b64 s[12:13], s[2:3]
	s_cbranch_execz .LBB118_170
; %bb.169:                              ;   in Loop: Header=BB118_114 Depth=1
	v_div_scale_f32 v18, s[2:3], v20, v20, v10
	v_div_scale_f32 v19, s[2:3], v21, v21, v11
	v_div_scale_f32 v22, vcc, v10, v20, v10
	v_div_scale_f32 v23, s[2:3], v11, v21, v11
	v_rcp_f32_e32 v24, v18
	v_rcp_f32_e32 v25, v19
	v_fma_f32 v31, -v18, v24, 1.0
	v_fmac_f32_e32 v24, v31, v24
	v_fma_f32 v32, -v19, v25, 1.0
	v_fmac_f32_e32 v25, v32, v25
	v_mul_f32_e32 v31, v22, v24
	v_mul_f32_e32 v32, v23, v25
	v_fma_f32 v33, -v18, v31, v22
	v_fma_f32 v34, -v19, v32, v23
	v_fmac_f32_e32 v31, v33, v24
	v_fmac_f32_e32 v32, v34, v25
	v_fma_f32 v18, -v18, v31, v22
	v_fma_f32 v19, -v19, v32, v23
	v_div_fmas_f32 v18, v18, v24, v31
	s_mov_b64 vcc, s[2:3]
	v_div_fmas_f32 v22, v19, v25, v32
	v_div_fixup_f32 v19, v18, v20, v10
	v_div_fixup_f32 v18, v22, v21, v11
.LBB118_170:                            ;   in Loop: Header=BB118_114 Depth=1
	s_or_b64 exec, exec, s[12:13]
.LBB118_171:                            ;   in Loop: Header=BB118_114 Depth=1
	s_andn2_saveexec_b64 s[2:3], s[4:5]
	s_cbranch_execz .LBB118_173
; %bb.172:                              ;   in Loop: Header=BB118_114 Depth=1
	v_div_scale_f32 v18, s[4:5], v15, v15, v14
	v_div_scale_f32 v19, vcc, v14, v15, v14
	v_rcp_f32_e32 v20, v18
	v_fma_f32 v21, -v18, v20, 1.0
	v_fmac_f32_e32 v20, v21, v20
	v_mul_f32_e32 v21, v19, v20
	v_fma_f32 v22, -v18, v21, v19
	v_fmac_f32_e32 v21, v22, v20
	v_fma_f32 v18, -v18, v21, v19
	v_div_fmas_f32 v18, v18, v20, v21
	v_div_fixup_f32 v18, v18, v15, v14
	v_fma_f32 v14, v14, v18, v15
	v_div_scale_f32 v15, s[4:5], v14, v14, 1.0
	v_div_scale_f32 v19, vcc, 1.0, v14, 1.0
	v_rcp_f32_e32 v20, v15
	v_fma_f32 v21, -v15, v20, 1.0
	v_fmac_f32_e32 v20, v21, v20
	v_mul_f32_e32 v21, v19, v20
	v_fma_f32 v22, -v15, v21, v19
	v_fmac_f32_e32 v21, v22, v20
	v_fma_f32 v15, -v15, v21, v19
	v_div_fmas_f32 v15, v15, v20, v21
	v_fma_f32 v19, v10, v18, v11
	v_fma_f32 v10, v11, v18, -v10
	v_div_fixup_f32 v11, v15, v14, 1.0
	v_mul_f32_e32 v19, v19, v11
	v_mul_f32_e32 v18, v10, v11
.LBB118_173:                            ;   in Loop: Header=BB118_114 Depth=1
	s_or_b64 exec, exec, s[2:3]
.LBB118_174:                            ;   in Loop: Header=BB118_114 Depth=1
	v_cmp_gt_f32_e32 vcc, 0, v16
	v_cndmask_b32_e64 v14, v16, -v16, vcc
	v_cmp_gt_f32_e32 vcc, 0, v17
	v_cndmask_b32_e64 v10, v17, -v17, vcc
	v_cmp_ge_f32_e64 s[2:3], v14, v10
	s_and_b64 vcc, exec, s[0:1]
	s_mov_b64 s[0:1], -1
                                        ; implicit-def: $vgpr20
                                        ; implicit-def: $vgpr21
	s_cbranch_vccnz .LBB118_184
; %bb.175:                              ;   in Loop: Header=BB118_114 Depth=1
                                        ; implicit-def: $vgpr15
                                        ; implicit-def: $vgpr11
	s_and_saveexec_b64 s[0:1], s[2:3]
	s_xor_b64 s[4:5], exec, s[0:1]
	s_cbranch_execz .LBB118_181
; %bb.176:                              ;   in Loop: Header=BB118_114 Depth=1
	v_cmp_neq_f32_e32 vcc, 0, v16
	v_cmp_neq_f32_e64 s[0:1], 0, v17
	s_or_b64 s[0:1], vcc, s[0:1]
                                        ; implicit-def: $vgpr15
                                        ; implicit-def: $vgpr11
	s_and_saveexec_b64 s[12:13], s[0:1]
	s_xor_b64 s[0:1], exec, s[12:13]
	s_cbranch_execz .LBB118_178
; %bb.177:                              ;   in Loop: Header=BB118_114 Depth=1
	v_div_scale_f32 v11, s[12:13], v16, v16, v17
	v_div_scale_f32 v15, vcc, v17, v16, v17
	v_rcp_f32_e32 v20, v11
	v_fma_f32 v21, -v11, v20, 1.0
	v_fmac_f32_e32 v20, v21, v20
	v_mul_f32_e32 v21, v15, v20
	v_fma_f32 v22, -v11, v21, v15
	v_fmac_f32_e32 v21, v22, v20
	v_fma_f32 v11, -v11, v21, v15
	v_div_fmas_f32 v11, v11, v20, v21
	v_div_fixup_f32 v11, v11, v16, v17
	v_fma_f32 v15, v17, v11, v16
	v_div_scale_f32 v20, s[12:13], v15, v15, 1.0
	v_div_scale_f32 v21, vcc, 1.0, v15, 1.0
	v_rcp_f32_e32 v22, v20
	v_fma_f32 v23, -v20, v22, 1.0
	v_fmac_f32_e32 v22, v23, v22
	v_mul_f32_e32 v23, v21, v22
	v_fma_f32 v24, -v20, v23, v21
	v_fmac_f32_e32 v23, v24, v22
	v_fma_f32 v20, -v20, v23, v21
	v_div_fmas_f32 v20, v20, v22, v23
	v_fma_f32 v21, v13, v11, v12
	v_fma_f32 v22, -v12, v11, v13
	v_div_fixup_f32 v15, v20, v15, 1.0
	v_mul_f32_e32 v11, v21, v15
	v_mul_f32_e32 v15, v22, v15
.LBB118_178:                            ;   in Loop: Header=BB118_114 Depth=1
	s_andn2_saveexec_b64 s[12:13], s[0:1]
	s_cbranch_execz .LBB118_180
; %bb.179:                              ;   in Loop: Header=BB118_114 Depth=1
	v_div_scale_f32 v11, s[0:1], v14, v14, v12
	v_div_scale_f32 v15, s[0:1], v10, v10, v13
	v_div_scale_f32 v20, vcc, v12, v14, v12
	v_div_scale_f32 v21, s[0:1], v13, v10, v13
	v_rcp_f32_e32 v22, v11
	v_rcp_f32_e32 v23, v15
	v_fma_f32 v24, -v11, v22, 1.0
	v_fmac_f32_e32 v22, v24, v22
	v_fma_f32 v25, -v15, v23, 1.0
	v_fmac_f32_e32 v23, v25, v23
	v_mul_f32_e32 v24, v20, v22
	v_mul_f32_e32 v25, v21, v23
	v_fma_f32 v31, -v11, v24, v20
	v_fma_f32 v32, -v15, v25, v21
	v_fmac_f32_e32 v24, v31, v22
	v_fmac_f32_e32 v25, v32, v23
	v_fma_f32 v11, -v11, v24, v20
	v_fma_f32 v15, -v15, v25, v21
	v_div_fmas_f32 v11, v11, v22, v24
	s_mov_b64 vcc, s[0:1]
	v_div_fmas_f32 v15, v15, v23, v25
	v_div_fixup_f32 v11, v11, v14, v12
	v_div_fixup_f32 v15, v15, v10, v13
.LBB118_180:                            ;   in Loop: Header=BB118_114 Depth=1
	s_or_b64 exec, exec, s[12:13]
.LBB118_181:                            ;   in Loop: Header=BB118_114 Depth=1
	s_andn2_saveexec_b64 s[0:1], s[4:5]
	s_cbranch_execz .LBB118_183
; %bb.182:                              ;   in Loop: Header=BB118_114 Depth=1
	v_div_scale_f32 v11, s[4:5], v17, v17, v16
	v_div_scale_f32 v15, vcc, v16, v17, v16
	v_rcp_f32_e32 v20, v11
	v_fma_f32 v21, -v11, v20, 1.0
	v_fmac_f32_e32 v20, v21, v20
	v_mul_f32_e32 v21, v15, v20
	v_fma_f32 v22, -v11, v21, v15
	v_fmac_f32_e32 v21, v22, v20
	v_fma_f32 v11, -v11, v21, v15
	v_div_fmas_f32 v11, v11, v20, v21
	v_div_fixup_f32 v11, v11, v17, v16
	v_fma_f32 v15, v16, v11, v17
	v_div_scale_f32 v20, s[4:5], v15, v15, 1.0
	v_div_scale_f32 v21, vcc, 1.0, v15, 1.0
	v_rcp_f32_e32 v22, v20
	v_fma_f32 v23, -v20, v22, 1.0
	v_fmac_f32_e32 v22, v23, v22
	v_mul_f32_e32 v23, v21, v22
	v_fma_f32 v24, -v20, v23, v21
	v_fmac_f32_e32 v23, v24, v22
	v_fma_f32 v20, -v20, v23, v21
	v_div_fmas_f32 v20, v20, v22, v23
	v_fma_f32 v21, v12, v11, v13
	v_fma_f32 v22, v13, v11, -v12
	v_div_fixup_f32 v15, v20, v15, 1.0
	v_mul_f32_e32 v11, v21, v15
	v_mul_f32_e32 v15, v22, v15
.LBB118_183:                            ;   in Loop: Header=BB118_114 Depth=1
	s_or_b64 exec, exec, s[0:1]
	v_mul_f32_e32 v20, s17, v15
	v_fma_f32 v21, v11, s16, -v20
	v_mul_f32_e32 v20, s16, v15
	v_fmac_f32_e32 v20, s17, v11
	s_mov_b64 s[0:1], 0
.LBB118_184:                            ;   in Loop: Header=BB118_114 Depth=1
	s_and_b64 vcc, exec, s[0:1]
	s_cbranch_vccz .LBB118_113
; %bb.185:                              ;   in Loop: Header=BB118_114 Depth=1
                                        ; implicit-def: $vgpr20
                                        ; implicit-def: $vgpr21
	s_and_saveexec_b64 s[0:1], s[2:3]
	s_xor_b64 s[2:3], exec, s[0:1]
	s_cbranch_execz .LBB118_191
; %bb.186:                              ;   in Loop: Header=BB118_114 Depth=1
	v_cmp_neq_f32_e32 vcc, 0, v16
	v_cmp_neq_f32_e64 s[0:1], 0, v17
	s_or_b64 s[0:1], vcc, s[0:1]
                                        ; implicit-def: $vgpr20
                                        ; implicit-def: $vgpr21
	s_and_saveexec_b64 s[4:5], s[0:1]
	s_xor_b64 s[0:1], exec, s[4:5]
	s_cbranch_execz .LBB118_188
; %bb.187:                              ;   in Loop: Header=BB118_114 Depth=1
	v_div_scale_f32 v10, s[4:5], v16, v16, v17
	v_div_scale_f32 v11, vcc, v17, v16, v17
	v_rcp_f32_e32 v14, v10
	v_fma_f32 v15, -v10, v14, 1.0
	v_fmac_f32_e32 v14, v15, v14
	v_mul_f32_e32 v15, v11, v14
	v_fma_f32 v20, -v10, v15, v11
	v_fmac_f32_e32 v15, v20, v14
	v_fma_f32 v10, -v10, v15, v11
	v_div_fmas_f32 v10, v10, v14, v15
	v_div_fixup_f32 v10, v10, v16, v17
	v_fmac_f32_e32 v16, v17, v10
	v_div_scale_f32 v11, s[4:5], v16, v16, 1.0
	v_div_scale_f32 v14, vcc, 1.0, v16, 1.0
	v_rcp_f32_e32 v15, v11
	v_fma_f32 v17, -v11, v15, 1.0
	v_fmac_f32_e32 v15, v17, v15
	v_mul_f32_e32 v17, v14, v15
	v_fma_f32 v20, -v11, v17, v14
	v_fmac_f32_e32 v17, v20, v15
	v_fma_f32 v11, -v11, v17, v14
	v_div_fmas_f32 v11, v11, v15, v17
	v_fma_f32 v14, v13, v10, v12
	v_fma_f32 v10, -v12, v10, v13
	v_div_fixup_f32 v11, v11, v16, 1.0
	v_mul_f32_e32 v21, v14, v11
	v_mul_f32_e32 v20, v10, v11
                                        ; implicit-def: $vgpr10_vgpr11_vgpr12_vgpr13
                                        ; implicit-def: $vgpr14
                                        ; implicit-def: $vgpr10
.LBB118_188:                            ;   in Loop: Header=BB118_114 Depth=1
	s_andn2_saveexec_b64 s[4:5], s[0:1]
	s_cbranch_execz .LBB118_190
; %bb.189:                              ;   in Loop: Header=BB118_114 Depth=1
	v_div_scale_f32 v11, s[0:1], v14, v14, v12
	v_div_scale_f32 v15, s[0:1], v10, v10, v13
	v_div_scale_f32 v16, vcc, v12, v14, v12
	v_div_scale_f32 v17, s[0:1], v13, v10, v13
	v_rcp_f32_e32 v20, v11
	v_rcp_f32_e32 v21, v15
	v_fma_f32 v22, -v11, v20, 1.0
	v_fmac_f32_e32 v20, v22, v20
	v_fma_f32 v23, -v15, v21, 1.0
	v_fmac_f32_e32 v21, v23, v21
	v_mul_f32_e32 v22, v16, v20
	v_mul_f32_e32 v23, v17, v21
	v_fma_f32 v24, -v11, v22, v16
	v_fma_f32 v25, -v15, v23, v17
	v_fmac_f32_e32 v22, v24, v20
	v_fmac_f32_e32 v23, v25, v21
	v_fma_f32 v11, -v11, v22, v16
	v_fma_f32 v15, -v15, v23, v17
	v_div_fmas_f32 v11, v11, v20, v22
	s_mov_b64 vcc, s[0:1]
	v_div_fmas_f32 v15, v15, v21, v23
	v_div_fixup_f32 v21, v11, v14, v12
	v_div_fixup_f32 v20, v15, v10, v13
.LBB118_190:                            ;   in Loop: Header=BB118_114 Depth=1
	s_or_b64 exec, exec, s[4:5]
                                        ; implicit-def: $vgpr14_vgpr15_vgpr16_vgpr17
                                        ; implicit-def: $vgpr10_vgpr11_vgpr12_vgpr13
.LBB118_191:                            ;   in Loop: Header=BB118_114 Depth=1
	s_andn2_saveexec_b64 s[0:1], s[2:3]
	s_cbranch_execz .LBB118_112
; %bb.192:                              ;   in Loop: Header=BB118_114 Depth=1
	v_div_scale_f32 v10, s[2:3], v17, v17, v16
	v_div_scale_f32 v11, vcc, v16, v17, v16
	v_rcp_f32_e32 v14, v10
	v_fma_f32 v15, -v10, v14, 1.0
	v_fmac_f32_e32 v14, v15, v14
	v_mul_f32_e32 v15, v11, v14
	v_fma_f32 v20, -v10, v15, v11
	v_fmac_f32_e32 v15, v20, v14
	v_fma_f32 v10, -v10, v15, v11
	v_div_fmas_f32 v10, v10, v14, v15
	v_div_fixup_f32 v10, v10, v17, v16
	v_fmac_f32_e32 v17, v16, v10
	v_div_scale_f32 v11, s[2:3], v17, v17, 1.0
	v_div_scale_f32 v14, vcc, 1.0, v17, 1.0
	v_rcp_f32_e32 v15, v11
	v_fma_f32 v16, -v11, v15, 1.0
	v_fmac_f32_e32 v15, v16, v15
	v_mul_f32_e32 v16, v14, v15
	v_fma_f32 v20, -v11, v16, v14
	v_fmac_f32_e32 v16, v20, v15
	v_fma_f32 v11, -v11, v16, v14
	v_div_fmas_f32 v11, v11, v15, v16
	v_fma_f32 v14, v12, v10, v13
	v_fma_f32 v10, v13, v10, -v12
	v_div_fixup_f32 v11, v11, v17, 1.0
	v_mul_f32_e32 v21, v14, v11
	v_mul_f32_e32 v20, v10, v11
	s_branch .LBB118_112
.LBB118_193:
	s_endpgm
	.section	.rodata,"a",@progbits
	.p2align	6, 0x0
	.amdhsa_kernel _ZN2at6native12_GLOBAL__N_125multi_tensor_apply_kernelINS1_28TensorListScalarListMetadataIN3c107complexIfEELi4EEENS1_28PointwiseOpScalarListFunctorIS6_Li4ELi3ELi3EEEJSt7dividesIS6_EEEEvT_T0_DpT1_
		.amdhsa_group_segment_fixed_size 0
		.amdhsa_private_segment_fixed_size 0
		.amdhsa_kernarg_size 3592
		.amdhsa_user_sgpr_count 6
		.amdhsa_user_sgpr_private_segment_buffer 1
		.amdhsa_user_sgpr_dispatch_ptr 0
		.amdhsa_user_sgpr_queue_ptr 0
		.amdhsa_user_sgpr_kernarg_segment_ptr 1
		.amdhsa_user_sgpr_dispatch_id 0
		.amdhsa_user_sgpr_flat_scratch_init 0
		.amdhsa_user_sgpr_private_segment_size 0
		.amdhsa_uses_dynamic_stack 0
		.amdhsa_system_sgpr_private_segment_wavefront_offset 0
		.amdhsa_system_sgpr_workgroup_id_x 1
		.amdhsa_system_sgpr_workgroup_id_y 0
		.amdhsa_system_sgpr_workgroup_id_z 0
		.amdhsa_system_sgpr_workgroup_info 0
		.amdhsa_system_vgpr_workitem_id 0
		.amdhsa_next_free_vgpr 45
		.amdhsa_next_free_sgpr 45
		.amdhsa_reserve_vcc 1
		.amdhsa_reserve_flat_scratch 0
		.amdhsa_float_round_mode_32 0
		.amdhsa_float_round_mode_16_64 0
		.amdhsa_float_denorm_mode_32 3
		.amdhsa_float_denorm_mode_16_64 3
		.amdhsa_dx10_clamp 1
		.amdhsa_ieee_mode 1
		.amdhsa_fp16_overflow 0
		.amdhsa_exception_fp_ieee_invalid_op 0
		.amdhsa_exception_fp_denorm_src 0
		.amdhsa_exception_fp_ieee_div_zero 0
		.amdhsa_exception_fp_ieee_overflow 0
		.amdhsa_exception_fp_ieee_underflow 0
		.amdhsa_exception_fp_ieee_inexact 0
		.amdhsa_exception_int_div_zero 0
	.end_amdhsa_kernel
	.section	.text._ZN2at6native12_GLOBAL__N_125multi_tensor_apply_kernelINS1_28TensorListScalarListMetadataIN3c107complexIfEELi4EEENS1_28PointwiseOpScalarListFunctorIS6_Li4ELi3ELi3EEEJSt7dividesIS6_EEEEvT_T0_DpT1_,"axG",@progbits,_ZN2at6native12_GLOBAL__N_125multi_tensor_apply_kernelINS1_28TensorListScalarListMetadataIN3c107complexIfEELi4EEENS1_28PointwiseOpScalarListFunctorIS6_Li4ELi3ELi3EEEJSt7dividesIS6_EEEEvT_T0_DpT1_,comdat
.Lfunc_end118:
	.size	_ZN2at6native12_GLOBAL__N_125multi_tensor_apply_kernelINS1_28TensorListScalarListMetadataIN3c107complexIfEELi4EEENS1_28PointwiseOpScalarListFunctorIS6_Li4ELi3ELi3EEEJSt7dividesIS6_EEEEvT_T0_DpT1_, .Lfunc_end118-_ZN2at6native12_GLOBAL__N_125multi_tensor_apply_kernelINS1_28TensorListScalarListMetadataIN3c107complexIfEELi4EEENS1_28PointwiseOpScalarListFunctorIS6_Li4ELi3ELi3EEEJSt7dividesIS6_EEEEvT_T0_DpT1_
                                        ; -- End function
	.set _ZN2at6native12_GLOBAL__N_125multi_tensor_apply_kernelINS1_28TensorListScalarListMetadataIN3c107complexIfEELi4EEENS1_28PointwiseOpScalarListFunctorIS6_Li4ELi3ELi3EEEJSt7dividesIS6_EEEEvT_T0_DpT1_.num_vgpr, 45
	.set _ZN2at6native12_GLOBAL__N_125multi_tensor_apply_kernelINS1_28TensorListScalarListMetadataIN3c107complexIfEELi4EEENS1_28PointwiseOpScalarListFunctorIS6_Li4ELi3ELi3EEEJSt7dividesIS6_EEEEvT_T0_DpT1_.num_agpr, 0
	.set _ZN2at6native12_GLOBAL__N_125multi_tensor_apply_kernelINS1_28TensorListScalarListMetadataIN3c107complexIfEELi4EEENS1_28PointwiseOpScalarListFunctorIS6_Li4ELi3ELi3EEEJSt7dividesIS6_EEEEvT_T0_DpT1_.numbered_sgpr, 45
	.set _ZN2at6native12_GLOBAL__N_125multi_tensor_apply_kernelINS1_28TensorListScalarListMetadataIN3c107complexIfEELi4EEENS1_28PointwiseOpScalarListFunctorIS6_Li4ELi3ELi3EEEJSt7dividesIS6_EEEEvT_T0_DpT1_.num_named_barrier, 0
	.set _ZN2at6native12_GLOBAL__N_125multi_tensor_apply_kernelINS1_28TensorListScalarListMetadataIN3c107complexIfEELi4EEENS1_28PointwiseOpScalarListFunctorIS6_Li4ELi3ELi3EEEJSt7dividesIS6_EEEEvT_T0_DpT1_.private_seg_size, 0
	.set _ZN2at6native12_GLOBAL__N_125multi_tensor_apply_kernelINS1_28TensorListScalarListMetadataIN3c107complexIfEELi4EEENS1_28PointwiseOpScalarListFunctorIS6_Li4ELi3ELi3EEEJSt7dividesIS6_EEEEvT_T0_DpT1_.uses_vcc, 1
	.set _ZN2at6native12_GLOBAL__N_125multi_tensor_apply_kernelINS1_28TensorListScalarListMetadataIN3c107complexIfEELi4EEENS1_28PointwiseOpScalarListFunctorIS6_Li4ELi3ELi3EEEJSt7dividesIS6_EEEEvT_T0_DpT1_.uses_flat_scratch, 0
	.set _ZN2at6native12_GLOBAL__N_125multi_tensor_apply_kernelINS1_28TensorListScalarListMetadataIN3c107complexIfEELi4EEENS1_28PointwiseOpScalarListFunctorIS6_Li4ELi3ELi3EEEJSt7dividesIS6_EEEEvT_T0_DpT1_.has_dyn_sized_stack, 0
	.set _ZN2at6native12_GLOBAL__N_125multi_tensor_apply_kernelINS1_28TensorListScalarListMetadataIN3c107complexIfEELi4EEENS1_28PointwiseOpScalarListFunctorIS6_Li4ELi3ELi3EEEJSt7dividesIS6_EEEEvT_T0_DpT1_.has_recursion, 0
	.set _ZN2at6native12_GLOBAL__N_125multi_tensor_apply_kernelINS1_28TensorListScalarListMetadataIN3c107complexIfEELi4EEENS1_28PointwiseOpScalarListFunctorIS6_Li4ELi3ELi3EEEJSt7dividesIS6_EEEEvT_T0_DpT1_.has_indirect_call, 0
	.section	.AMDGPU.csdata,"",@progbits
; Kernel info:
; codeLenInByte = 11240
; TotalNumSgprs: 49
; NumVgprs: 45
; ScratchSize: 0
; MemoryBound: 1
; FloatMode: 240
; IeeeMode: 1
; LDSByteSize: 0 bytes/workgroup (compile time only)
; SGPRBlocks: 6
; VGPRBlocks: 11
; NumSGPRsForWavesPerEU: 49
; NumVGPRsForWavesPerEU: 45
; Occupancy: 5
; WaveLimiterHint : 1
; COMPUTE_PGM_RSRC2:SCRATCH_EN: 0
; COMPUTE_PGM_RSRC2:USER_SGPR: 6
; COMPUTE_PGM_RSRC2:TRAP_HANDLER: 0
; COMPUTE_PGM_RSRC2:TGID_X_EN: 1
; COMPUTE_PGM_RSRC2:TGID_Y_EN: 0
; COMPUTE_PGM_RSRC2:TGID_Z_EN: 0
; COMPUTE_PGM_RSRC2:TIDIG_COMP_CNT: 0
	.section	.text._ZN2at6native12_GLOBAL__N_125multi_tensor_apply_kernelINS1_28TensorListScalarListMetadataIfLi4EEENS1_28PointwiseOpScalarListFunctorIN3c104HalfELi4ELi3ELi3EEEJSt7dividesIfEEEEvT_T0_DpT1_,"axG",@progbits,_ZN2at6native12_GLOBAL__N_125multi_tensor_apply_kernelINS1_28TensorListScalarListMetadataIfLi4EEENS1_28PointwiseOpScalarListFunctorIN3c104HalfELi4ELi3ELi3EEEJSt7dividesIfEEEEvT_T0_DpT1_,comdat
	.globl	_ZN2at6native12_GLOBAL__N_125multi_tensor_apply_kernelINS1_28TensorListScalarListMetadataIfLi4EEENS1_28PointwiseOpScalarListFunctorIN3c104HalfELi4ELi3ELi3EEEJSt7dividesIfEEEEvT_T0_DpT1_ ; -- Begin function _ZN2at6native12_GLOBAL__N_125multi_tensor_apply_kernelINS1_28TensorListScalarListMetadataIfLi4EEENS1_28PointwiseOpScalarListFunctorIN3c104HalfELi4ELi3ELi3EEEJSt7dividesIfEEEEvT_T0_DpT1_
	.p2align	8
	.type	_ZN2at6native12_GLOBAL__N_125multi_tensor_apply_kernelINS1_28TensorListScalarListMetadataIfLi4EEENS1_28PointwiseOpScalarListFunctorIN3c104HalfELi4ELi3ELi3EEEJSt7dividesIfEEEEvT_T0_DpT1_,@function
_ZN2at6native12_GLOBAL__N_125multi_tensor_apply_kernelINS1_28TensorListScalarListMetadataIfLi4EEENS1_28PointwiseOpScalarListFunctorIN3c104HalfELi4ELi3ELi3EEEJSt7dividesIfEEEEvT_T0_DpT1_: ; @_ZN2at6native12_GLOBAL__N_125multi_tensor_apply_kernelINS1_28TensorListScalarListMetadataIfLi4EEENS1_28PointwiseOpScalarListFunctorIN3c104HalfELi4ELi3ELi3EEEJSt7dividesIfEEEEvT_T0_DpT1_
; %bb.0:
	v_mov_b32_e32 v1, s6
	global_load_ubyte v1, v1, s[4:5] offset:1584
	s_add_u32 s0, s4, s6
	s_mul_i32 s1, s6, 3
	s_addc_u32 s2, s5, 0
	s_mul_hi_u32 s3, s6, 3
	s_add_u32 s0, s0, s1
	s_addc_u32 s1, s2, s3
	s_load_dword s14, s[0:1], 0x770
	s_mov_b32 s1, 0
	s_mov_b32 s17, s1
	;; [unrolled: 1-line block ×3, first 2 shown]
	s_waitcnt lgkmcnt(0)
	s_ashr_i32 s15, s14, 31
	s_waitcnt vmcnt(0)
	v_readfirstlane_b32 s0, v1
	v_lshlrev_b32_e32 v1, 2, v1
	v_sub_co_u32_e32 v1, vcc, 0, v1
	s_lshl_b32 s0, s0, 3
	v_subb_co_u32_e64 v2, s[2:3], 0, 0, vcc
	s_load_dwordx2 s[20:21], s[4:5], s0 offset:0x480
	s_load_dwordx2 s[10:11], s[4:5], s0 offset:0x0
	;; [unrolled: 1-line block ×5, first 2 shown]
	s_add_u32 s0, s4, s0
	s_addc_u32 s16, s5, 0
	s_lshl_b64 s[12:13], s[14:15], 17
	s_waitcnt lgkmcnt(0)
	s_add_u32 s24, s10, s12
	v_add_co_u32_e32 v1, vcc, s0, v1
	s_addc_u32 s25, s11, s13
	s_and_b32 s0, s24, 7
	s_add_u32 s27, s8, s12
	v_mov_b32_e32 v3, s16
	s_addc_u32 s28, s9, s13
	s_and_b32 s16, s27, 7
	s_cmp_eq_u64 s[16:17], 0
	s_cselect_b64 s[16:17], -1, 0
	s_add_u32 s29, s6, s12
	s_addc_u32 s30, s7, s13
	s_add_u32 s31, s2, s12
	s_addc_u32 s33, s3, s13
	s_or_b32 s18, s31, s29
	v_addc_co_u32_e32 v2, vcc, v3, v2, vcc
	s_and_b32 s18, s18, 7
	v_readfirstlane_b32 s22, v1
	v_readfirstlane_b32 s23, v2
	s_cmp_eq_u32 s18, 0
	s_load_dword s26, s[22:23], 0x5a0
	s_cselect_b64 s[22:23], -1, 0
	s_lshl_b64 s[14:15], s[14:15], 16
	s_and_b64 s[16:17], s[22:23], s[16:17]
	s_sub_u32 s14, s20, s14
	s_subb_u32 s15, s21, s15
	s_and_b32 s18, s20, 3
	s_or_b64 s[0:1], s[0:1], s[18:19]
	s_cmp_eq_u64 s[0:1], 0
	s_cselect_b64 s[0:1], -1, 0
	s_and_b64 s[16:17], s[16:17], s[0:1]
	s_mov_b64 s[0:1], -1
	s_and_b64 vcc, exec, s[16:17]
	s_cbranch_vccnz .LBB119_29
; %bb.1:
	v_cmp_lt_i64_e64 s[0:1], s[14:15], 1
	s_and_b64 vcc, exec, s[0:1]
	s_cbranch_vccnz .LBB119_28
; %bb.2:
	v_mov_b32_e32 v1, 0x10000
	s_load_dword s18, s[4:5], 0xc84
	v_mov_b32_e32 v2, 0
	v_cmp_lt_i64_e32 vcc, s[14:15], v[1:2]
	v_mov_b32_e32 v24, 0
	s_and_b64 s[0:1], vcc, exec
	s_cselect_b32 s17, s15, 0
	s_cselect_b32 s16, s14, 0x10000
	s_waitcnt lgkmcnt(0)
	s_and_b32 s20, s18, 0xffff
	v_lshlrev_b32_e32 v23, 1, v0
	v_mad_u64_u32 v[7:8], s[0:1], s20, 6, v[23:24]
	v_cmp_lt_u64_e32 vcc, s[14:15], v[1:2]
	v_mov_b32_e32 v2, s11
	s_and_b64 s[0:1], vcc, exec
	v_add_co_u32_e32 v1, vcc, s10, v7
	v_addc_co_u32_e32 v2, vcc, v2, v8, vcc
	v_mov_b32_e32 v4, s9
	v_add_co_u32_e32 v3, vcc, s8, v7
	v_addc_co_u32_e32 v4, vcc, v4, v8, vcc
	v_mov_b32_e32 v6, s7
	;; [unrolled: 3-line block ×3, first 2 shown]
	v_add_co_u32_e32 v7, vcc, s2, v7
	s_cselect_b32 s19, s15, 0
	s_cselect_b32 s18, s14, 0x10000
	s_lshl_b32 s34, s20, 2
	v_addc_co_u32_e32 v8, vcc, v9, v8, vcc
	v_add_co_u32_e32 v15, vcc, s34, v23
	v_addc_co_u32_e64 v16, s[0:1], 0, 0, vcc
	v_mov_b32_e32 v10, s11
	v_add_co_u32_e32 v9, vcc, s10, v15
	v_addc_co_u32_e32 v10, vcc, v10, v16, vcc
	v_mov_b32_e32 v12, s9
	v_add_co_u32_e32 v11, vcc, s8, v15
	v_addc_co_u32_e32 v12, vcc, v12, v16, vcc
	v_mov_b32_e32 v14, s7
	v_add_co_u32_e32 v13, vcc, s6, v15
	v_addc_co_u32_e32 v14, vcc, v14, v16, vcc
	v_mov_b32_e32 v17, s3
	v_add_co_u32_e32 v15, vcc, s2, v15
	v_addc_co_u32_e32 v16, vcc, v17, v16, vcc
	v_mov_b32_e32 v18, s11
	v_add_co_u32_e32 v17, vcc, s10, v23
	v_addc_co_u32_e32 v18, vcc, 0, v18, vcc
	v_mov_b32_e32 v20, s9
	v_add_co_u32_e32 v19, vcc, s8, v23
	v_addc_co_u32_e32 v20, vcc, 0, v20, vcc
	v_mov_b32_e32 v22, s7
	v_add_co_u32_e32 v21, vcc, s6, v23
	v_addc_co_u32_e32 v22, vcc, 0, v22, vcc
	v_mov_b32_e32 v24, s3
	v_add_co_u32_e32 v23, vcc, s2, v23
	v_addc_co_u32_e32 v24, vcc, 0, v24, vcc
	v_add_co_u32_e32 v25, vcc, s20, v0
	v_lshlrev_b32_e32 v33, 1, v25
	s_lshl_b32 s22, s20, 1
	s_mul_i32 s23, s20, 3
	s_lshl_b32 s35, s20, 3
	v_addc_co_u32_e64 v26, s[20:21], 0, 0, vcc
	v_mov_b32_e32 v28, s11
	v_add_co_u32_e32 v27, vcc, s10, v33
	v_addc_co_u32_e32 v28, vcc, 0, v28, vcc
	v_mov_b32_e32 v30, s9
	v_add_co_u32_e32 v29, vcc, s8, v33
	v_addc_co_u32_e32 v30, vcc, 0, v30, vcc
	v_mov_b32_e32 v32, s7
	v_add_co_u32_e32 v31, vcc, s6, v33
	v_addc_co_u32_e32 v32, vcc, 0, v32, vcc
	v_mov_b32_e32 v34, s3
	v_add_co_u32_e32 v33, vcc, s2, v33
	v_addc_co_u32_e32 v34, vcc, 0, v34, vcc
	v_add_co_u32_e32 v35, vcc, s23, v0
	v_addc_co_u32_e64 v36, s[2:3], 0, 0, vcc
	v_add_co_u32_e32 v37, vcc, s22, v0
	v_cmp_eq_f32_e64 s[0:1], s26, 1.0
	s_mov_b64 s[20:21], 0
	v_addc_co_u32_e64 v38, s[2:3], 0, 0, vcc
	s_branch .LBB119_4
.LBB119_3:                              ;   in Loop: Header=BB119_4 Depth=1
	s_or_b64 exec, exec, s[2:3]
	v_add_co_u32_e32 v17, vcc, s35, v17
	v_addc_co_u32_e32 v18, vcc, 0, v18, vcc
	v_add_co_u32_e32 v19, vcc, s35, v19
	v_addc_co_u32_e32 v20, vcc, 0, v20, vcc
	;; [unrolled: 2-line block ×14, first 2 shown]
	s_add_u32 s20, s20, s34
	v_add_co_u32_e32 v31, vcc, s35, v31
	v_mov_b32_e32 v40, s17
	s_addc_u32 s21, s21, 0
	v_addc_co_u32_e32 v32, vcc, 0, v32, vcc
	v_mov_b32_e32 v39, s16
	v_cmp_lt_i64_e32 vcc, s[20:21], v[39:40]
	v_add_co_u32_e64 v33, s[2:3], s35, v33
	v_addc_co_u32_e64 v34, s[2:3], 0, v34, s[2:3]
	s_cbranch_vccz .LBB119_28
.LBB119_4:                              ; =>This Inner Loop Header: Depth=1
	v_mov_b32_e32 v40, s21
	v_add_co_u32_e32 v39, vcc, s20, v0
	v_addc_co_u32_e32 v40, vcc, 0, v40, vcc
	v_cmp_gt_u64_e32 vcc, s[18:19], v[39:40]
	v_mov_b32_e32 v41, 0
	v_mov_b32_e32 v40, 0
	s_and_saveexec_b64 s[6:7], vcc
	s_cbranch_execz .LBB119_6
; %bb.5:                                ;   in Loop: Header=BB119_4 Depth=1
	v_mov_b32_e32 v42, s13
	v_add_co_u32_e64 v39, s[2:3], s12, v19
	v_addc_co_u32_e64 v40, s[2:3], v20, v42, s[2:3]
	v_add_co_u32_e64 v41, s[2:3], s12, v17
	v_addc_co_u32_e64 v42, s[2:3], v18, v42, s[2:3]
	global_load_ushort v43, v[41:42], off
	global_load_ushort v44, v[39:40], off
	s_waitcnt vmcnt(1)
	v_cvt_f32_f16_e32 v40, v43
	s_waitcnt vmcnt(0)
	v_cvt_f32_f16_e32 v41, v44
.LBB119_6:                              ;   in Loop: Header=BB119_4 Depth=1
	s_or_b64 exec, exec, s[6:7]
	v_mov_b32_e32 v39, 0
	v_mov_b32_e32 v45, 0
	s_and_saveexec_b64 s[6:7], vcc
	s_cbranch_execz .LBB119_8
; %bb.7:                                ;   in Loop: Header=BB119_4 Depth=1
	v_mov_b32_e32 v43, s13
	v_add_co_u32_e64 v42, s[2:3], s12, v21
	v_addc_co_u32_e64 v43, s[2:3], v22, v43, s[2:3]
	global_load_ushort v42, v[42:43], off
	s_waitcnt vmcnt(0)
	v_cvt_f32_f16_e32 v45, v42
.LBB119_8:                              ;   in Loop: Header=BB119_4 Depth=1
	s_or_b64 exec, exec, s[6:7]
	v_mov_b32_e32 v43, s21
	v_add_co_u32_e64 v42, s[2:3], s20, v25
	v_addc_co_u32_e64 v43, s[2:3], v26, v43, s[2:3]
	v_cmp_gt_u64_e64 s[2:3], s[18:19], v[42:43]
	v_mov_b32_e32 v43, 0
	s_and_saveexec_b64 s[8:9], s[2:3]
	s_cbranch_execz .LBB119_10
; %bb.9:                                ;   in Loop: Header=BB119_4 Depth=1
	v_mov_b32_e32 v39, s13
	v_add_co_u32_e64 v42, s[6:7], s12, v29
	v_addc_co_u32_e64 v43, s[6:7], v30, v39, s[6:7]
	v_add_co_u32_e64 v46, s[6:7], s12, v27
	v_addc_co_u32_e64 v47, s[6:7], v28, v39, s[6:7]
	global_load_ushort v39, v[46:47], off
	global_load_ushort v44, v[42:43], off
	s_waitcnt vmcnt(1)
	v_cvt_f32_f16_e32 v43, v39
	s_waitcnt vmcnt(0)
	v_cvt_f32_f16_e32 v39, v44
.LBB119_10:                             ;   in Loop: Header=BB119_4 Depth=1
	s_or_b64 exec, exec, s[8:9]
	v_mov_b32_e32 v42, 0
	v_mov_b32_e32 v47, 0
	s_and_saveexec_b64 s[8:9], s[2:3]
	s_cbranch_execz .LBB119_12
; %bb.11:                               ;   in Loop: Header=BB119_4 Depth=1
	v_mov_b32_e32 v44, s13
	v_add_co_u32_e64 v46, s[6:7], s12, v31
	v_addc_co_u32_e64 v47, s[6:7], v32, v44, s[6:7]
	global_load_ushort v44, v[46:47], off
	s_waitcnt vmcnt(0)
	v_cvt_f32_f16_e32 v47, v44
.LBB119_12:                             ;   in Loop: Header=BB119_4 Depth=1
	s_or_b64 exec, exec, s[8:9]
	v_mov_b32_e32 v44, s21
	v_add_co_u32_e64 v48, s[6:7], s20, v37
	v_addc_co_u32_e64 v49, s[6:7], v38, v44, s[6:7]
	v_cmp_gt_u64_e64 s[6:7], s[18:19], v[48:49]
	v_mov_b32_e32 v46, 0
	s_and_saveexec_b64 s[10:11], s[6:7]
	s_cbranch_execz .LBB119_14
; %bb.13:                               ;   in Loop: Header=BB119_4 Depth=1
	v_mov_b32_e32 v42, s13
	v_add_co_u32_e64 v48, s[8:9], s12, v11
	v_addc_co_u32_e64 v49, s[8:9], v12, v42, s[8:9]
	v_add_co_u32_e64 v50, s[8:9], s12, v9
	v_addc_co_u32_e64 v51, s[8:9], v10, v42, s[8:9]
	global_load_ushort v42, v[50:51], off
	global_load_ushort v44, v[48:49], off
	s_waitcnt vmcnt(1)
	v_cvt_f32_f16_e32 v46, v42
	s_waitcnt vmcnt(0)
	v_cvt_f32_f16_e32 v42, v44
.LBB119_14:                             ;   in Loop: Header=BB119_4 Depth=1
	s_or_b64 exec, exec, s[10:11]
	v_mov_b32_e32 v44, 0
	v_mov_b32_e32 v49, 0
	s_and_saveexec_b64 s[10:11], s[6:7]
	s_cbranch_execz .LBB119_16
; %bb.15:                               ;   in Loop: Header=BB119_4 Depth=1
	v_mov_b32_e32 v49, s13
	v_add_co_u32_e64 v48, s[8:9], s12, v13
	v_addc_co_u32_e64 v49, s[8:9], v14, v49, s[8:9]
	global_load_ushort v48, v[48:49], off
	s_waitcnt vmcnt(0)
	v_cvt_f32_f16_e32 v49, v48
.LBB119_16:                             ;   in Loop: Header=BB119_4 Depth=1
	s_or_b64 exec, exec, s[10:11]
	v_mov_b32_e32 v48, s21
	v_add_co_u32_e64 v50, s[8:9], s20, v35
	v_addc_co_u32_e64 v51, s[8:9], v36, v48, s[8:9]
	v_cmp_gt_u64_e64 s[8:9], s[18:19], v[50:51]
	v_mov_b32_e32 v48, 0
	s_and_saveexec_b64 s[22:23], s[8:9]
	s_cbranch_execnz .LBB119_22
; %bb.17:                               ;   in Loop: Header=BB119_4 Depth=1
	s_or_b64 exec, exec, s[22:23]
	v_mov_b32_e32 v50, 0
	s_and_saveexec_b64 s[22:23], s[8:9]
	s_cbranch_execnz .LBB119_23
.LBB119_18:                             ;   in Loop: Header=BB119_4 Depth=1
	s_or_b64 exec, exec, s[22:23]
	s_and_saveexec_b64 s[10:11], vcc
	s_cbranch_execnz .LBB119_24
.LBB119_19:                             ;   in Loop: Header=BB119_4 Depth=1
	s_or_b64 exec, exec, s[10:11]
	s_and_saveexec_b64 s[10:11], s[2:3]
	s_cbranch_execnz .LBB119_25
.LBB119_20:                             ;   in Loop: Header=BB119_4 Depth=1
	s_or_b64 exec, exec, s[10:11]
	s_and_saveexec_b64 s[2:3], s[6:7]
	s_cbranch_execnz .LBB119_26
.LBB119_21:                             ;   in Loop: Header=BB119_4 Depth=1
	s_or_b64 exec, exec, s[2:3]
	s_and_saveexec_b64 s[2:3], s[8:9]
	s_cbranch_execz .LBB119_3
	s_branch .LBB119_27
.LBB119_22:                             ;   in Loop: Header=BB119_4 Depth=1
	v_mov_b32_e32 v44, s13
	v_add_co_u32_e64 v50, s[10:11], s12, v3
	v_addc_co_u32_e64 v51, s[10:11], v4, v44, s[10:11]
	v_add_co_u32_e64 v52, s[10:11], s12, v1
	v_addc_co_u32_e64 v53, s[10:11], v2, v44, s[10:11]
	global_load_ushort v44, v[52:53], off
	global_load_ushort v54, v[50:51], off
	s_waitcnt vmcnt(1)
	v_cvt_f32_f16_e32 v48, v44
	s_waitcnt vmcnt(0)
	v_cvt_f32_f16_e32 v44, v54
	s_or_b64 exec, exec, s[22:23]
	v_mov_b32_e32 v50, 0
	s_and_saveexec_b64 s[22:23], s[8:9]
	s_cbranch_execz .LBB119_18
.LBB119_23:                             ;   in Loop: Header=BB119_4 Depth=1
	v_mov_b32_e32 v51, s13
	v_add_co_u32_e64 v50, s[10:11], s12, v5
	v_addc_co_u32_e64 v51, s[10:11], v6, v51, s[10:11]
	global_load_ushort v50, v[50:51], off
	s_waitcnt vmcnt(0)
	v_cvt_f32_f16_e32 v50, v50
	s_or_b64 exec, exec, s[22:23]
	s_and_saveexec_b64 s[10:11], vcc
	s_cbranch_execz .LBB119_19
.LBB119_24:                             ;   in Loop: Header=BB119_4 Depth=1
	v_div_scale_f32 v51, s[22:23], v45, v45, v41
	v_div_scale_f32 v52, vcc, v41, v45, v41
	v_rcp_f32_e32 v53, v51
	v_fma_f32 v54, -v51, v53, 1.0
	v_fmac_f32_e32 v53, v54, v53
	v_mul_f32_e32 v54, v52, v53
	v_fma_f32 v55, -v51, v54, v52
	v_fmac_f32_e32 v54, v55, v53
	v_fma_f32 v51, -v51, v54, v52
	v_div_fmas_f32 v51, v51, v53, v54
	v_mov_b32_e32 v52, s13
	v_div_fixup_f32 v41, v51, v45, v41
	v_add_f32_e32 v45, v40, v41
	v_fmac_f32_e32 v40, s26, v41
	v_cndmask_b32_e64 v40, v40, v45, s[0:1]
	v_cvt_f16_f32_e32 v45, v40
	v_add_co_u32_e32 v40, vcc, s12, v23
	v_addc_co_u32_e32 v41, vcc, v24, v52, vcc
	global_store_short v[40:41], v45, off
	s_or_b64 exec, exec, s[10:11]
	s_and_saveexec_b64 s[10:11], s[2:3]
	s_cbranch_execz .LBB119_20
.LBB119_25:                             ;   in Loop: Header=BB119_4 Depth=1
	v_div_scale_f32 v40, s[2:3], v47, v47, v39
	v_div_scale_f32 v41, vcc, v39, v47, v39
	v_rcp_f32_e32 v45, v40
	v_fma_f32 v51, -v40, v45, 1.0
	v_fmac_f32_e32 v45, v51, v45
	v_mul_f32_e32 v51, v41, v45
	v_fma_f32 v52, -v40, v51, v41
	v_fmac_f32_e32 v51, v52, v45
	v_fma_f32 v40, -v40, v51, v41
	v_div_fmas_f32 v40, v40, v45, v51
	v_mov_b32_e32 v41, s13
	v_div_fixup_f32 v39, v40, v47, v39
	v_add_f32_e32 v40, v43, v39
	v_fmac_f32_e32 v43, s26, v39
	v_cndmask_b32_e64 v39, v43, v40, s[0:1]
	v_cvt_f16_f32_e32 v43, v39
	v_add_co_u32_e32 v39, vcc, s12, v33
	v_addc_co_u32_e32 v40, vcc, v34, v41, vcc
	global_store_short v[39:40], v43, off
	s_or_b64 exec, exec, s[10:11]
	s_and_saveexec_b64 s[2:3], s[6:7]
	s_cbranch_execz .LBB119_21
.LBB119_26:                             ;   in Loop: Header=BB119_4 Depth=1
	v_div_scale_f32 v39, s[6:7], v49, v49, v42
	v_div_scale_f32 v40, vcc, v42, v49, v42
	v_rcp_f32_e32 v41, v39
	v_fma_f32 v43, -v39, v41, 1.0
	v_fmac_f32_e32 v41, v43, v41
	v_mul_f32_e32 v43, v40, v41
	v_fma_f32 v45, -v39, v43, v40
	v_fmac_f32_e32 v43, v45, v41
	v_fma_f32 v39, -v39, v43, v40
	v_div_fmas_f32 v39, v39, v41, v43
	v_mov_b32_e32 v40, s13
	v_div_fixup_f32 v39, v39, v49, v42
	v_add_f32_e32 v41, v46, v39
	v_fmac_f32_e32 v46, s26, v39
	v_cndmask_b32_e64 v39, v46, v41, s[0:1]
	v_cvt_f16_f32_e32 v41, v39
	v_add_co_u32_e32 v39, vcc, s12, v15
	v_addc_co_u32_e32 v40, vcc, v16, v40, vcc
	global_store_short v[39:40], v41, off
	s_or_b64 exec, exec, s[2:3]
	s_and_saveexec_b64 s[2:3], s[8:9]
	s_cbranch_execz .LBB119_3
.LBB119_27:                             ;   in Loop: Header=BB119_4 Depth=1
	v_div_scale_f32 v39, s[6:7], v50, v50, v44
	v_div_scale_f32 v40, vcc, v44, v50, v44
	v_rcp_f32_e32 v41, v39
	v_fma_f32 v42, -v39, v41, 1.0
	v_fmac_f32_e32 v41, v42, v41
	v_mul_f32_e32 v42, v40, v41
	v_fma_f32 v43, -v39, v42, v40
	v_fmac_f32_e32 v42, v43, v41
	v_fma_f32 v39, -v39, v42, v40
	v_div_fmas_f32 v39, v39, v41, v42
	v_mov_b32_e32 v40, s13
	v_div_fixup_f32 v39, v39, v50, v44
	v_add_f32_e32 v41, v48, v39
	v_fmac_f32_e32 v48, s26, v39
	v_cndmask_b32_e64 v39, v48, v41, s[0:1]
	v_cvt_f16_f32_e32 v41, v39
	v_add_co_u32_e32 v39, vcc, s12, v7
	v_addc_co_u32_e32 v40, vcc, v8, v40, vcc
	global_store_short v[39:40], v41, off
	s_branch .LBB119_3
.LBB119_28:
	s_mov_b64 s[0:1], 0
.LBB119_29:
	s_andn2_b64 vcc, exec, s[0:1]
	s_cbranch_vccnz .LBB119_33
; %bb.30:
	v_mov_b32_e32 v1, 0x10000
	v_mov_b32_e32 v2, 0
	v_cmp_lt_i64_e32 vcc, s[14:15], v[1:2]
	v_mov_b32_e32 v2, 0
	s_and_b64 s[0:1], vcc, exec
	s_cselect_b32 s11, s15, 0
	s_cselect_b32 s10, s14, 0x10000
	v_lshlrev_b32_e32 v1, 2, v0
	v_cmp_gt_i64_e32 vcc, s[10:11], v[1:2]
	s_and_saveexec_b64 s[0:1], vcc
	s_cbranch_execz .LBB119_33
; %bb.31:
	s_load_dword s2, s[4:5], 0xc84
	v_mov_b32_e32 v1, v2
	s_waitcnt lgkmcnt(0)
	v_cmp_eq_f32_e64 s[0:1], s26, 1.0
	s_mov_b32 s14, s26
	v_lshlrev_b32_e32 v2, 3, v0
	s_and_b32 s15, s2, 0xffff
	s_lshl_b32 s16, s15, 3
	s_mov_b64 s[12:13], 0
.LBB119_32:                             ; =>This Inner Loop Header: Depth=1
	v_mov_b32_e32 v4, s25
	v_add_co_u32_e32 v3, vcc, s24, v2
	v_mov_b32_e32 v6, s28
	v_add_co_u32_e64 v5, s[2:3], s27, v2
	v_mov_b32_e32 v8, s30
	v_add_co_u32_e64 v7, s[4:5], s29, v2
	v_addc_co_u32_e32 v4, vcc, 0, v4, vcc
	v_addc_co_u32_e64 v6, vcc, 0, v6, s[2:3]
	v_addc_co_u32_e64 v8, vcc, 0, v8, s[4:5]
	global_load_dwordx2 v[13:14], v[5:6], off
	global_load_dwordx2 v[15:16], v[7:8], off
	global_load_dwordx2 v[17:18], v[3:4], off
	v_mov_b32_e32 v10, s33
	v_add_co_u32_e64 v9, s[6:7], s31, v2
	v_addc_co_u32_e64 v10, vcc, 0, v10, s[6:7]
	v_add_co_u32_e64 v0, s[8:9], s15, v0
	v_addc_co_u32_e64 v1, s[8:9], 0, v1, s[8:9]
	v_lshlrev_b64 v[11:12], 2, v[0:1]
	s_add_u32 s24, s24, s16
	v_cmp_le_i64_e64 s[2:3], s[10:11], v[11:12]
	s_addc_u32 s25, s25, 0
	s_add_u32 s27, s27, s16
	s_addc_u32 s28, s28, 0
	s_add_u32 s29, s29, s16
	;; [unrolled: 2-line block ×3, first 2 shown]
	s_addc_u32 s33, s33, 0
	s_or_b64 s[12:13], s[2:3], s[12:13]
	s_waitcnt vmcnt(2)
	v_cvt_f32_f16_e32 v4, v13
	s_waitcnt vmcnt(1)
	v_cvt_f32_f16_e32 v5, v15
	v_cvt_f32_f16_sdwa v7, v14 dst_sel:DWORD dst_unused:UNUSED_PAD src0_sel:WORD_1
	v_cvt_f32_f16_sdwa v8, v16 dst_sel:DWORD dst_unused:UNUSED_PAD src0_sel:WORD_1
	v_cvt_f32_f16_e32 v14, v14
	v_cvt_f32_f16_e32 v16, v16
	v_cvt_f32_f16_sdwa v13, v13 dst_sel:DWORD dst_unused:UNUSED_PAD src0_sel:WORD_1
	v_cvt_f32_f16_sdwa v15, v15 dst_sel:DWORD dst_unused:UNUSED_PAD src0_sel:WORD_1
	v_div_scale_f32 v19, s[4:5], v5, v5, v4
	v_div_scale_f32 v20, s[4:5], v8, v8, v7
	;; [unrolled: 1-line block ×4, first 2 shown]
	v_div_scale_f32 v23, vcc, v4, v5, v4
	v_div_scale_f32 v24, s[4:5], v7, v8, v7
	v_div_scale_f32 v25, s[6:7], v14, v16, v14
	;; [unrolled: 1-line block ×3, first 2 shown]
	v_rcp_f32_e32 v27, v19
	s_waitcnt vmcnt(0)
	v_cvt_f32_f16_e32 v3, v17
	v_rcp_f32_e32 v28, v20
	v_cvt_f32_f16_sdwa v6, v18 dst_sel:DWORD dst_unused:UNUSED_PAD src0_sel:WORD_1
	v_rcp_f32_e32 v29, v21
	v_fma_f32 v31, -v19, v27, 1.0
	v_rcp_f32_e32 v30, v22
	v_fma_f32 v32, -v20, v28, 1.0
	v_fmac_f32_e32 v27, v31, v27
	v_fma_f32 v33, -v21, v29, 1.0
	v_fmac_f32_e32 v28, v32, v28
	v_mul_f32_e32 v31, v23, v27
	v_fma_f32 v34, -v22, v30, 1.0
	v_fmac_f32_e32 v29, v33, v29
	v_mul_f32_e32 v32, v24, v28
	v_fma_f32 v35, -v19, v31, v23
	v_fmac_f32_e32 v30, v34, v30
	v_mul_f32_e32 v33, v25, v29
	v_fma_f32 v36, -v20, v32, v24
	;; [unrolled: 3-line block ×3, first 2 shown]
	v_fmac_f32_e32 v32, v36, v28
	v_fma_f32 v19, -v19, v31, v23
	v_fma_f32 v38, -v22, v34, v26
	v_fmac_f32_e32 v33, v37, v29
	v_fma_f32 v20, -v20, v32, v24
	v_div_fmas_f32 v19, v19, v27, v31
	s_mov_b64 vcc, s[4:5]
	v_fmac_f32_e32 v34, v38, v30
	v_fma_f32 v21, -v21, v33, v25
	v_div_fmas_f32 v20, v20, v28, v32
	s_mov_b64 vcc, s[6:7]
	v_fma_f32 v22, -v22, v34, v26
	v_div_fmas_f32 v21, v21, v29, v33
	s_mov_b64 vcc, s[8:9]
	v_div_fmas_f32 v22, v22, v30, v34
	v_cvt_f32_f16_e32 v11, v18
	v_cvt_f32_f16_sdwa v12, v17 dst_sel:DWORD dst_unused:UNUSED_PAD src0_sel:WORD_1
	v_div_fixup_f32 v4, v19, v5, v4
	v_add_f32_e32 v3, v4, v3
	v_fma_mix_f32 v4, s26, v4, v17 op_sel_hi:[0,0,1]
	v_cndmask_b32_e64 v3, v4, v3, s[0:1]
	v_div_fixup_f32 v5, v20, v8, v7
	v_add_f32_e32 v4, v5, v6
	v_fma_mix_f32 v5, s26, v5, v18 op_sel:[0,0,1] op_sel_hi:[0,0,1]
	v_div_fixup_f32 v6, v21, v16, v14
	v_cndmask_b32_e64 v4, v5, v4, s[0:1]
	v_div_fixup_f32 v5, v22, v15, v13
	v_add_f32_e32 v7, v6, v11
	v_fma_mix_f32 v6, s14, v6, v18 op_sel_hi:[0,0,1]
	v_add_f32_e32 v8, v5, v12
	v_fma_mix_f32 v5, s26, v5, v17 op_sel:[0,0,1] op_sel_hi:[0,0,1]
	v_cndmask_b32_e64 v6, v6, v7, s[0:1]
	v_cndmask_b32_e64 v5, v5, v8, s[0:1]
	v_cvt_f16_f32_e32 v3, v3
	v_cvt_f16_f32_e32 v4, v4
	;; [unrolled: 1-line block ×4, first 2 shown]
	v_pack_b32_f16 v4, v6, v4
	v_pack_b32_f16 v3, v3, v5
	global_store_dwordx2 v[9:10], v[3:4], off
	s_andn2_b64 exec, exec, s[12:13]
	s_cbranch_execnz .LBB119_32
.LBB119_33:
	s_endpgm
	.section	.rodata,"a",@progbits
	.p2align	6, 0x0
	.amdhsa_kernel _ZN2at6native12_GLOBAL__N_125multi_tensor_apply_kernelINS1_28TensorListScalarListMetadataIfLi4EEENS1_28PointwiseOpScalarListFunctorIN3c104HalfELi4ELi3ELi3EEEJSt7dividesIfEEEEvT_T0_DpT1_
		.amdhsa_group_segment_fixed_size 0
		.amdhsa_private_segment_fixed_size 0
		.amdhsa_kernarg_size 3448
		.amdhsa_user_sgpr_count 6
		.amdhsa_user_sgpr_private_segment_buffer 1
		.amdhsa_user_sgpr_dispatch_ptr 0
		.amdhsa_user_sgpr_queue_ptr 0
		.amdhsa_user_sgpr_kernarg_segment_ptr 1
		.amdhsa_user_sgpr_dispatch_id 0
		.amdhsa_user_sgpr_flat_scratch_init 0
		.amdhsa_user_sgpr_private_segment_size 0
		.amdhsa_uses_dynamic_stack 0
		.amdhsa_system_sgpr_private_segment_wavefront_offset 0
		.amdhsa_system_sgpr_workgroup_id_x 1
		.amdhsa_system_sgpr_workgroup_id_y 0
		.amdhsa_system_sgpr_workgroup_id_z 0
		.amdhsa_system_sgpr_workgroup_info 0
		.amdhsa_system_vgpr_workitem_id 0
		.amdhsa_next_free_vgpr 56
		.amdhsa_next_free_sgpr 36
		.amdhsa_reserve_vcc 1
		.amdhsa_reserve_flat_scratch 0
		.amdhsa_float_round_mode_32 0
		.amdhsa_float_round_mode_16_64 0
		.amdhsa_float_denorm_mode_32 3
		.amdhsa_float_denorm_mode_16_64 3
		.amdhsa_dx10_clamp 1
		.amdhsa_ieee_mode 1
		.amdhsa_fp16_overflow 0
		.amdhsa_exception_fp_ieee_invalid_op 0
		.amdhsa_exception_fp_denorm_src 0
		.amdhsa_exception_fp_ieee_div_zero 0
		.amdhsa_exception_fp_ieee_overflow 0
		.amdhsa_exception_fp_ieee_underflow 0
		.amdhsa_exception_fp_ieee_inexact 0
		.amdhsa_exception_int_div_zero 0
	.end_amdhsa_kernel
	.section	.text._ZN2at6native12_GLOBAL__N_125multi_tensor_apply_kernelINS1_28TensorListScalarListMetadataIfLi4EEENS1_28PointwiseOpScalarListFunctorIN3c104HalfELi4ELi3ELi3EEEJSt7dividesIfEEEEvT_T0_DpT1_,"axG",@progbits,_ZN2at6native12_GLOBAL__N_125multi_tensor_apply_kernelINS1_28TensorListScalarListMetadataIfLi4EEENS1_28PointwiseOpScalarListFunctorIN3c104HalfELi4ELi3ELi3EEEJSt7dividesIfEEEEvT_T0_DpT1_,comdat
.Lfunc_end119:
	.size	_ZN2at6native12_GLOBAL__N_125multi_tensor_apply_kernelINS1_28TensorListScalarListMetadataIfLi4EEENS1_28PointwiseOpScalarListFunctorIN3c104HalfELi4ELi3ELi3EEEJSt7dividesIfEEEEvT_T0_DpT1_, .Lfunc_end119-_ZN2at6native12_GLOBAL__N_125multi_tensor_apply_kernelINS1_28TensorListScalarListMetadataIfLi4EEENS1_28PointwiseOpScalarListFunctorIN3c104HalfELi4ELi3ELi3EEEJSt7dividesIfEEEEvT_T0_DpT1_
                                        ; -- End function
	.set _ZN2at6native12_GLOBAL__N_125multi_tensor_apply_kernelINS1_28TensorListScalarListMetadataIfLi4EEENS1_28PointwiseOpScalarListFunctorIN3c104HalfELi4ELi3ELi3EEEJSt7dividesIfEEEEvT_T0_DpT1_.num_vgpr, 56
	.set _ZN2at6native12_GLOBAL__N_125multi_tensor_apply_kernelINS1_28TensorListScalarListMetadataIfLi4EEENS1_28PointwiseOpScalarListFunctorIN3c104HalfELi4ELi3ELi3EEEJSt7dividesIfEEEEvT_T0_DpT1_.num_agpr, 0
	.set _ZN2at6native12_GLOBAL__N_125multi_tensor_apply_kernelINS1_28TensorListScalarListMetadataIfLi4EEENS1_28PointwiseOpScalarListFunctorIN3c104HalfELi4ELi3ELi3EEEJSt7dividesIfEEEEvT_T0_DpT1_.numbered_sgpr, 36
	.set _ZN2at6native12_GLOBAL__N_125multi_tensor_apply_kernelINS1_28TensorListScalarListMetadataIfLi4EEENS1_28PointwiseOpScalarListFunctorIN3c104HalfELi4ELi3ELi3EEEJSt7dividesIfEEEEvT_T0_DpT1_.num_named_barrier, 0
	.set _ZN2at6native12_GLOBAL__N_125multi_tensor_apply_kernelINS1_28TensorListScalarListMetadataIfLi4EEENS1_28PointwiseOpScalarListFunctorIN3c104HalfELi4ELi3ELi3EEEJSt7dividesIfEEEEvT_T0_DpT1_.private_seg_size, 0
	.set _ZN2at6native12_GLOBAL__N_125multi_tensor_apply_kernelINS1_28TensorListScalarListMetadataIfLi4EEENS1_28PointwiseOpScalarListFunctorIN3c104HalfELi4ELi3ELi3EEEJSt7dividesIfEEEEvT_T0_DpT1_.uses_vcc, 1
	.set _ZN2at6native12_GLOBAL__N_125multi_tensor_apply_kernelINS1_28TensorListScalarListMetadataIfLi4EEENS1_28PointwiseOpScalarListFunctorIN3c104HalfELi4ELi3ELi3EEEJSt7dividesIfEEEEvT_T0_DpT1_.uses_flat_scratch, 0
	.set _ZN2at6native12_GLOBAL__N_125multi_tensor_apply_kernelINS1_28TensorListScalarListMetadataIfLi4EEENS1_28PointwiseOpScalarListFunctorIN3c104HalfELi4ELi3ELi3EEEJSt7dividesIfEEEEvT_T0_DpT1_.has_dyn_sized_stack, 0
	.set _ZN2at6native12_GLOBAL__N_125multi_tensor_apply_kernelINS1_28TensorListScalarListMetadataIfLi4EEENS1_28PointwiseOpScalarListFunctorIN3c104HalfELi4ELi3ELi3EEEJSt7dividesIfEEEEvT_T0_DpT1_.has_recursion, 0
	.set _ZN2at6native12_GLOBAL__N_125multi_tensor_apply_kernelINS1_28TensorListScalarListMetadataIfLi4EEENS1_28PointwiseOpScalarListFunctorIN3c104HalfELi4ELi3ELi3EEEJSt7dividesIfEEEEvT_T0_DpT1_.has_indirect_call, 0
	.section	.AMDGPU.csdata,"",@progbits
; Kernel info:
; codeLenInByte = 2848
; TotalNumSgprs: 40
; NumVgprs: 56
; ScratchSize: 0
; MemoryBound: 0
; FloatMode: 240
; IeeeMode: 1
; LDSByteSize: 0 bytes/workgroup (compile time only)
; SGPRBlocks: 4
; VGPRBlocks: 13
; NumSGPRsForWavesPerEU: 40
; NumVGPRsForWavesPerEU: 56
; Occupancy: 4
; WaveLimiterHint : 0
; COMPUTE_PGM_RSRC2:SCRATCH_EN: 0
; COMPUTE_PGM_RSRC2:USER_SGPR: 6
; COMPUTE_PGM_RSRC2:TRAP_HANDLER: 0
; COMPUTE_PGM_RSRC2:TGID_X_EN: 1
; COMPUTE_PGM_RSRC2:TGID_Y_EN: 0
; COMPUTE_PGM_RSRC2:TGID_Z_EN: 0
; COMPUTE_PGM_RSRC2:TIDIG_COMP_CNT: 0
	.section	.text._ZN2at6native12_GLOBAL__N_125multi_tensor_apply_kernelINS1_28TensorListScalarListMetadataIfLi4EEENS1_28PointwiseOpScalarListFunctorIN3c108BFloat16ELi4ELi3ELi3EEEJSt7dividesIfEEEEvT_T0_DpT1_,"axG",@progbits,_ZN2at6native12_GLOBAL__N_125multi_tensor_apply_kernelINS1_28TensorListScalarListMetadataIfLi4EEENS1_28PointwiseOpScalarListFunctorIN3c108BFloat16ELi4ELi3ELi3EEEJSt7dividesIfEEEEvT_T0_DpT1_,comdat
	.globl	_ZN2at6native12_GLOBAL__N_125multi_tensor_apply_kernelINS1_28TensorListScalarListMetadataIfLi4EEENS1_28PointwiseOpScalarListFunctorIN3c108BFloat16ELi4ELi3ELi3EEEJSt7dividesIfEEEEvT_T0_DpT1_ ; -- Begin function _ZN2at6native12_GLOBAL__N_125multi_tensor_apply_kernelINS1_28TensorListScalarListMetadataIfLi4EEENS1_28PointwiseOpScalarListFunctorIN3c108BFloat16ELi4ELi3ELi3EEEJSt7dividesIfEEEEvT_T0_DpT1_
	.p2align	8
	.type	_ZN2at6native12_GLOBAL__N_125multi_tensor_apply_kernelINS1_28TensorListScalarListMetadataIfLi4EEENS1_28PointwiseOpScalarListFunctorIN3c108BFloat16ELi4ELi3ELi3EEEJSt7dividesIfEEEEvT_T0_DpT1_,@function
_ZN2at6native12_GLOBAL__N_125multi_tensor_apply_kernelINS1_28TensorListScalarListMetadataIfLi4EEENS1_28PointwiseOpScalarListFunctorIN3c108BFloat16ELi4ELi3ELi3EEEJSt7dividesIfEEEEvT_T0_DpT1_: ; @_ZN2at6native12_GLOBAL__N_125multi_tensor_apply_kernelINS1_28TensorListScalarListMetadataIfLi4EEENS1_28PointwiseOpScalarListFunctorIN3c108BFloat16ELi4ELi3ELi3EEEJSt7dividesIfEEEEvT_T0_DpT1_
; %bb.0:
	v_mov_b32_e32 v1, s6
	global_load_ubyte v1, v1, s[4:5] offset:1584
	s_add_u32 s0, s4, s6
	s_mul_i32 s1, s6, 3
	s_addc_u32 s2, s5, 0
	s_mul_hi_u32 s3, s6, 3
	s_add_u32 s0, s0, s1
	s_addc_u32 s1, s2, s3
	s_load_dword s0, s[0:1], 0x770
	s_mov_b32 s3, 0
	s_mov_b32 s7, s3
	;; [unrolled: 1-line block ×3, first 2 shown]
	s_waitcnt vmcnt(0)
	v_readfirstlane_b32 s1, v1
	v_lshlrev_b32_e32 v1, 2, v1
	v_sub_co_u32_e32 v1, vcc, 0, v1
	s_lshl_b32 s2, s1, 3
	v_subb_co_u32_e64 v2, s[10:11], 0, 0, vcc
	s_load_dwordx2 s[10:11], s[4:5], s2 offset:0x480
	s_waitcnt lgkmcnt(0)
	s_ashr_i32 s1, s0, 31
	s_load_dwordx2 s[12:13], s[4:5], s2 offset:0x0
	s_load_dwordx2 s[14:15], s[4:5], s2 offset:0x120
	;; [unrolled: 1-line block ×4, first 2 shown]
	s_add_u32 s2, s4, s2
	s_addc_u32 s6, s5, 0
	s_lshl_b64 s[20:21], s[0:1], 17
	v_mov_b32_e32 v3, s6
	s_waitcnt lgkmcnt(0)
	s_add_u32 s6, s14, s20
	v_add_co_u32_e32 v1, vcc, s2, v1
	s_and_b32 s2, s12, 7
	s_and_b32 s6, s6, 7
	s_cmp_eq_u64 s[6:7], 0
	s_cselect_b64 s[6:7], -1, 0
	s_add_u32 s8, s16, s20
	s_or_b32 s8, s18, s8
	v_addc_co_u32_e32 v2, vcc, v3, v2, vcc
	s_and_b32 s8, s8, 7
	v_readfirstlane_b32 s22, v1
	v_readfirstlane_b32 s23, v2
	s_cmp_eq_u32 s8, 0
	s_load_dword s33, s[22:23], 0x5a0
	s_cselect_b64 s[22:23], -1, 0
	s_lshl_b64 s[0:1], s[0:1], 16
	s_and_b64 s[6:7], s[22:23], s[6:7]
	s_sub_u32 s22, s10, s0
	s_subb_u32 s23, s11, s1
	s_and_b32 s8, s10, 3
	s_or_b64 s[0:1], s[2:3], s[8:9]
	s_cmp_eq_u64 s[0:1], 0
	s_cselect_b64 s[0:1], -1, 0
	s_and_b64 s[2:3], s[6:7], s[0:1]
	s_mov_b64 s[0:1], -1
	s_and_b64 vcc, exec, s[2:3]
	s_cbranch_vccnz .LBB120_29
; %bb.1:
	v_cmp_lt_i64_e64 s[0:1], s[22:23], 1
	s_and_b64 vcc, exec, s[0:1]
	s_cbranch_vccnz .LBB120_28
; %bb.2:
	v_mov_b32_e32 v1, 0x10000
	s_load_dword s2, s[4:5], 0xc84
	v_mov_b32_e32 v2, 0
	v_cmp_lt_i64_e32 vcc, s[22:23], v[1:2]
	v_mov_b32_e32 v24, 0
	s_and_b64 s[0:1], vcc, exec
	s_cselect_b32 s25, s23, 0
	s_cselect_b32 s24, s22, 0x10000
	s_waitcnt lgkmcnt(0)
	s_and_b32 s2, s2, 0xffff
	v_lshlrev_b32_e32 v23, 1, v0
	v_mad_u64_u32 v[7:8], s[0:1], s2, 6, v[23:24]
	v_cmp_lt_u64_e32 vcc, s[22:23], v[1:2]
	v_mov_b32_e32 v2, s13
	s_and_b64 s[0:1], vcc, exec
	v_add_co_u32_e32 v1, vcc, s12, v7
	v_addc_co_u32_e32 v2, vcc, v2, v8, vcc
	v_mov_b32_e32 v4, s15
	v_add_co_u32_e32 v3, vcc, s14, v7
	v_addc_co_u32_e32 v4, vcc, v4, v8, vcc
	v_mov_b32_e32 v6, s17
	;; [unrolled: 3-line block ×3, first 2 shown]
	v_add_co_u32_e32 v7, vcc, s18, v7
	s_cselect_b32 s27, s23, 0
	s_cselect_b32 s26, s22, 0x10000
	s_lshl_b32 s34, s2, 2
	v_addc_co_u32_e32 v8, vcc, v9, v8, vcc
	v_add_co_u32_e32 v15, vcc, s34, v23
	v_addc_co_u32_e64 v16, s[0:1], 0, 0, vcc
	v_mov_b32_e32 v10, s13
	v_add_co_u32_e32 v9, vcc, s12, v15
	v_addc_co_u32_e32 v10, vcc, v10, v16, vcc
	v_mov_b32_e32 v12, s15
	v_add_co_u32_e32 v11, vcc, s14, v15
	v_addc_co_u32_e32 v12, vcc, v12, v16, vcc
	;; [unrolled: 3-line block ×8, first 2 shown]
	v_add_co_u32_e32 v25, vcc, s2, v0
	v_lshlrev_b32_e32 v33, 1, v25
	s_lshl_b32 s6, s2, 1
	s_mul_i32 s7, s2, 3
	s_lshl_b32 s35, s2, 3
	v_addc_co_u32_e64 v26, s[2:3], 0, 0, vcc
	v_mov_b32_e32 v28, s13
	v_add_co_u32_e32 v27, vcc, s12, v33
	v_addc_co_u32_e32 v28, vcc, 0, v28, vcc
	v_mov_b32_e32 v30, s15
	v_add_co_u32_e32 v29, vcc, s14, v33
	v_addc_co_u32_e32 v30, vcc, 0, v30, vcc
	;; [unrolled: 3-line block ×4, first 2 shown]
	v_add_co_u32_e32 v35, vcc, s7, v0
	v_addc_co_u32_e64 v36, s[2:3], 0, 0, vcc
	v_add_co_u32_e32 v37, vcc, s6, v0
	v_cmp_eq_f32_e64 s[0:1], s33, 1.0
	s_mov_b64 s[28:29], 0
	s_movk_i32 s36, 0x7fff
	v_addc_co_u32_e64 v38, s[2:3], 0, 0, vcc
	v_mov_b32_e32 v39, 0x7fc0
	s_branch .LBB120_4
.LBB120_3:                              ;   in Loop: Header=BB120_4 Depth=1
	s_or_b64 exec, exec, s[2:3]
	v_add_co_u32_e32 v17, vcc, s35, v17
	v_addc_co_u32_e32 v18, vcc, 0, v18, vcc
	v_add_co_u32_e32 v19, vcc, s35, v19
	v_addc_co_u32_e32 v20, vcc, 0, v20, vcc
	;; [unrolled: 2-line block ×14, first 2 shown]
	s_add_u32 s28, s28, s34
	v_add_co_u32_e32 v31, vcc, s35, v31
	v_mov_b32_e32 v41, s25
	s_addc_u32 s29, s29, 0
	v_addc_co_u32_e32 v32, vcc, 0, v32, vcc
	v_mov_b32_e32 v40, s24
	v_cmp_lt_i64_e32 vcc, s[28:29], v[40:41]
	v_add_co_u32_e64 v33, s[2:3], s35, v33
	v_addc_co_u32_e64 v34, s[2:3], 0, v34, s[2:3]
	s_cbranch_vccz .LBB120_28
.LBB120_4:                              ; =>This Inner Loop Header: Depth=1
	v_mov_b32_e32 v41, s29
	v_add_co_u32_e32 v40, vcc, s28, v0
	v_addc_co_u32_e32 v41, vcc, 0, v41, vcc
	v_cmp_gt_u64_e32 vcc, s[26:27], v[40:41]
	v_mov_b32_e32 v43, 0
	v_mov_b32_e32 v42, 0
	s_and_saveexec_b64 s[6:7], vcc
	s_cbranch_execz .LBB120_6
; %bb.5:                                ;   in Loop: Header=BB120_4 Depth=1
	v_mov_b32_e32 v43, s21
	v_add_co_u32_e64 v40, s[2:3], s20, v17
	v_addc_co_u32_e64 v41, s[2:3], v18, v43, s[2:3]
	v_add_co_u32_e64 v42, s[2:3], s20, v19
	v_addc_co_u32_e64 v43, s[2:3], v20, v43, s[2:3]
	global_load_ushort v44, v[42:43], off
	global_load_ushort v45, v[40:41], off
	s_waitcnt vmcnt(1)
	v_lshlrev_b32_e32 v43, 16, v44
	s_waitcnt vmcnt(0)
	v_lshlrev_b32_e32 v42, 16, v45
.LBB120_6:                              ;   in Loop: Header=BB120_4 Depth=1
	s_or_b64 exec, exec, s[6:7]
	v_mov_b32_e32 v40, 0
	v_mov_b32_e32 v47, 0
	s_and_saveexec_b64 s[6:7], vcc
	s_cbranch_execz .LBB120_8
; %bb.7:                                ;   in Loop: Header=BB120_4 Depth=1
	v_mov_b32_e32 v41, s21
	v_add_co_u32_e64 v44, s[2:3], s20, v21
	v_addc_co_u32_e64 v45, s[2:3], v22, v41, s[2:3]
	global_load_ushort v41, v[44:45], off
	s_waitcnt vmcnt(0)
	v_lshlrev_b32_e32 v47, 16, v41
.LBB120_8:                              ;   in Loop: Header=BB120_4 Depth=1
	s_or_b64 exec, exec, s[6:7]
	v_mov_b32_e32 v41, s29
	v_add_co_u32_e64 v44, s[2:3], s28, v25
	v_addc_co_u32_e64 v45, s[2:3], v26, v41, s[2:3]
	v_cmp_gt_u64_e64 s[2:3], s[26:27], v[44:45]
	v_mov_b32_e32 v45, 0
	s_and_saveexec_b64 s[8:9], s[2:3]
	s_cbranch_execz .LBB120_10
; %bb.9:                                ;   in Loop: Header=BB120_4 Depth=1
	v_mov_b32_e32 v45, s21
	v_add_co_u32_e64 v40, s[6:7], s20, v27
	v_addc_co_u32_e64 v41, s[6:7], v28, v45, s[6:7]
	v_add_co_u32_e64 v44, s[6:7], s20, v29
	v_addc_co_u32_e64 v45, s[6:7], v30, v45, s[6:7]
	global_load_ushort v46, v[44:45], off
	global_load_ushort v48, v[40:41], off
	s_waitcnt vmcnt(1)
	v_lshlrev_b32_e32 v40, 16, v46
	s_waitcnt vmcnt(0)
	v_lshlrev_b32_e32 v45, 16, v48
.LBB120_10:                             ;   in Loop: Header=BB120_4 Depth=1
	s_or_b64 exec, exec, s[8:9]
	v_mov_b32_e32 v41, 0
	v_mov_b32_e32 v49, 0
	s_and_saveexec_b64 s[8:9], s[2:3]
	s_cbranch_execz .LBB120_12
; %bb.11:                               ;   in Loop: Header=BB120_4 Depth=1
	v_mov_b32_e32 v44, s21
	v_add_co_u32_e64 v48, s[6:7], s20, v31
	v_addc_co_u32_e64 v49, s[6:7], v32, v44, s[6:7]
	global_load_ushort v44, v[48:49], off
	s_waitcnt vmcnt(0)
	v_lshlrev_b32_e32 v49, 16, v44
.LBB120_12:                             ;   in Loop: Header=BB120_4 Depth=1
	s_or_b64 exec, exec, s[8:9]
	v_mov_b32_e32 v44, s29
	v_add_co_u32_e64 v50, s[6:7], s28, v37
	v_addc_co_u32_e64 v51, s[6:7], v38, v44, s[6:7]
	v_cmp_gt_u64_e64 s[6:7], s[26:27], v[50:51]
	v_mov_b32_e32 v46, 0
	s_and_saveexec_b64 s[10:11], s[6:7]
	s_cbranch_execz .LBB120_14
; %bb.13:                               ;   in Loop: Header=BB120_4 Depth=1
	v_mov_b32_e32 v41, s21
	v_add_co_u32_e64 v50, s[8:9], s20, v9
	v_addc_co_u32_e64 v51, s[8:9], v10, v41, s[8:9]
	v_add_co_u32_e64 v52, s[8:9], s20, v11
	v_addc_co_u32_e64 v53, s[8:9], v12, v41, s[8:9]
	global_load_ushort v41, v[52:53], off
	global_load_ushort v44, v[50:51], off
	s_waitcnt vmcnt(1)
	v_lshlrev_b32_e32 v41, 16, v41
	s_waitcnt vmcnt(0)
	v_lshlrev_b32_e32 v46, 16, v44
.LBB120_14:                             ;   in Loop: Header=BB120_4 Depth=1
	s_or_b64 exec, exec, s[10:11]
	v_mov_b32_e32 v44, 0
	v_mov_b32_e32 v50, 0
	s_and_saveexec_b64 s[10:11], s[6:7]
	s_cbranch_execz .LBB120_16
; %bb.15:                               ;   in Loop: Header=BB120_4 Depth=1
	v_mov_b32_e32 v48, s21
	v_add_co_u32_e64 v50, s[8:9], s20, v13
	v_addc_co_u32_e64 v51, s[8:9], v14, v48, s[8:9]
	global_load_ushort v48, v[50:51], off
	s_waitcnt vmcnt(0)
	v_lshlrev_b32_e32 v50, 16, v48
.LBB120_16:                             ;   in Loop: Header=BB120_4 Depth=1
	s_or_b64 exec, exec, s[10:11]
	v_mov_b32_e32 v48, s29
	v_add_co_u32_e64 v51, s[8:9], s28, v35
	v_addc_co_u32_e64 v52, s[8:9], v36, v48, s[8:9]
	v_cmp_gt_u64_e64 s[8:9], s[26:27], v[51:52]
	v_mov_b32_e32 v48, 0
	s_and_saveexec_b64 s[30:31], s[8:9]
	s_cbranch_execnz .LBB120_22
; %bb.17:                               ;   in Loop: Header=BB120_4 Depth=1
	s_or_b64 exec, exec, s[30:31]
	v_mov_b32_e32 v51, 0
	s_and_saveexec_b64 s[30:31], s[8:9]
	s_cbranch_execnz .LBB120_23
.LBB120_18:                             ;   in Loop: Header=BB120_4 Depth=1
	s_or_b64 exec, exec, s[30:31]
	s_and_saveexec_b64 s[10:11], vcc
	s_cbranch_execnz .LBB120_24
.LBB120_19:                             ;   in Loop: Header=BB120_4 Depth=1
	s_or_b64 exec, exec, s[10:11]
	s_and_saveexec_b64 s[10:11], s[2:3]
	s_cbranch_execnz .LBB120_25
.LBB120_20:                             ;   in Loop: Header=BB120_4 Depth=1
	s_or_b64 exec, exec, s[10:11]
	s_and_saveexec_b64 s[2:3], s[6:7]
	s_cbranch_execnz .LBB120_26
.LBB120_21:                             ;   in Loop: Header=BB120_4 Depth=1
	s_or_b64 exec, exec, s[2:3]
	s_and_saveexec_b64 s[2:3], s[8:9]
	s_cbranch_execz .LBB120_3
	s_branch .LBB120_27
.LBB120_22:                             ;   in Loop: Header=BB120_4 Depth=1
	v_mov_b32_e32 v44, s21
	v_add_co_u32_e64 v51, s[10:11], s20, v1
	v_addc_co_u32_e64 v52, s[10:11], v2, v44, s[10:11]
	v_add_co_u32_e64 v53, s[10:11], s20, v3
	v_addc_co_u32_e64 v54, s[10:11], v4, v44, s[10:11]
	global_load_ushort v44, v[53:54], off
	global_load_ushort v48, v[51:52], off
	s_waitcnt vmcnt(1)
	v_lshlrev_b32_e32 v44, 16, v44
	s_waitcnt vmcnt(0)
	v_lshlrev_b32_e32 v48, 16, v48
	s_or_b64 exec, exec, s[30:31]
	v_mov_b32_e32 v51, 0
	s_and_saveexec_b64 s[30:31], s[8:9]
	s_cbranch_execz .LBB120_18
.LBB120_23:                             ;   in Loop: Header=BB120_4 Depth=1
	v_mov_b32_e32 v52, s21
	v_add_co_u32_e64 v51, s[10:11], s20, v5
	v_addc_co_u32_e64 v52, s[10:11], v6, v52, s[10:11]
	global_load_ushort v51, v[51:52], off
	s_waitcnt vmcnt(0)
	v_lshlrev_b32_e32 v51, 16, v51
	s_or_b64 exec, exec, s[30:31]
	s_and_saveexec_b64 s[10:11], vcc
	s_cbranch_execz .LBB120_19
.LBB120_24:                             ;   in Loop: Header=BB120_4 Depth=1
	v_div_scale_f32 v52, s[30:31], v47, v47, v43
	v_div_scale_f32 v53, vcc, v43, v47, v43
	v_rcp_f32_e32 v54, v52
	v_fma_f32 v55, -v52, v54, 1.0
	v_fmac_f32_e32 v54, v55, v54
	v_mul_f32_e32 v55, v53, v54
	v_fma_f32 v56, -v52, v55, v53
	v_fmac_f32_e32 v55, v56, v54
	v_fma_f32 v52, -v52, v55, v53
	v_div_fmas_f32 v52, v52, v54, v55
	v_mov_b32_e32 v53, s21
	v_div_fixup_f32 v43, v52, v47, v43
	v_add_f32_e32 v47, v42, v43
	v_fmac_f32_e32 v42, s33, v43
	v_cndmask_b32_e64 v42, v42, v47, s[0:1]
	v_bfe_u32 v43, v42, 16, 1
	v_cmp_o_f32_e32 vcc, v42, v42
	v_add3_u32 v42, v42, v43, s36
	v_cndmask_b32_sdwa v47, v39, v42, vcc dst_sel:DWORD dst_unused:UNUSED_PAD src0_sel:DWORD src1_sel:WORD_1
	v_add_co_u32_e32 v42, vcc, s20, v23
	v_addc_co_u32_e32 v43, vcc, v24, v53, vcc
	global_store_short v[42:43], v47, off
	s_or_b64 exec, exec, s[10:11]
	s_and_saveexec_b64 s[10:11], s[2:3]
	s_cbranch_execz .LBB120_20
.LBB120_25:                             ;   in Loop: Header=BB120_4 Depth=1
	v_div_scale_f32 v42, s[2:3], v49, v49, v40
	v_div_scale_f32 v43, vcc, v40, v49, v40
	v_rcp_f32_e32 v47, v42
	v_fma_f32 v52, -v42, v47, 1.0
	v_fmac_f32_e32 v47, v52, v47
	v_mul_f32_e32 v52, v43, v47
	v_fma_f32 v53, -v42, v52, v43
	v_fmac_f32_e32 v52, v53, v47
	v_fma_f32 v42, -v42, v52, v43
	v_div_fmas_f32 v47, v42, v47, v52
	v_mov_b32_e32 v43, s21
	v_add_co_u32_e32 v42, vcc, s20, v33
	v_addc_co_u32_e32 v43, vcc, v34, v43, vcc
	v_div_fixup_f32 v40, v47, v49, v40
	v_add_f32_e32 v47, v45, v40
	v_fmac_f32_e32 v45, s33, v40
	v_cndmask_b32_e64 v40, v45, v47, s[0:1]
	v_bfe_u32 v45, v40, 16, 1
	v_cmp_o_f32_e32 vcc, v40, v40
	v_add3_u32 v40, v40, v45, s36
	v_cndmask_b32_sdwa v40, v39, v40, vcc dst_sel:DWORD dst_unused:UNUSED_PAD src0_sel:DWORD src1_sel:WORD_1
	global_store_short v[42:43], v40, off
	s_or_b64 exec, exec, s[10:11]
	s_and_saveexec_b64 s[2:3], s[6:7]
	s_cbranch_execz .LBB120_21
.LBB120_26:                             ;   in Loop: Header=BB120_4 Depth=1
	v_div_scale_f32 v40, s[6:7], v50, v50, v41
	v_div_scale_f32 v42, vcc, v41, v50, v41
	v_rcp_f32_e32 v43, v40
	v_fma_f32 v45, -v40, v43, 1.0
	v_fmac_f32_e32 v43, v45, v43
	v_mul_f32_e32 v45, v42, v43
	v_fma_f32 v47, -v40, v45, v42
	v_fmac_f32_e32 v45, v47, v43
	v_fma_f32 v40, -v40, v45, v42
	v_div_fmas_f32 v40, v40, v43, v45
	v_mov_b32_e32 v43, s21
	v_add_co_u32_e32 v42, vcc, s20, v15
	v_addc_co_u32_e32 v43, vcc, v16, v43, vcc
	v_div_fixup_f32 v40, v40, v50, v41
	v_add_f32_e32 v41, v46, v40
	v_fmac_f32_e32 v46, s33, v40
	v_cndmask_b32_e64 v40, v46, v41, s[0:1]
	v_bfe_u32 v41, v40, 16, 1
	v_cmp_o_f32_e32 vcc, v40, v40
	v_add3_u32 v40, v40, v41, s36
	v_cndmask_b32_sdwa v40, v39, v40, vcc dst_sel:DWORD dst_unused:UNUSED_PAD src0_sel:DWORD src1_sel:WORD_1
	global_store_short v[42:43], v40, off
	s_or_b64 exec, exec, s[2:3]
	s_and_saveexec_b64 s[2:3], s[8:9]
	s_cbranch_execz .LBB120_3
.LBB120_27:                             ;   in Loop: Header=BB120_4 Depth=1
	v_div_scale_f32 v40, s[6:7], v51, v51, v44
	v_div_scale_f32 v41, vcc, v44, v51, v44
	v_rcp_f32_e32 v42, v40
	v_fma_f32 v43, -v40, v42, 1.0
	v_fmac_f32_e32 v42, v43, v42
	v_mul_f32_e32 v43, v41, v42
	v_fma_f32 v45, -v40, v43, v41
	v_fmac_f32_e32 v43, v45, v42
	v_fma_f32 v40, -v40, v43, v41
	v_div_fmas_f32 v42, v40, v42, v43
	v_mov_b32_e32 v41, s21
	v_add_co_u32_e32 v40, vcc, s20, v7
	v_addc_co_u32_e32 v41, vcc, v8, v41, vcc
	v_div_fixup_f32 v42, v42, v51, v44
	v_add_f32_e32 v43, v48, v42
	v_fmac_f32_e32 v48, s33, v42
	v_cndmask_b32_e64 v42, v48, v43, s[0:1]
	v_bfe_u32 v43, v42, 16, 1
	v_cmp_o_f32_e32 vcc, v42, v42
	v_add3_u32 v42, v42, v43, s36
	v_cndmask_b32_sdwa v42, v39, v42, vcc dst_sel:DWORD dst_unused:UNUSED_PAD src0_sel:DWORD src1_sel:WORD_1
	global_store_short v[40:41], v42, off
	s_branch .LBB120_3
.LBB120_28:
	s_mov_b64 s[0:1], 0
.LBB120_29:
	s_andn2_b64 vcc, exec, s[0:1]
	s_cbranch_vccnz .LBB120_33
; %bb.30:
	v_mov_b32_e32 v1, 0x10000
	v_mov_b32_e32 v2, 0
	v_cmp_lt_i64_e32 vcc, s[22:23], v[1:2]
	v_mov_b32_e32 v2, 0
	s_and_b64 s[0:1], vcc, exec
	s_cselect_b32 s9, s23, 0
	s_cselect_b32 s8, s22, 0x10000
	v_lshlrev_b32_e32 v1, 2, v0
	v_cmp_gt_i64_e32 vcc, s[8:9], v[1:2]
	s_and_saveexec_b64 s[0:1], vcc
	s_cbranch_execz .LBB120_33
; %bb.31:
	s_load_dword s2, s[4:5], 0xc84
	v_mov_b32_e32 v1, v2
	v_lshlrev_b32_e32 v2, 3, v0
	v_mov_b32_e32 v3, s21
	v_add_co_u32_e32 v2, vcc, s20, v2
	s_waitcnt lgkmcnt(0)
	s_and_b32 s21, s2, 0xffff
	v_cmp_eq_f32_e64 s[0:1], s33, 1.0
	v_addc_co_u32_e32 v3, vcc, 0, v3, vcc
	s_lshl_b32 s20, s21, 3
	s_mov_b64 s[10:11], 0
	v_mov_b32_e32 v4, s13
	v_mov_b32_e32 v5, s15
	;; [unrolled: 1-line block ×3, first 2 shown]
	s_movk_i32 s13, 0x7fff
	v_mov_b32_e32 v7, 0x7fc0
	v_mov_b32_e32 v8, 0x7fc00000
	;; [unrolled: 1-line block ×3, first 2 shown]
.LBB120_32:                             ; =>This Inner Loop Header: Depth=1
	v_add_co_u32_e32 v10, vcc, s12, v2
	v_addc_co_u32_e32 v11, vcc, v4, v3, vcc
	v_add_co_u32_e32 v12, vcc, s14, v2
	v_addc_co_u32_e32 v13, vcc, v5, v3, vcc
	;; [unrolled: 2-line block ×3, first 2 shown]
	global_load_dwordx2 v[18:19], v[12:13], off
	global_load_dwordx2 v[20:21], v[14:15], off
	;; [unrolled: 1-line block ×3, first 2 shown]
	v_add_co_u32_e32 v0, vcc, s21, v0
	v_addc_co_u32_e32 v1, vcc, 0, v1, vcc
	v_add_co_u32_e32 v16, vcc, s18, v2
	v_addc_co_u32_e32 v17, vcc, v9, v3, vcc
	v_add_co_u32_e32 v2, vcc, s20, v2
	v_lshlrev_b64 v[10:11], 2, v[0:1]
	v_addc_co_u32_e32 v3, vcc, 0, v3, vcc
	v_cmp_le_i64_e32 vcc, s[8:9], v[10:11]
	s_or_b64 s[10:11], vcc, s[10:11]
	s_waitcnt vmcnt(2)
	v_lshlrev_b32_e32 v11, 16, v18
	s_waitcnt vmcnt(1)
	v_lshlrev_b32_e32 v12, 16, v20
	v_and_b32_e32 v14, 0xffff0000, v18
	v_and_b32_e32 v15, 0xffff0000, v20
	v_alignbit_b32 v18, v19, v18, 16
	v_alignbit_b32 v20, v21, v20, 16
	v_div_scale_f32 v24, s[2:3], v12, v12, v11
	v_and_b32_e32 v19, 0xffff0000, v19
	v_and_b32_e32 v21, 0xffff0000, v21
	v_div_scale_f32 v26, s[2:3], v15, v15, v14
	v_and_b32_e32 v18, 0xffff0000, v18
	v_and_b32_e32 v20, 0xffff0000, v20
	v_div_scale_f32 v28, s[4:5], v21, v21, v19
	v_div_scale_f32 v30, s[6:7], v20, v20, v18
	v_div_scale_f32 v25, vcc, v11, v12, v11
	v_div_scale_f32 v27, s[2:3], v14, v15, v14
	v_div_scale_f32 v31, s[6:7], v18, v20, v18
	;; [unrolled: 1-line block ×3, first 2 shown]
	v_rcp_f32_e32 v32, v24
	v_rcp_f32_e32 v33, v26
	s_waitcnt vmcnt(0)
	v_lshlrev_b32_e32 v10, 16, v22
	v_and_b32_e32 v13, 0xffff0000, v22
	v_rcp_f32_e32 v34, v28
	v_fma_f32 v36, -v24, v32, 1.0
	v_rcp_f32_e32 v35, v30
	v_fma_f32 v37, -v26, v33, 1.0
	v_fmac_f32_e32 v32, v36, v32
	v_fma_f32 v38, -v28, v34, 1.0
	v_fmac_f32_e32 v33, v37, v33
	v_fma_f32 v36, -v30, v35, 1.0
	v_mul_f32_e32 v37, v25, v32
	v_fmac_f32_e32 v34, v38, v34
	v_mul_f32_e32 v38, v27, v33
	v_fmac_f32_e32 v35, v36, v35
	v_fma_f32 v39, -v24, v37, v25
	v_fma_f32 v40, -v26, v38, v27
	v_mul_f32_e32 v42, v31, v35
	v_fmac_f32_e32 v37, v39, v32
	v_mul_f32_e32 v36, v29, v34
	v_fmac_f32_e32 v38, v40, v33
	v_fma_f32 v39, -v30, v42, v31
	v_fma_f32 v24, -v24, v37, v25
	;; [unrolled: 1-line block ×4, first 2 shown]
	v_fmac_f32_e32 v42, v39, v35
	v_div_fmas_f32 v24, v24, v32, v37
	s_mov_b64 vcc, s[2:3]
	v_fmac_f32_e32 v36, v41, v34
	v_fma_f32 v27, -v30, v42, v31
	v_div_fmas_f32 v25, v25, v33, v38
	s_mov_b64 vcc, s[6:7]
	v_fma_f32 v26, -v28, v36, v29
	v_div_fmas_f32 v27, v27, v35, v42
	s_mov_b64 vcc, s[4:5]
	v_div_fmas_f32 v26, v26, v34, v36
	v_alignbit_b32 v22, v23, v22, 16
	v_and_b32_e32 v22, 0xffff0000, v22
	v_and_b32_e32 v23, 0xffff0000, v23
	v_div_fixup_f32 v11, v24, v12, v11
	v_add_f32_e32 v12, v11, v10
	v_fmac_f32_e32 v10, s33, v11
	v_cndmask_b32_e64 v10, v10, v12, s[0:1]
	v_div_fixup_f32 v11, v25, v15, v14
	v_add_f32_e32 v12, v11, v13
	v_fmac_f32_e32 v13, s33, v11
	v_div_fixup_f32 v11, v27, v20, v18
	v_bfe_u32 v14, v10, 16, 1
	v_cndmask_b32_e64 v12, v13, v12, s[0:1]
	v_add_f32_e32 v13, v11, v22
	v_fmac_f32_e32 v22, s33, v11
	v_div_fixup_f32 v11, v26, v21, v19
	v_add3_u32 v14, v10, v14, s13
	v_bfe_u32 v15, v12, 16, 1
	v_cndmask_b32_e64 v13, v22, v13, s[0:1]
	v_add_f32_e32 v18, v11, v23
	v_fmac_f32_e32 v23, s33, v11
	v_lshrrev_b32_e32 v11, 16, v14
	v_add3_u32 v14, v12, v15, s13
	v_bfe_u32 v15, v13, 16, 1
	v_cndmask_b32_e64 v18, v23, v18, s[0:1]
	v_cmp_o_f32_e32 vcc, v10, v10
	v_cndmask_b32_e32 v10, v7, v11, vcc
	v_and_b32_e32 v11, 0xffff0000, v14
	v_add3_u32 v14, v13, v15, s13
	v_bfe_u32 v15, v18, 16, 1
	v_cmp_o_f32_e32 vcc, v12, v12
	v_cndmask_b32_e32 v11, v8, v11, vcc
	v_lshrrev_b32_e32 v12, 16, v14
	v_add3_u32 v14, v18, v15, s13
	v_cmp_o_f32_e32 vcc, v13, v13
	v_cndmask_b32_e32 v12, v7, v12, vcc
	v_and_b32_e32 v13, 0xffff0000, v14
	v_cmp_o_f32_e32 vcc, v18, v18
	v_or_b32_e32 v10, v10, v11
	v_cndmask_b32_e32 v11, v8, v13, vcc
	v_or3_b32 v10, v10, 0, 0
	v_or3_b32 v11, 0, v12, v11
	global_store_dwordx2 v[16:17], v[10:11], off
	s_andn2_b64 exec, exec, s[10:11]
	s_cbranch_execnz .LBB120_32
.LBB120_33:
	s_endpgm
	.section	.rodata,"a",@progbits
	.p2align	6, 0x0
	.amdhsa_kernel _ZN2at6native12_GLOBAL__N_125multi_tensor_apply_kernelINS1_28TensorListScalarListMetadataIfLi4EEENS1_28PointwiseOpScalarListFunctorIN3c108BFloat16ELi4ELi3ELi3EEEJSt7dividesIfEEEEvT_T0_DpT1_
		.amdhsa_group_segment_fixed_size 0
		.amdhsa_private_segment_fixed_size 0
		.amdhsa_kernarg_size 3448
		.amdhsa_user_sgpr_count 6
		.amdhsa_user_sgpr_private_segment_buffer 1
		.amdhsa_user_sgpr_dispatch_ptr 0
		.amdhsa_user_sgpr_queue_ptr 0
		.amdhsa_user_sgpr_kernarg_segment_ptr 1
		.amdhsa_user_sgpr_dispatch_id 0
		.amdhsa_user_sgpr_flat_scratch_init 0
		.amdhsa_user_sgpr_private_segment_size 0
		.amdhsa_uses_dynamic_stack 0
		.amdhsa_system_sgpr_private_segment_wavefront_offset 0
		.amdhsa_system_sgpr_workgroup_id_x 1
		.amdhsa_system_sgpr_workgroup_id_y 0
		.amdhsa_system_sgpr_workgroup_id_z 0
		.amdhsa_system_sgpr_workgroup_info 0
		.amdhsa_system_vgpr_workitem_id 0
		.amdhsa_next_free_vgpr 57
		.amdhsa_next_free_sgpr 37
		.amdhsa_reserve_vcc 1
		.amdhsa_reserve_flat_scratch 0
		.amdhsa_float_round_mode_32 0
		.amdhsa_float_round_mode_16_64 0
		.amdhsa_float_denorm_mode_32 3
		.amdhsa_float_denorm_mode_16_64 3
		.amdhsa_dx10_clamp 1
		.amdhsa_ieee_mode 1
		.amdhsa_fp16_overflow 0
		.amdhsa_exception_fp_ieee_invalid_op 0
		.amdhsa_exception_fp_denorm_src 0
		.amdhsa_exception_fp_ieee_div_zero 0
		.amdhsa_exception_fp_ieee_overflow 0
		.amdhsa_exception_fp_ieee_underflow 0
		.amdhsa_exception_fp_ieee_inexact 0
		.amdhsa_exception_int_div_zero 0
	.end_amdhsa_kernel
	.section	.text._ZN2at6native12_GLOBAL__N_125multi_tensor_apply_kernelINS1_28TensorListScalarListMetadataIfLi4EEENS1_28PointwiseOpScalarListFunctorIN3c108BFloat16ELi4ELi3ELi3EEEJSt7dividesIfEEEEvT_T0_DpT1_,"axG",@progbits,_ZN2at6native12_GLOBAL__N_125multi_tensor_apply_kernelINS1_28TensorListScalarListMetadataIfLi4EEENS1_28PointwiseOpScalarListFunctorIN3c108BFloat16ELi4ELi3ELi3EEEJSt7dividesIfEEEEvT_T0_DpT1_,comdat
.Lfunc_end120:
	.size	_ZN2at6native12_GLOBAL__N_125multi_tensor_apply_kernelINS1_28TensorListScalarListMetadataIfLi4EEENS1_28PointwiseOpScalarListFunctorIN3c108BFloat16ELi4ELi3ELi3EEEJSt7dividesIfEEEEvT_T0_DpT1_, .Lfunc_end120-_ZN2at6native12_GLOBAL__N_125multi_tensor_apply_kernelINS1_28TensorListScalarListMetadataIfLi4EEENS1_28PointwiseOpScalarListFunctorIN3c108BFloat16ELi4ELi3ELi3EEEJSt7dividesIfEEEEvT_T0_DpT1_
                                        ; -- End function
	.set _ZN2at6native12_GLOBAL__N_125multi_tensor_apply_kernelINS1_28TensorListScalarListMetadataIfLi4EEENS1_28PointwiseOpScalarListFunctorIN3c108BFloat16ELi4ELi3ELi3EEEJSt7dividesIfEEEEvT_T0_DpT1_.num_vgpr, 57
	.set _ZN2at6native12_GLOBAL__N_125multi_tensor_apply_kernelINS1_28TensorListScalarListMetadataIfLi4EEENS1_28PointwiseOpScalarListFunctorIN3c108BFloat16ELi4ELi3ELi3EEEJSt7dividesIfEEEEvT_T0_DpT1_.num_agpr, 0
	.set _ZN2at6native12_GLOBAL__N_125multi_tensor_apply_kernelINS1_28TensorListScalarListMetadataIfLi4EEENS1_28PointwiseOpScalarListFunctorIN3c108BFloat16ELi4ELi3ELi3EEEJSt7dividesIfEEEEvT_T0_DpT1_.numbered_sgpr, 37
	.set _ZN2at6native12_GLOBAL__N_125multi_tensor_apply_kernelINS1_28TensorListScalarListMetadataIfLi4EEENS1_28PointwiseOpScalarListFunctorIN3c108BFloat16ELi4ELi3ELi3EEEJSt7dividesIfEEEEvT_T0_DpT1_.num_named_barrier, 0
	.set _ZN2at6native12_GLOBAL__N_125multi_tensor_apply_kernelINS1_28TensorListScalarListMetadataIfLi4EEENS1_28PointwiseOpScalarListFunctorIN3c108BFloat16ELi4ELi3ELi3EEEJSt7dividesIfEEEEvT_T0_DpT1_.private_seg_size, 0
	.set _ZN2at6native12_GLOBAL__N_125multi_tensor_apply_kernelINS1_28TensorListScalarListMetadataIfLi4EEENS1_28PointwiseOpScalarListFunctorIN3c108BFloat16ELi4ELi3ELi3EEEJSt7dividesIfEEEEvT_T0_DpT1_.uses_vcc, 1
	.set _ZN2at6native12_GLOBAL__N_125multi_tensor_apply_kernelINS1_28TensorListScalarListMetadataIfLi4EEENS1_28PointwiseOpScalarListFunctorIN3c108BFloat16ELi4ELi3ELi3EEEJSt7dividesIfEEEEvT_T0_DpT1_.uses_flat_scratch, 0
	.set _ZN2at6native12_GLOBAL__N_125multi_tensor_apply_kernelINS1_28TensorListScalarListMetadataIfLi4EEENS1_28PointwiseOpScalarListFunctorIN3c108BFloat16ELi4ELi3ELi3EEEJSt7dividesIfEEEEvT_T0_DpT1_.has_dyn_sized_stack, 0
	.set _ZN2at6native12_GLOBAL__N_125multi_tensor_apply_kernelINS1_28TensorListScalarListMetadataIfLi4EEENS1_28PointwiseOpScalarListFunctorIN3c108BFloat16ELi4ELi3ELi3EEEJSt7dividesIfEEEEvT_T0_DpT1_.has_recursion, 0
	.set _ZN2at6native12_GLOBAL__N_125multi_tensor_apply_kernelINS1_28TensorListScalarListMetadataIfLi4EEENS1_28PointwiseOpScalarListFunctorIN3c108BFloat16ELi4ELi3ELi3EEEJSt7dividesIfEEEEvT_T0_DpT1_.has_indirect_call, 0
	.section	.AMDGPU.csdata,"",@progbits
; Kernel info:
; codeLenInByte = 3028
; TotalNumSgprs: 41
; NumVgprs: 57
; ScratchSize: 0
; MemoryBound: 0
; FloatMode: 240
; IeeeMode: 1
; LDSByteSize: 0 bytes/workgroup (compile time only)
; SGPRBlocks: 5
; VGPRBlocks: 14
; NumSGPRsForWavesPerEU: 41
; NumVGPRsForWavesPerEU: 57
; Occupancy: 4
; WaveLimiterHint : 0
; COMPUTE_PGM_RSRC2:SCRATCH_EN: 0
; COMPUTE_PGM_RSRC2:USER_SGPR: 6
; COMPUTE_PGM_RSRC2:TRAP_HANDLER: 0
; COMPUTE_PGM_RSRC2:TGID_X_EN: 1
; COMPUTE_PGM_RSRC2:TGID_Y_EN: 0
; COMPUTE_PGM_RSRC2:TGID_Z_EN: 0
; COMPUTE_PGM_RSRC2:TIDIG_COMP_CNT: 0
	.section	.text._ZN2at6native12_GLOBAL__N_125multi_tensor_apply_kernelINS1_28TensorListScalarListMetadataIhLi3EEENS1_28PointwiseOpScalarListFunctorIhLi3ELi3ELi0EEEJSt7dividesIhEEEEvT_T0_DpT1_,"axG",@progbits,_ZN2at6native12_GLOBAL__N_125multi_tensor_apply_kernelINS1_28TensorListScalarListMetadataIhLi3EEENS1_28PointwiseOpScalarListFunctorIhLi3ELi3ELi0EEEJSt7dividesIhEEEEvT_T0_DpT1_,comdat
	.globl	_ZN2at6native12_GLOBAL__N_125multi_tensor_apply_kernelINS1_28TensorListScalarListMetadataIhLi3EEENS1_28PointwiseOpScalarListFunctorIhLi3ELi3ELi0EEEJSt7dividesIhEEEEvT_T0_DpT1_ ; -- Begin function _ZN2at6native12_GLOBAL__N_125multi_tensor_apply_kernelINS1_28TensorListScalarListMetadataIhLi3EEENS1_28PointwiseOpScalarListFunctorIhLi3ELi3ELi0EEEJSt7dividesIhEEEEvT_T0_DpT1_
	.p2align	8
	.type	_ZN2at6native12_GLOBAL__N_125multi_tensor_apply_kernelINS1_28TensorListScalarListMetadataIhLi3EEENS1_28PointwiseOpScalarListFunctorIhLi3ELi3ELi0EEEJSt7dividesIhEEEEvT_T0_DpT1_,@function
_ZN2at6native12_GLOBAL__N_125multi_tensor_apply_kernelINS1_28TensorListScalarListMetadataIhLi3EEENS1_28PointwiseOpScalarListFunctorIhLi3ELi3ELi0EEEJSt7dividesIhEEEEvT_T0_DpT1_: ; @_ZN2at6native12_GLOBAL__N_125multi_tensor_apply_kernelINS1_28TensorListScalarListMetadataIhLi3EEENS1_28PointwiseOpScalarListFunctorIhLi3ELi3ELi0EEEJSt7dividesIhEEEEvT_T0_DpT1_
; %bb.0:
	v_mov_b32_e32 v1, s6
	global_load_ubyte v3, v1, s[4:5] offset:1584
	s_add_u32 s0, s4, s6
	s_addc_u32 s1, s5, 0
	s_mul_hi_u32 s2, s6, 3
	s_mul_i32 s6, s6, 3
	s_add_u32 s0, s0, s6
	s_addc_u32 s1, s1, s2
	v_mov_b32_e32 v2, s5
	s_load_dword s0, s[0:1], 0x770
	s_mov_b32 s15, 0
	s_waitcnt lgkmcnt(0)
	s_ashr_i32 s1, s0, 31
	s_waitcnt vmcnt(0)
	v_add_co_u32_e32 v1, vcc, s4, v3
	v_addc_co_u32_e32 v2, vcc, 0, v2, vcc
	global_load_ubyte v4, v[1:2], off offset:1536
	v_readfirstlane_b32 s2, v3
	s_lshl_b32 s2, s2, 3
	s_load_dwordx2 s[6:7], s[4:5], s2 offset:0x0
	s_load_dwordx2 s[16:17], s[4:5], s2 offset:0x480
	;; [unrolled: 1-line block ×4, first 2 shown]
	s_lshl_b64 s[2:3], s[0:1], 16
	s_waitcnt lgkmcnt(0)
	s_add_u32 s0, s6, s2
	s_addc_u32 s1, s7, s3
	s_add_u32 s12, s8, s2
	s_or_b32 s12, s10, s12
	s_and_b32 s12, s12, 3
	s_cmp_eq_u32 s12, 0
	s_cselect_b64 s[18:19], -1, 0
	s_sub_u32 s12, s16, s2
	s_subb_u32 s13, s17, s3
	s_or_b64 s[0:1], s[16:17], s[0:1]
	s_and_b32 s14, s0, 3
	s_cmp_eq_u64 s[14:15], 0
	s_cselect_b64 s[0:1], -1, 0
	s_and_b64 s[14:15], s[18:19], s[0:1]
	s_mov_b64 s[0:1], -1
	s_and_b64 vcc, exec, s[14:15]
	s_cbranch_vccnz .LBB121_19
; %bb.1:
	v_cmp_lt_i64_e64 s[0:1], s[12:13], 1
	s_and_b64 vcc, exec, s[0:1]
	s_cbranch_vccnz .LBB121_18
; %bb.2:
	v_mov_b32_e32 v1, 0x10000
	s_load_dword s16, s[4:5], 0xc84
	v_mov_b32_e32 v2, 0
	v_cmp_lt_i64_e32 vcc, s[12:13], v[1:2]
	v_mov_b32_e32 v5, s7
	s_and_b64 s[0:1], vcc, exec
	v_cmp_lt_u64_e32 vcc, s[12:13], v[1:2]
	s_cselect_b32 s15, s13, 0
	s_cselect_b32 s14, s12, 0x10000
	s_waitcnt lgkmcnt(0)
	s_and_b32 s20, s16, 0xffff
	s_and_b64 s[0:1], vcc, exec
	v_mov_b32_e32 v1, s3
	v_add_co_u32_e32 v20, vcc, s2, v0
	s_cselect_b32 s17, s13, 0
	s_cselect_b32 s16, s12, 0x10000
	s_lshl_b32 s21, s20, 1
	s_mul_i32 s0, s20, 3
	s_lshl_b32 s22, s20, 2
	v_addc_co_u32_e32 v21, vcc, 0, v1, vcc
	v_mov_b32_e32 v2, s7
	v_add_co_u32_e32 v1, vcc, s6, v20
	s_add_u32 s1, s2, s0
	v_addc_co_u32_e32 v2, vcc, v2, v21, vcc
	s_addc_u32 s18, s3, 0
	v_mov_b32_e32 v3, s18
	v_add_co_u32_e32 v10, vcc, s1, v0
	v_addc_co_u32_e32 v11, vcc, 0, v3, vcc
	v_add_co_u32_e32 v3, vcc, s6, v10
	s_add_u32 s1, s2, s21
	v_addc_co_u32_e32 v5, vcc, v5, v11, vcc
	s_addc_u32 s18, s3, 0
	v_mov_b32_e32 v6, s18
	v_add_co_u32_e32 v14, vcc, s1, v0
	v_addc_co_u32_e32 v15, vcc, 0, v6, vcc
	v_mov_b32_e32 v7, s7
	v_add_co_u32_e32 v6, vcc, s6, v14
	v_addc_co_u32_e32 v7, vcc, v7, v15, vcc
	;; [unrolled: 3-line block ×8, first 2 shown]
	v_add_co_u32_e32 v24, vcc, s20, v20
	v_addc_co_u32_e32 v25, vcc, 0, v21, vcc
	v_mov_b32_e32 v21, s7
	v_add_co_u32_e32 v20, vcc, s6, v24
	v_addc_co_u32_e32 v21, vcc, v21, v25, vcc
	v_mov_b32_e32 v23, s9
	v_add_co_u32_e32 v22, vcc, s8, v24
	v_addc_co_u32_e32 v23, vcc, v23, v25, vcc
	v_mov_b32_e32 v26, s11
	v_add_co_u32_e32 v24, vcc, s10, v24
	v_addc_co_u32_e32 v25, vcc, v26, v25, vcc
	v_add_co_u32_e32 v26, vcc, s0, v0
	v_addc_co_u32_e64 v27, s[0:1], 0, 0, vcc
	v_add_co_u32_e32 v28, vcc, s21, v0
	v_addc_co_u32_e64 v29, s[0:1], 0, 0, vcc
	v_add_co_u32_e32 v30, vcc, s20, v0
	s_mov_b64 s[18:19], 0
	v_addc_co_u32_e64 v31, s[0:1], 0, 0, vcc
	s_branch .LBB121_4
.LBB121_3:                              ;   in Loop: Header=BB121_4 Depth=1
	s_or_b64 exec, exec, s[0:1]
	v_add_co_u32_e32 v43, vcc, s18, v10
	v_mov_b32_e32 v45, s19
	v_addc_co_u32_e32 v44, vcc, v11, v45, vcc
	global_load_ubyte v43, v[43:44], off
	s_waitcnt vmcnt(1)
	v_cvt_f32_ubyte0_e32 v38, v38
	v_rcp_iflag_f32_e32 v44, v38
	v_cvt_f32_ubyte0_e32 v35, v35
	v_cvt_f32_ubyte0_e32 v34, v34
	;; [unrolled: 1-line block ×3, first 2 shown]
	v_mul_f32_e32 v44, v35, v44
	v_trunc_f32_e32 v44, v44
	v_mad_f32 v35, -v44, v38, v35
	v_cvt_u32_f32_e32 v44, v44
	v_cmp_ge_f32_e64 vcc, |v35|, v38
	v_addc_co_u32_e32 v35, vcc, 0, v44, vcc
	v_mad_legacy_u16 v35, v35, v4, v36
	v_cvt_f32_ubyte0_e32 v36, v37
	v_cvt_f32_ubyte0_e32 v37, v41
	v_rcp_iflag_f32_e32 v38, v37
	v_mul_f32_e32 v38, v36, v38
	v_trunc_f32_e32 v38, v38
	v_mad_f32 v36, -v38, v37, v36
	v_cvt_u32_f32_e32 v38, v38
	v_cmp_ge_f32_e64 vcc, |v36|, v37
	v_cvt_f32_ubyte0_e32 v37, v40
	v_addc_co_u32_e32 v36, vcc, 0, v38, vcc
	v_mad_legacy_u16 v36, v36, v4, v39
	s_waitcnt vmcnt(0)
	v_cvt_f32_ubyte0_e32 v38, v43
	v_rcp_iflag_f32_e32 v39, v38
	v_mul_f32_e32 v39, v37, v39
	v_trunc_f32_e32 v39, v39
	v_mad_f32 v37, -v39, v38, v37
	v_cmp_ge_f32_e64 vcc, |v37|, v38
	v_rcp_iflag_f32_e32 v38, v34
	v_cvt_u32_f32_e32 v39, v39
	v_mul_f32_e32 v38, v33, v38
	v_trunc_f32_e32 v38, v38
	v_mad_f32 v33, -v38, v34, v33
	v_cvt_u32_f32_e32 v38, v38
	v_addc_co_u32_e32 v37, vcc, 0, v39, vcc
	v_cmp_ge_f32_e64 vcc, |v33|, v34
	v_addc_co_u32_e32 v33, vcc, 0, v38, vcc
	v_mad_legacy_u16 v34, v33, v4, v32
	v_add_co_u32_e32 v32, vcc, s18, v1
	v_addc_co_u32_e32 v33, vcc, v2, v45, vcc
	global_store_byte v[32:33], v34, off
	v_add_co_u32_e32 v32, vcc, s18, v20
	v_addc_co_u32_e32 v33, vcc, v21, v45, vcc
	global_store_byte v[32:33], v35, off
	;; [unrolled: 3-line block ×3, first 2 shown]
	v_add_co_u32_e32 v32, vcc, s18, v3
	v_mad_legacy_u16 v37, v37, v4, v42
	v_addc_co_u32_e32 v33, vcc, v5, v45, vcc
	global_store_byte v[32:33], v37, off
	s_add_u32 s18, s18, s22
	v_mov_b32_e32 v33, s15
	s_addc_u32 s19, s19, 0
	v_mov_b32_e32 v32, s14
	v_cmp_lt_i64_e32 vcc, s[18:19], v[32:33]
	s_cbranch_vccz .LBB121_18
.LBB121_4:                              ; =>This Inner Loop Header: Depth=1
	v_mov_b32_e32 v33, s19
	v_add_co_u32_e32 v32, vcc, s18, v0
	v_addc_co_u32_e32 v33, vcc, 0, v33, vcc
	v_cmp_gt_u64_e32 vcc, s[16:17], v[32:33]
	v_mov_b32_e32 v33, 0
	v_mov_b32_e32 v32, 0
	s_and_saveexec_b64 s[20:21], vcc
	s_cbranch_execz .LBB121_6
; %bb.5:                                ;   in Loop: Header=BB121_4 Depth=1
	v_mov_b32_e32 v32, s19
	v_add_co_u32_e64 v34, s[0:1], s18, v1
	v_addc_co_u32_e64 v35, s[0:1], v2, v32, s[0:1]
	v_add_co_u32_e64 v36, s[0:1], s18, v16
	v_addc_co_u32_e64 v37, s[0:1], v17, v32, s[0:1]
	global_load_ubyte v32, v[34:35], off
	global_load_ubyte v33, v[36:37], off
.LBB121_6:                              ;   in Loop: Header=BB121_4 Depth=1
	s_or_b64 exec, exec, s[20:21]
	v_mov_b32_e32 v35, 0
	v_mov_b32_e32 v34, 0
	s_and_saveexec_b64 s[0:1], vcc
	s_cbranch_execz .LBB121_8
; %bb.7:                                ;   in Loop: Header=BB121_4 Depth=1
	v_mov_b32_e32 v34, s19
	v_add_co_u32_e32 v36, vcc, s18, v18
	v_addc_co_u32_e32 v37, vcc, v19, v34, vcc
	global_load_ubyte v34, v[36:37], off
.LBB121_8:                              ;   in Loop: Header=BB121_4 Depth=1
	s_or_b64 exec, exec, s[0:1]
	v_mov_b32_e32 v37, s19
	v_add_co_u32_e32 v36, vcc, s18, v30
	v_addc_co_u32_e32 v37, vcc, v31, v37, vcc
	v_cmp_gt_u64_e32 vcc, s[16:17], v[36:37]
	v_mov_b32_e32 v36, 0
	s_and_saveexec_b64 s[20:21], vcc
	s_cbranch_execz .LBB121_10
; %bb.9:                                ;   in Loop: Header=BB121_4 Depth=1
	v_mov_b32_e32 v35, s19
	v_add_co_u32_e64 v37, s[0:1], s18, v22
	v_addc_co_u32_e64 v38, s[0:1], v23, v35, s[0:1]
	v_add_co_u32_e64 v39, s[0:1], s18, v20
	v_addc_co_u32_e64 v40, s[0:1], v21, v35, s[0:1]
	global_load_ubyte v36, v[39:40], off
	global_load_ubyte v35, v[37:38], off
.LBB121_10:                             ;   in Loop: Header=BB121_4 Depth=1
	s_or_b64 exec, exec, s[20:21]
	v_mov_b32_e32 v37, 0
	v_mov_b32_e32 v38, 0
	s_and_saveexec_b64 s[0:1], vcc
	s_cbranch_execz .LBB121_12
; %bb.11:                               ;   in Loop: Header=BB121_4 Depth=1
	v_mov_b32_e32 v39, s19
	v_add_co_u32_e32 v38, vcc, s18, v24
	v_addc_co_u32_e32 v39, vcc, v25, v39, vcc
	global_load_ubyte v38, v[38:39], off
.LBB121_12:                             ;   in Loop: Header=BB121_4 Depth=1
	s_or_b64 exec, exec, s[0:1]
	v_mov_b32_e32 v40, s19
	v_add_co_u32_e32 v39, vcc, s18, v28
	v_addc_co_u32_e32 v40, vcc, v29, v40, vcc
	v_cmp_gt_u64_e32 vcc, s[16:17], v[39:40]
	v_mov_b32_e32 v39, 0
	s_and_saveexec_b64 s[20:21], vcc
	s_cbranch_execz .LBB121_14
; %bb.13:                               ;   in Loop: Header=BB121_4 Depth=1
	v_mov_b32_e32 v37, s19
	v_add_co_u32_e64 v40, s[0:1], s18, v12
	v_addc_co_u32_e64 v41, s[0:1], v13, v37, s[0:1]
	v_add_co_u32_e64 v42, s[0:1], s18, v6
	v_addc_co_u32_e64 v43, s[0:1], v7, v37, s[0:1]
	global_load_ubyte v39, v[42:43], off
	global_load_ubyte v37, v[40:41], off
.LBB121_14:                             ;   in Loop: Header=BB121_4 Depth=1
	s_or_b64 exec, exec, s[20:21]
	v_mov_b32_e32 v40, 0
	v_mov_b32_e32 v41, 0
	s_and_saveexec_b64 s[0:1], vcc
	s_cbranch_execz .LBB121_16
; %bb.15:                               ;   in Loop: Header=BB121_4 Depth=1
	v_mov_b32_e32 v42, s19
	v_add_co_u32_e32 v41, vcc, s18, v14
	v_addc_co_u32_e32 v42, vcc, v15, v42, vcc
	global_load_ubyte v41, v[41:42], off
.LBB121_16:                             ;   in Loop: Header=BB121_4 Depth=1
	s_or_b64 exec, exec, s[0:1]
	v_mov_b32_e32 v43, s19
	v_add_co_u32_e32 v42, vcc, s18, v26
	v_addc_co_u32_e32 v43, vcc, v27, v43, vcc
	v_cmp_gt_u64_e32 vcc, s[16:17], v[42:43]
	v_mov_b32_e32 v42, 0
	s_and_saveexec_b64 s[0:1], vcc
	s_cbranch_execz .LBB121_3
; %bb.17:                               ;   in Loop: Header=BB121_4 Depth=1
	v_mov_b32_e32 v40, s19
	v_add_co_u32_e32 v43, vcc, s18, v8
	v_addc_co_u32_e32 v44, vcc, v9, v40, vcc
	v_add_co_u32_e32 v45, vcc, s18, v3
	v_addc_co_u32_e32 v46, vcc, v5, v40, vcc
	global_load_ubyte v42, v[45:46], off
	global_load_ubyte v40, v[43:44], off
	s_branch .LBB121_3
.LBB121_18:
	s_mov_b64 s[0:1], 0
.LBB121_19:
	s_andn2_b64 vcc, exec, s[0:1]
	s_cbranch_vccnz .LBB121_23
; %bb.20:
	v_mov_b32_e32 v1, 0x10000
	v_mov_b32_e32 v2, 0
	v_cmp_lt_i64_e32 vcc, s[12:13], v[1:2]
	v_mov_b32_e32 v3, 0
	s_and_b64 s[0:1], vcc, exec
	s_cselect_b32 s13, s13, 0
	s_cselect_b32 s12, s12, 0x10000
	v_lshlrev_b32_e32 v2, 2, v0
	v_cmp_gt_i64_e32 vcc, s[12:13], v[2:3]
	s_and_saveexec_b64 s[0:1], vcc
	s_cbranch_execz .LBB121_23
; %bb.21:
	s_load_dword s0, s[4:5], 0xc84
	v_mov_b32_e32 v1, v3
	v_mov_b32_e32 v3, s3
	v_add_co_u32_e32 v2, vcc, s2, v2
	s_waitcnt lgkmcnt(0)
	s_and_b32 s16, s0, 0xffff
	v_addc_co_u32_e32 v3, vcc, 0, v3, vcc
	s_lshl_b32 s17, s16, 2
	s_mov_b64 s[14:15], 0
	v_mov_b32_e32 v5, s7
	v_mov_b32_e32 v6, s9
	;; [unrolled: 1-line block ×3, first 2 shown]
	s_mov_b32 s7, 0x6050400
.LBB121_22:                             ; =>This Inner Loop Header: Depth=1
	v_add_co_u32_e32 v8, vcc, s6, v2
	v_addc_co_u32_e32 v9, vcc, v5, v3, vcc
	v_add_co_u32_e32 v10, vcc, s8, v2
	v_addc_co_u32_e32 v11, vcc, v6, v3, vcc
	;; [unrolled: 2-line block ×3, first 2 shown]
	global_load_dword v14, v[10:11], off
	global_load_dword v15, v[12:13], off
	;; [unrolled: 1-line block ×3, first 2 shown]
	v_add_co_u32_e32 v0, vcc, s16, v0
	v_addc_co_u32_e32 v1, vcc, 0, v1, vcc
	v_add_co_u32_e32 v2, vcc, s17, v2
	v_lshlrev_b64 v[10:11], 2, v[0:1]
	v_addc_co_u32_e32 v3, vcc, 0, v3, vcc
	v_cmp_le_i64_e32 vcc, s[12:13], v[10:11]
	s_or_b64 s[14:15], vcc, s[14:15]
	s_waitcnt vmcnt(2)
	v_cvt_f32_ubyte1_e32 v13, v14
	s_waitcnt vmcnt(1)
	v_cvt_f32_ubyte1_e32 v17, v15
	v_cvt_f32_ubyte2_e32 v20, v15
	v_cvt_f32_ubyte0_e32 v11, v15
	v_cvt_f32_ubyte3_e32 v15, v15
	v_rcp_iflag_f32_e32 v23, v17
	v_rcp_iflag_f32_e32 v24, v20
	;; [unrolled: 1-line block ×4, first 2 shown]
	v_cvt_f32_ubyte2_e32 v19, v14
	v_cvt_f32_ubyte0_e32 v10, v14
	v_cvt_f32_ubyte3_e32 v14, v14
	v_mul_f32_e32 v23, v13, v23
	v_mul_f32_e32 v24, v19, v24
	;; [unrolled: 1-line block ×4, first 2 shown]
	v_trunc_f32_e32 v23, v23
	v_trunc_f32_e32 v24, v24
	;; [unrolled: 1-line block ×4, first 2 shown]
	v_mad_f32 v13, -v23, v17, v13
	v_cvt_u32_f32_e32 v23, v23
	v_mad_f32 v19, -v24, v20, v19
	v_cvt_u32_f32_e32 v24, v24
	;; [unrolled: 2-line block ×4, first 2 shown]
	v_cmp_ge_f32_e64 vcc, |v13|, v17
	v_cmp_ge_f32_e64 s[0:1], |v19|, v20
	s_waitcnt vmcnt(0)
	v_lshrrev_b32_e32 v12, 8, v16
	v_lshrrev_b32_e32 v18, 16, v16
	v_cmp_ge_f32_e64 s[2:3], |v14|, v15
	v_cmp_ge_f32_e64 s[4:5], |v10|, v11
	v_addc_co_u32_e32 v11, vcc, 0, v23, vcc
	v_addc_co_u32_e64 v13, vcc, 0, v24, s[0:1]
	v_lshrrev_b32_e32 v21, 24, v16
	v_addc_co_u32_e64 v10, s[4:5], 0, v22, s[4:5]
	v_addc_co_u32_e64 v14, vcc, 0, v25, s[2:3]
	v_mad_legacy_u16 v11, v11, v4, v12
	v_mad_legacy_u16 v12, v13, v4, v18
	;; [unrolled: 1-line block ×4, first 2 shown]
	v_and_b32_e32 v11, 0xff, v11
	v_and_b32_e32 v12, 0xff, v12
	v_lshlrev_b32_e32 v13, 24, v13
	v_perm_b32 v10, v11, v10, s7
	v_lshlrev_b32_e32 v11, 16, v12
	v_or3_b32 v10, v10, v11, v13
	global_store_dword v[8:9], v10, off
	s_andn2_b64 exec, exec, s[14:15]
	s_cbranch_execnz .LBB121_22
.LBB121_23:
	s_endpgm
	.section	.rodata,"a",@progbits
	.p2align	6, 0x0
	.amdhsa_kernel _ZN2at6native12_GLOBAL__N_125multi_tensor_apply_kernelINS1_28TensorListScalarListMetadataIhLi3EEENS1_28PointwiseOpScalarListFunctorIhLi3ELi3ELi0EEEJSt7dividesIhEEEEvT_T0_DpT1_
		.amdhsa_group_segment_fixed_size 0
		.amdhsa_private_segment_fixed_size 0
		.amdhsa_kernarg_size 3448
		.amdhsa_user_sgpr_count 6
		.amdhsa_user_sgpr_private_segment_buffer 1
		.amdhsa_user_sgpr_dispatch_ptr 0
		.amdhsa_user_sgpr_queue_ptr 0
		.amdhsa_user_sgpr_kernarg_segment_ptr 1
		.amdhsa_user_sgpr_dispatch_id 0
		.amdhsa_user_sgpr_flat_scratch_init 0
		.amdhsa_user_sgpr_private_segment_size 0
		.amdhsa_uses_dynamic_stack 0
		.amdhsa_system_sgpr_private_segment_wavefront_offset 0
		.amdhsa_system_sgpr_workgroup_id_x 1
		.amdhsa_system_sgpr_workgroup_id_y 0
		.amdhsa_system_sgpr_workgroup_id_z 0
		.amdhsa_system_sgpr_workgroup_info 0
		.amdhsa_system_vgpr_workitem_id 0
		.amdhsa_next_free_vgpr 47
		.amdhsa_next_free_sgpr 23
		.amdhsa_reserve_vcc 1
		.amdhsa_reserve_flat_scratch 0
		.amdhsa_float_round_mode_32 0
		.amdhsa_float_round_mode_16_64 0
		.amdhsa_float_denorm_mode_32 3
		.amdhsa_float_denorm_mode_16_64 3
		.amdhsa_dx10_clamp 1
		.amdhsa_ieee_mode 1
		.amdhsa_fp16_overflow 0
		.amdhsa_exception_fp_ieee_invalid_op 0
		.amdhsa_exception_fp_denorm_src 0
		.amdhsa_exception_fp_ieee_div_zero 0
		.amdhsa_exception_fp_ieee_overflow 0
		.amdhsa_exception_fp_ieee_underflow 0
		.amdhsa_exception_fp_ieee_inexact 0
		.amdhsa_exception_int_div_zero 0
	.end_amdhsa_kernel
	.section	.text._ZN2at6native12_GLOBAL__N_125multi_tensor_apply_kernelINS1_28TensorListScalarListMetadataIhLi3EEENS1_28PointwiseOpScalarListFunctorIhLi3ELi3ELi0EEEJSt7dividesIhEEEEvT_T0_DpT1_,"axG",@progbits,_ZN2at6native12_GLOBAL__N_125multi_tensor_apply_kernelINS1_28TensorListScalarListMetadataIhLi3EEENS1_28PointwiseOpScalarListFunctorIhLi3ELi3ELi0EEEJSt7dividesIhEEEEvT_T0_DpT1_,comdat
.Lfunc_end121:
	.size	_ZN2at6native12_GLOBAL__N_125multi_tensor_apply_kernelINS1_28TensorListScalarListMetadataIhLi3EEENS1_28PointwiseOpScalarListFunctorIhLi3ELi3ELi0EEEJSt7dividesIhEEEEvT_T0_DpT1_, .Lfunc_end121-_ZN2at6native12_GLOBAL__N_125multi_tensor_apply_kernelINS1_28TensorListScalarListMetadataIhLi3EEENS1_28PointwiseOpScalarListFunctorIhLi3ELi3ELi0EEEJSt7dividesIhEEEEvT_T0_DpT1_
                                        ; -- End function
	.set _ZN2at6native12_GLOBAL__N_125multi_tensor_apply_kernelINS1_28TensorListScalarListMetadataIhLi3EEENS1_28PointwiseOpScalarListFunctorIhLi3ELi3ELi0EEEJSt7dividesIhEEEEvT_T0_DpT1_.num_vgpr, 47
	.set _ZN2at6native12_GLOBAL__N_125multi_tensor_apply_kernelINS1_28TensorListScalarListMetadataIhLi3EEENS1_28PointwiseOpScalarListFunctorIhLi3ELi3ELi0EEEJSt7dividesIhEEEEvT_T0_DpT1_.num_agpr, 0
	.set _ZN2at6native12_GLOBAL__N_125multi_tensor_apply_kernelINS1_28TensorListScalarListMetadataIhLi3EEENS1_28PointwiseOpScalarListFunctorIhLi3ELi3ELi0EEEJSt7dividesIhEEEEvT_T0_DpT1_.numbered_sgpr, 23
	.set _ZN2at6native12_GLOBAL__N_125multi_tensor_apply_kernelINS1_28TensorListScalarListMetadataIhLi3EEENS1_28PointwiseOpScalarListFunctorIhLi3ELi3ELi0EEEJSt7dividesIhEEEEvT_T0_DpT1_.num_named_barrier, 0
	.set _ZN2at6native12_GLOBAL__N_125multi_tensor_apply_kernelINS1_28TensorListScalarListMetadataIhLi3EEENS1_28PointwiseOpScalarListFunctorIhLi3ELi3ELi0EEEJSt7dividesIhEEEEvT_T0_DpT1_.private_seg_size, 0
	.set _ZN2at6native12_GLOBAL__N_125multi_tensor_apply_kernelINS1_28TensorListScalarListMetadataIhLi3EEENS1_28PointwiseOpScalarListFunctorIhLi3ELi3ELi0EEEJSt7dividesIhEEEEvT_T0_DpT1_.uses_vcc, 1
	.set _ZN2at6native12_GLOBAL__N_125multi_tensor_apply_kernelINS1_28TensorListScalarListMetadataIhLi3EEENS1_28PointwiseOpScalarListFunctorIhLi3ELi3ELi0EEEJSt7dividesIhEEEEvT_T0_DpT1_.uses_flat_scratch, 0
	.set _ZN2at6native12_GLOBAL__N_125multi_tensor_apply_kernelINS1_28TensorListScalarListMetadataIhLi3EEENS1_28PointwiseOpScalarListFunctorIhLi3ELi3ELi0EEEJSt7dividesIhEEEEvT_T0_DpT1_.has_dyn_sized_stack, 0
	.set _ZN2at6native12_GLOBAL__N_125multi_tensor_apply_kernelINS1_28TensorListScalarListMetadataIhLi3EEENS1_28PointwiseOpScalarListFunctorIhLi3ELi3ELi0EEEJSt7dividesIhEEEEvT_T0_DpT1_.has_recursion, 0
	.set _ZN2at6native12_GLOBAL__N_125multi_tensor_apply_kernelINS1_28TensorListScalarListMetadataIhLi3EEENS1_28PointwiseOpScalarListFunctorIhLi3ELi3ELi0EEEJSt7dividesIhEEEEvT_T0_DpT1_.has_indirect_call, 0
	.section	.AMDGPU.csdata,"",@progbits
; Kernel info:
; codeLenInByte = 1828
; TotalNumSgprs: 27
; NumVgprs: 47
; ScratchSize: 0
; MemoryBound: 0
; FloatMode: 240
; IeeeMode: 1
; LDSByteSize: 0 bytes/workgroup (compile time only)
; SGPRBlocks: 3
; VGPRBlocks: 11
; NumSGPRsForWavesPerEU: 27
; NumVGPRsForWavesPerEU: 47
; Occupancy: 5
; WaveLimiterHint : 0
; COMPUTE_PGM_RSRC2:SCRATCH_EN: 0
; COMPUTE_PGM_RSRC2:USER_SGPR: 6
; COMPUTE_PGM_RSRC2:TRAP_HANDLER: 0
; COMPUTE_PGM_RSRC2:TGID_X_EN: 1
; COMPUTE_PGM_RSRC2:TGID_Y_EN: 0
; COMPUTE_PGM_RSRC2:TGID_Z_EN: 0
; COMPUTE_PGM_RSRC2:TIDIG_COMP_CNT: 0
	.section	.text._ZN2at6native12_GLOBAL__N_125multi_tensor_apply_kernelINS1_28TensorListScalarListMetadataIaLi3EEENS1_28PointwiseOpScalarListFunctorIaLi3ELi3ELi0EEEJSt7dividesIaEEEEvT_T0_DpT1_,"axG",@progbits,_ZN2at6native12_GLOBAL__N_125multi_tensor_apply_kernelINS1_28TensorListScalarListMetadataIaLi3EEENS1_28PointwiseOpScalarListFunctorIaLi3ELi3ELi0EEEJSt7dividesIaEEEEvT_T0_DpT1_,comdat
	.globl	_ZN2at6native12_GLOBAL__N_125multi_tensor_apply_kernelINS1_28TensorListScalarListMetadataIaLi3EEENS1_28PointwiseOpScalarListFunctorIaLi3ELi3ELi0EEEJSt7dividesIaEEEEvT_T0_DpT1_ ; -- Begin function _ZN2at6native12_GLOBAL__N_125multi_tensor_apply_kernelINS1_28TensorListScalarListMetadataIaLi3EEENS1_28PointwiseOpScalarListFunctorIaLi3ELi3ELi0EEEJSt7dividesIaEEEEvT_T0_DpT1_
	.p2align	8
	.type	_ZN2at6native12_GLOBAL__N_125multi_tensor_apply_kernelINS1_28TensorListScalarListMetadataIaLi3EEENS1_28PointwiseOpScalarListFunctorIaLi3ELi3ELi0EEEJSt7dividesIaEEEEvT_T0_DpT1_,@function
_ZN2at6native12_GLOBAL__N_125multi_tensor_apply_kernelINS1_28TensorListScalarListMetadataIaLi3EEENS1_28PointwiseOpScalarListFunctorIaLi3ELi3ELi0EEEJSt7dividesIaEEEEvT_T0_DpT1_: ; @_ZN2at6native12_GLOBAL__N_125multi_tensor_apply_kernelINS1_28TensorListScalarListMetadataIaLi3EEENS1_28PointwiseOpScalarListFunctorIaLi3ELi3ELi0EEEJSt7dividesIaEEEEvT_T0_DpT1_
; %bb.0:
	v_mov_b32_e32 v1, s6
	global_load_ubyte v3, v1, s[4:5] offset:1584
	s_add_u32 s0, s4, s6
	s_addc_u32 s1, s5, 0
	s_mul_hi_u32 s2, s6, 3
	s_mul_i32 s6, s6, 3
	s_add_u32 s0, s0, s6
	s_addc_u32 s1, s1, s2
	v_mov_b32_e32 v2, s5
	s_load_dword s0, s[0:1], 0x770
	s_mov_b32 s3, 0
	s_waitcnt lgkmcnt(0)
	s_ashr_i32 s1, s0, 31
	s_lshl_b64 s[20:21], s[0:1], 16
	s_waitcnt vmcnt(0)
	v_add_co_u32_e32 v1, vcc, s4, v3
	v_addc_co_u32_e32 v2, vcc, 0, v2, vcc
	global_load_ubyte v4, v[1:2], off offset:1536
	v_readfirstlane_b32 s2, v3
	s_lshl_b32 s2, s2, 3
	s_load_dwordx2 s[14:15], s[4:5], s2 offset:0x0
	s_load_dwordx2 s[6:7], s[4:5], s2 offset:0x480
	;; [unrolled: 1-line block ×4, first 2 shown]
	s_waitcnt lgkmcnt(0)
	s_add_u32 s0, s14, s20
	s_addc_u32 s1, s15, s21
	s_add_u32 s2, s16, s20
	s_or_b32 s2, s18, s2
	s_and_b32 s2, s2, 3
	s_cmp_eq_u32 s2, 0
	s_cselect_b64 s[8:9], -1, 0
	s_sub_u32 s22, s6, s20
	s_subb_u32 s23, s7, s21
	s_or_b64 s[0:1], s[6:7], s[0:1]
	s_and_b32 s2, s0, 3
	s_cmp_eq_u64 s[2:3], 0
	s_cselect_b64 s[0:1], -1, 0
	s_and_b64 s[2:3], s[8:9], s[0:1]
	s_mov_b64 s[0:1], -1
	s_and_b64 vcc, exec, s[2:3]
	s_cbranch_vccnz .LBB122_45
; %bb.1:
	v_cmp_lt_i64_e64 s[0:1], s[22:23], 1
	s_and_b64 vcc, exec, s[0:1]
	s_cbranch_vccnz .LBB122_44
; %bb.2:
	v_mov_b32_e32 v1, 0x10000
	s_load_dword s2, s[4:5], 0xc84
	v_mov_b32_e32 v2, 0
	v_cmp_lt_i64_e32 vcc, s[22:23], v[1:2]
	v_mov_b32_e32 v5, s15
	s_and_b64 s[0:1], vcc, exec
	v_cmp_lt_u64_e32 vcc, s[22:23], v[1:2]
	s_cselect_b32 s25, s23, 0
	s_cselect_b32 s24, s22, 0x10000
	s_waitcnt lgkmcnt(0)
	s_and_b32 s2, s2, 0xffff
	v_mov_b32_e32 v1, 1
	s_and_b64 s[0:1], vcc, exec
	s_waitcnt vmcnt(0)
	v_cmp_ne_u32_sdwa s[28:29], v4, v1 src0_sel:BYTE_0 src1_sel:DWORD
	v_mov_b32_e32 v1, s21
	v_add_co_u32_e32 v20, vcc, s20, v0
	s_cselect_b32 s27, s23, 0
	s_cselect_b32 s26, s22, 0x10000
	s_lshl_b32 s3, s2, 1
	s_mul_i32 s0, s2, 3
	s_lshl_b32 s33, s2, 2
	v_addc_co_u32_e32 v21, vcc, 0, v1, vcc
	v_mov_b32_e32 v2, s15
	v_add_co_u32_e32 v1, vcc, s14, v20
	s_add_u32 s1, s20, s0
	v_addc_co_u32_e32 v2, vcc, v2, v21, vcc
	s_addc_u32 s6, s21, 0
	v_mov_b32_e32 v3, s6
	v_add_co_u32_e32 v8, vcc, s1, v0
	v_addc_co_u32_e32 v9, vcc, 0, v3, vcc
	v_add_co_u32_e32 v3, vcc, s14, v8
	v_addc_co_u32_e32 v5, vcc, v5, v9, vcc
	v_mov_b32_e32 v7, s17
	v_add_co_u32_e32 v6, vcc, s16, v8
	v_addc_co_u32_e32 v7, vcc, v7, v9, vcc
	v_mov_b32_e32 v10, s19
	v_add_co_u32_e32 v8, vcc, s18, v8
	s_add_u32 s1, s20, s3
	v_addc_co_u32_e32 v9, vcc, v10, v9, vcc
	s_addc_u32 s6, s21, 0
	v_mov_b32_e32 v10, s6
	v_add_co_u32_e32 v14, vcc, s1, v0
	v_addc_co_u32_e32 v15, vcc, 0, v10, vcc
	v_mov_b32_e32 v11, s15
	v_add_co_u32_e32 v10, vcc, s14, v14
	v_addc_co_u32_e32 v11, vcc, v11, v15, vcc
	v_mov_b32_e32 v13, s17
	v_add_co_u32_e32 v12, vcc, s16, v14
	v_addc_co_u32_e32 v13, vcc, v13, v15, vcc
	v_mov_b32_e32 v16, s19
	v_add_co_u32_e32 v14, vcc, s18, v14
	v_addc_co_u32_e32 v15, vcc, v16, v15, vcc
	v_mov_b32_e32 v17, s17
	v_add_co_u32_e32 v16, vcc, s16, v20
	v_addc_co_u32_e32 v17, vcc, v17, v21, vcc
	v_mov_b32_e32 v19, s19
	v_add_co_u32_e32 v18, vcc, s18, v20
	v_addc_co_u32_e32 v19, vcc, v19, v21, vcc
	v_add_co_u32_e32 v24, vcc, s2, v20
	v_addc_co_u32_e32 v25, vcc, 0, v21, vcc
	v_mov_b32_e32 v21, s15
	v_add_co_u32_e32 v20, vcc, s14, v24
	v_addc_co_u32_e32 v21, vcc, v21, v25, vcc
	v_mov_b32_e32 v23, s17
	;; [unrolled: 3-line block ×3, first 2 shown]
	v_add_co_u32_e32 v24, vcc, s18, v24
	v_addc_co_u32_e32 v25, vcc, v26, v25, vcc
	v_add_co_u32_e32 v26, vcc, s0, v0
	v_addc_co_u32_e64 v27, s[0:1], 0, 0, vcc
	v_add_co_u32_e32 v28, vcc, s3, v0
	v_addc_co_u32_e64 v29, s[0:1], 0, 0, vcc
	v_add_co_u32_e32 v30, vcc, s2, v0
	s_mov_b64 s[30:31], 0
	v_addc_co_u32_e64 v31, s[0:1], 0, 0, vcc
	s_branch .LBB122_4
.LBB122_3:                              ;   in Loop: Header=BB122_4 Depth=1
	s_or_b64 exec, exec, s[0:1]
	s_add_u32 s30, s30, s33
	v_mov_b32_e32 v33, s25
	s_addc_u32 s31, s31, 0
	v_mov_b32_e32 v32, s24
	v_cmp_ge_i64_e32 vcc, s[30:31], v[32:33]
	s_cbranch_vccnz .LBB122_44
.LBB122_4:                              ; =>This Inner Loop Header: Depth=1
	v_mov_b32_e32 v33, s31
	v_add_co_u32_e32 v32, vcc, s30, v0
	v_addc_co_u32_e32 v33, vcc, 0, v33, vcc
	v_cmp_gt_u64_e64 s[0:1], s[26:27], v[32:33]
	v_mov_b32_e32 v39, 0
	v_mov_b32_e32 v33, 0
	s_and_saveexec_b64 s[2:3], s[0:1]
	s_cbranch_execz .LBB122_6
; %bb.5:                                ;   in Loop: Header=BB122_4 Depth=1
	v_mov_b32_e32 v32, s31
	v_add_co_u32_e32 v34, vcc, s30, v1
	v_addc_co_u32_e32 v35, vcc, v2, v32, vcc
	v_add_co_u32_e32 v36, vcc, s30, v16
	v_addc_co_u32_e32 v37, vcc, v17, v32, vcc
	global_load_ubyte v33, v[34:35], off
	global_load_ubyte v39, v[36:37], off
.LBB122_6:                              ;   in Loop: Header=BB122_4 Depth=1
	s_or_b64 exec, exec, s[2:3]
	v_mov_b32_e32 v37, 0
	v_mov_b32_e32 v43, 0
	s_and_saveexec_b64 s[2:3], s[0:1]
	s_cbranch_execz .LBB122_8
; %bb.7:                                ;   in Loop: Header=BB122_4 Depth=1
	v_mov_b32_e32 v32, s31
	v_add_co_u32_e32 v34, vcc, s30, v18
	v_addc_co_u32_e32 v35, vcc, v19, v32, vcc
	global_load_ubyte v43, v[34:35], off
.LBB122_8:                              ;   in Loop: Header=BB122_4 Depth=1
	s_or_b64 exec, exec, s[2:3]
	v_mov_b32_e32 v32, s31
	v_add_co_u32_e32 v34, vcc, s30, v30
	v_addc_co_u32_e32 v35, vcc, v31, v32, vcc
	v_cmp_gt_u64_e64 s[2:3], s[26:27], v[34:35]
	v_mov_b32_e32 v32, 0
	s_and_saveexec_b64 s[6:7], s[2:3]
	s_cbranch_execz .LBB122_10
; %bb.9:                                ;   in Loop: Header=BB122_4 Depth=1
	v_mov_b32_e32 v32, s31
	v_add_co_u32_e32 v34, vcc, s30, v22
	v_addc_co_u32_e32 v35, vcc, v23, v32, vcc
	v_add_co_u32_e32 v40, vcc, s30, v20
	v_addc_co_u32_e32 v41, vcc, v21, v32, vcc
	global_load_ubyte v32, v[40:41], off
	global_load_ubyte v37, v[34:35], off
.LBB122_10:                             ;   in Loop: Header=BB122_4 Depth=1
	s_or_b64 exec, exec, s[6:7]
	v_mov_b32_e32 v36, 0
	v_mov_b32_e32 v41, 0
	s_and_saveexec_b64 s[6:7], s[2:3]
	s_cbranch_execz .LBB122_12
; %bb.11:                               ;   in Loop: Header=BB122_4 Depth=1
	v_mov_b32_e32 v35, s31
	v_add_co_u32_e32 v34, vcc, s30, v24
	v_addc_co_u32_e32 v35, vcc, v25, v35, vcc
	global_load_ubyte v41, v[34:35], off
.LBB122_12:                             ;   in Loop: Header=BB122_4 Depth=1
	s_or_b64 exec, exec, s[6:7]
	v_mov_b32_e32 v35, s31
	v_add_co_u32_e32 v34, vcc, s30, v28
	v_addc_co_u32_e32 v35, vcc, v29, v35, vcc
	v_cmp_gt_u64_e64 s[6:7], s[26:27], v[34:35]
	v_mov_b32_e32 v34, 0
	s_and_saveexec_b64 s[8:9], s[6:7]
	s_cbranch_execz .LBB122_14
; %bb.13:                               ;   in Loop: Header=BB122_4 Depth=1
	v_mov_b32_e32 v34, s31
	v_add_co_u32_e32 v44, vcc, s30, v12
	v_addc_co_u32_e32 v45, vcc, v13, v34, vcc
	v_add_co_u32_e32 v46, vcc, s30, v10
	v_addc_co_u32_e32 v47, vcc, v11, v34, vcc
	global_load_ubyte v34, v[46:47], off
	global_load_ubyte v36, v[44:45], off
.LBB122_14:                             ;   in Loop: Header=BB122_4 Depth=1
	s_or_b64 exec, exec, s[8:9]
	v_mov_b32_e32 v38, 0
	v_mov_b32_e32 v40, 0
	s_and_saveexec_b64 s[8:9], s[6:7]
	s_cbranch_execz .LBB122_16
; %bb.15:                               ;   in Loop: Header=BB122_4 Depth=1
	v_mov_b32_e32 v35, s31
	v_add_co_u32_e32 v44, vcc, s30, v14
	v_addc_co_u32_e32 v45, vcc, v15, v35, vcc
	global_load_ubyte v40, v[44:45], off
.LBB122_16:                             ;   in Loop: Header=BB122_4 Depth=1
	s_or_b64 exec, exec, s[8:9]
	v_mov_b32_e32 v35, s31
	v_add_co_u32_e32 v44, vcc, s30, v26
	v_addc_co_u32_e32 v45, vcc, v27, v35, vcc
	v_cmp_gt_u64_e64 s[8:9], s[26:27], v[44:45]
	v_mov_b32_e32 v35, 0
	s_and_saveexec_b64 s[10:11], s[8:9]
	s_cbranch_execz .LBB122_18
; %bb.17:                               ;   in Loop: Header=BB122_4 Depth=1
	v_mov_b32_e32 v35, s31
	v_add_co_u32_e32 v44, vcc, s30, v6
	v_addc_co_u32_e32 v45, vcc, v7, v35, vcc
	v_add_co_u32_e32 v46, vcc, s30, v3
	v_addc_co_u32_e32 v47, vcc, v5, v35, vcc
	global_load_ubyte v35, v[46:47], off
	global_load_ubyte v38, v[44:45], off
.LBB122_18:                             ;   in Loop: Header=BB122_4 Depth=1
	s_or_b64 exec, exec, s[10:11]
	v_mov_b32_e32 v42, 0
	s_and_saveexec_b64 s[10:11], s[8:9]
	s_cbranch_execz .LBB122_20
; %bb.19:                               ;   in Loop: Header=BB122_4 Depth=1
	v_mov_b32_e32 v42, s31
	v_add_co_u32_e32 v44, vcc, s30, v8
	v_addc_co_u32_e32 v45, vcc, v9, v42, vcc
	global_load_ubyte v42, v[44:45], off
.LBB122_20:                             ;   in Loop: Header=BB122_4 Depth=1
	s_or_b64 exec, exec, s[10:11]
	s_waitcnt vmcnt(0)
	v_xor_b32_sdwa v44, sext(v39), sext(v43) dst_sel:DWORD dst_unused:UNUSED_PAD src0_sel:BYTE_0 src1_sel:BYTE_0
	v_cvt_f32_i32_sdwa v43, sext(v43) dst_sel:DWORD dst_unused:UNUSED_PAD src0_sel:BYTE_0
	v_cvt_f32_i32_sdwa v39, sext(v39) dst_sel:DWORD dst_unused:UNUSED_PAD src0_sel:BYTE_0
	v_ashrrev_i32_e32 v44, 30, v44
	v_or_b32_e32 v44, 1, v44
	v_rcp_iflag_f32_e32 v45, v43
	s_mov_b64 s[10:11], -1
	v_mul_f32_e32 v45, v39, v45
	v_trunc_f32_e32 v45, v45
	v_mad_f32 v39, -v45, v43, v39
	v_cvt_i32_f32_e32 v45, v45
	v_cmp_ge_f32_e64 vcc, |v39|, |v43|
	v_cndmask_b32_e32 v39, 0, v44, vcc
	s_and_b64 vcc, exec, s[28:29]
	v_add_u32_e32 v39, v45, v39
	v_bfe_i32 v43, v39, 0, 8
                                        ; implicit-def: $vgpr39
	s_cbranch_vccz .LBB122_22
; %bb.21:                               ;   in Loop: Header=BB122_4 Depth=1
	v_mad_legacy_u16 v39, v4, v43, v33
	s_mov_b64 s[10:11], 0
.LBB122_22:                             ;   in Loop: Header=BB122_4 Depth=1
	s_andn2_b64 vcc, exec, s[10:11]
	s_cbranch_vccnz .LBB122_24
; %bb.23:                               ;   in Loop: Header=BB122_4 Depth=1
	v_add_u16_e32 v39, v33, v43
.LBB122_24:                             ;   in Loop: Header=BB122_4 Depth=1
	v_cvt_f32_i32_sdwa v33, sext(v41) dst_sel:DWORD dst_unused:UNUSED_PAD src0_sel:BYTE_0
	v_xor_b32_sdwa v41, sext(v37), sext(v41) dst_sel:DWORD dst_unused:UNUSED_PAD src0_sel:BYTE_0 src1_sel:BYTE_0
	v_cvt_f32_i32_sdwa v37, sext(v37) dst_sel:DWORD dst_unused:UNUSED_PAD src0_sel:BYTE_0
	v_cndmask_b32_e64 v43, 0, 1, s[28:29]
	v_rcp_iflag_f32_e32 v44, v33
	v_cmp_ne_u32_e64 s[10:11], 1, v43
	v_ashrrev_i32_e32 v41, 30, v41
	v_or_b32_e32 v41, 1, v41
	v_mul_f32_e32 v43, v37, v44
	v_trunc_f32_e32 v43, v43
	v_cvt_i32_f32_e32 v44, v43
	v_mad_f32 v37, -v43, v33, v37
	v_cmp_ge_f32_e64 vcc, |v37|, |v33|
	v_cndmask_b32_e32 v33, 0, v41, vcc
	v_add_u32_e32 v33, v44, v33
	v_bfe_i32 v37, v33, 0, 8
	s_andn2_b64 vcc, exec, s[28:29]
	s_mov_b64 s[12:13], -1
                                        ; implicit-def: $vgpr33
	s_cbranch_vccnz .LBB122_26
; %bb.25:                               ;   in Loop: Header=BB122_4 Depth=1
	v_mad_legacy_u16 v33, v4, v37, v32
	s_mov_b64 s[12:13], 0
.LBB122_26:                             ;   in Loop: Header=BB122_4 Depth=1
	s_andn2_b64 vcc, exec, s[12:13]
	s_cbranch_vccnz .LBB122_28
; %bb.27:                               ;   in Loop: Header=BB122_4 Depth=1
	v_add_u16_e32 v33, v32, v37
.LBB122_28:                             ;   in Loop: Header=BB122_4 Depth=1
	v_cvt_f32_i32_sdwa v32, sext(v40) dst_sel:DWORD dst_unused:UNUSED_PAD src0_sel:BYTE_0
	v_xor_b32_sdwa v37, sext(v36), sext(v40) dst_sel:DWORD dst_unused:UNUSED_PAD src0_sel:BYTE_0 src1_sel:BYTE_0
	v_cvt_f32_i32_sdwa v36, sext(v36) dst_sel:DWORD dst_unused:UNUSED_PAD src0_sel:BYTE_0
	v_ashrrev_i32_e32 v37, 30, v37
	v_rcp_iflag_f32_e32 v40, v32
	v_or_b32_e32 v37, 1, v37
	s_and_b64 vcc, exec, s[10:11]
	v_mul_f32_e32 v40, v36, v40
	v_trunc_f32_e32 v40, v40
	v_cvt_i32_f32_e32 v41, v40
	v_mad_f32 v36, -v40, v32, v36
	v_cmp_ge_f32_e64 s[12:13], |v36|, |v32|
	v_cndmask_b32_e64 v32, 0, v37, s[12:13]
	v_add_u32_e32 v32, v41, v32
	v_bfe_i32 v36, v32, 0, 8
	s_mov_b64 s[12:13], -1
                                        ; implicit-def: $vgpr32
	s_cbranch_vccnz .LBB122_30
; %bb.29:                               ;   in Loop: Header=BB122_4 Depth=1
	v_mad_legacy_u16 v32, v4, v36, v34
	s_mov_b64 s[12:13], 0
.LBB122_30:                             ;   in Loop: Header=BB122_4 Depth=1
	s_andn2_b64 vcc, exec, s[12:13]
	s_cbranch_vccnz .LBB122_32
; %bb.31:                               ;   in Loop: Header=BB122_4 Depth=1
	v_add_u16_e32 v32, v34, v36
.LBB122_32:                             ;   in Loop: Header=BB122_4 Depth=1
	v_cvt_f32_i32_sdwa v34, sext(v42) dst_sel:DWORD dst_unused:UNUSED_PAD src0_sel:BYTE_0
	v_xor_b32_sdwa v36, sext(v38), sext(v42) dst_sel:DWORD dst_unused:UNUSED_PAD src0_sel:BYTE_0 src1_sel:BYTE_0
	v_cvt_f32_i32_sdwa v37, sext(v38) dst_sel:DWORD dst_unused:UNUSED_PAD src0_sel:BYTE_0
	v_ashrrev_i32_e32 v36, 30, v36
	v_rcp_iflag_f32_e32 v38, v34
	s_and_b64 vcc, exec, s[10:11]
	v_or_b32_e32 v36, 1, v36
	v_mul_f32_e32 v38, v37, v38
	v_trunc_f32_e32 v38, v38
	v_cvt_i32_f32_e32 v40, v38
	v_mad_f32 v37, -v38, v34, v37
	v_cmp_ge_f32_e64 s[10:11], |v37|, |v34|
	v_cndmask_b32_e64 v34, 0, v36, s[10:11]
	v_add_u32_e32 v34, v40, v34
	v_bfe_i32 v36, v34, 0, 8
	s_mov_b64 s[10:11], -1
                                        ; implicit-def: $vgpr34
	s_cbranch_vccz .LBB122_38
; %bb.33:                               ;   in Loop: Header=BB122_4 Depth=1
	s_andn2_b64 vcc, exec, s[10:11]
	s_cbranch_vccz .LBB122_39
.LBB122_34:                             ;   in Loop: Header=BB122_4 Depth=1
	s_and_saveexec_b64 s[10:11], s[0:1]
	s_xor_b64 s[0:1], exec, s[10:11]
	s_cbranch_execnz .LBB122_40
.LBB122_35:                             ;   in Loop: Header=BB122_4 Depth=1
	s_or_b64 exec, exec, s[0:1]
	s_and_saveexec_b64 s[0:1], s[2:3]
	s_cbranch_execnz .LBB122_41
.LBB122_36:                             ;   in Loop: Header=BB122_4 Depth=1
	s_or_b64 exec, exec, s[0:1]
	s_and_saveexec_b64 s[0:1], s[6:7]
	s_cbranch_execnz .LBB122_42
.LBB122_37:                             ;   in Loop: Header=BB122_4 Depth=1
	s_or_b64 exec, exec, s[0:1]
	s_and_saveexec_b64 s[0:1], s[8:9]
	s_cbranch_execz .LBB122_3
	s_branch .LBB122_43
.LBB122_38:                             ;   in Loop: Header=BB122_4 Depth=1
	v_mad_legacy_u16 v34, v4, v36, v35
	s_cbranch_execnz .LBB122_34
.LBB122_39:                             ;   in Loop: Header=BB122_4 Depth=1
	v_add_u16_e32 v34, v35, v36
	s_and_saveexec_b64 s[10:11], s[0:1]
	s_xor_b64 s[0:1], exec, s[10:11]
	s_cbranch_execz .LBB122_35
.LBB122_40:                             ;   in Loop: Header=BB122_4 Depth=1
	v_mov_b32_e32 v36, s31
	v_add_co_u32_e32 v35, vcc, s30, v1
	v_addc_co_u32_e32 v36, vcc, v2, v36, vcc
	global_store_byte v[35:36], v39, off
	s_or_b64 exec, exec, s[0:1]
	s_and_saveexec_b64 s[0:1], s[2:3]
	s_cbranch_execz .LBB122_36
.LBB122_41:                             ;   in Loop: Header=BB122_4 Depth=1
	v_mov_b32_e32 v36, s31
	v_add_co_u32_e32 v35, vcc, s30, v20
	v_addc_co_u32_e32 v36, vcc, v21, v36, vcc
	global_store_byte v[35:36], v33, off
	s_or_b64 exec, exec, s[0:1]
	s_and_saveexec_b64 s[0:1], s[6:7]
	s_cbranch_execz .LBB122_37
.LBB122_42:                             ;   in Loop: Header=BB122_4 Depth=1
	v_mov_b32_e32 v33, s31
	v_add_co_u32_e32 v35, vcc, s30, v10
	v_addc_co_u32_e32 v36, vcc, v11, v33, vcc
	global_store_byte v[35:36], v32, off
	s_or_b64 exec, exec, s[0:1]
	s_and_saveexec_b64 s[0:1], s[8:9]
	s_cbranch_execz .LBB122_3
.LBB122_43:                             ;   in Loop: Header=BB122_4 Depth=1
	v_mov_b32_e32 v33, s31
	v_add_co_u32_e32 v32, vcc, s30, v3
	v_addc_co_u32_e32 v33, vcc, v5, v33, vcc
	global_store_byte v[32:33], v34, off
	s_branch .LBB122_3
.LBB122_44:
	s_mov_b64 s[0:1], 0
.LBB122_45:
	s_andn2_b64 vcc, exec, s[0:1]
	s_cbranch_vccnz .LBB122_49
; %bb.46:
	v_mov_b32_e32 v1, 0x10000
	v_mov_b32_e32 v2, 0
	v_cmp_lt_i64_e32 vcc, s[22:23], v[1:2]
	v_mov_b32_e32 v3, 0
	s_and_b64 s[0:1], vcc, exec
	s_cselect_b32 s1, s23, 0
	s_cselect_b32 s0, s22, 0x10000
	v_lshlrev_b32_e32 v2, 2, v0
	v_cmp_gt_i64_e32 vcc, s[0:1], v[2:3]
	s_and_saveexec_b64 s[2:3], vcc
	s_cbranch_execz .LBB122_49
; %bb.47:
	s_load_dword s2, s[4:5], 0xc84
	v_mov_b32_e32 v1, v3
	v_mov_b32_e32 v3, s21
	v_add_co_u32_e32 v2, vcc, s20, v2
	s_waitcnt lgkmcnt(0)
	s_and_b32 s4, s2, 0xffff
	v_addc_co_u32_e32 v3, vcc, 0, v3, vcc
	s_lshl_b32 s5, s4, 2
	s_mov_b64 s[2:3], 0
	v_mov_b32_e32 v5, s15
	v_mov_b32_e32 v6, s17
	;; [unrolled: 1-line block ×3, first 2 shown]
	s_mov_b32 s6, 0x6050400
.LBB122_48:                             ; =>This Inner Loop Header: Depth=1
	v_add_co_u32_e32 v8, vcc, s14, v2
	v_addc_co_u32_e32 v9, vcc, v5, v3, vcc
	v_add_co_u32_e32 v10, vcc, s16, v2
	v_addc_co_u32_e32 v11, vcc, v6, v3, vcc
	;; [unrolled: 2-line block ×3, first 2 shown]
	global_load_dword v14, v[10:11], off
	global_load_dword v15, v[12:13], off
	;; [unrolled: 1-line block ×3, first 2 shown]
	v_add_co_u32_e32 v0, vcc, s4, v0
	v_addc_co_u32_e32 v1, vcc, 0, v1, vcc
	v_add_co_u32_e32 v2, vcc, s5, v2
	v_lshlrev_b64 v[10:11], 2, v[0:1]
	v_addc_co_u32_e32 v3, vcc, 0, v3, vcc
	v_cmp_le_i64_e32 vcc, s[0:1], v[10:11]
	s_or_b64 s[2:3], vcc, s[2:3]
	s_waitcnt vmcnt(2)
	v_cvt_f32_i32_sdwa v11, sext(v14) dst_sel:DWORD dst_unused:UNUSED_PAD src0_sel:BYTE_0
	s_waitcnt vmcnt(1)
	v_cvt_f32_i32_sdwa v12, sext(v15) dst_sel:DWORD dst_unused:UNUSED_PAD src0_sel:BYTE_0
	v_cvt_f32_i32_sdwa v21, sext(v15) dst_sel:DWORD dst_unused:UNUSED_PAD src0_sel:BYTE_1
	v_cvt_f32_i32_sdwa v24, sext(v15) dst_sel:DWORD dst_unused:UNUSED_PAD src0_sel:BYTE_2
	v_xor_b32_sdwa v10, sext(v14), sext(v15) dst_sel:DWORD dst_unused:UNUSED_PAD src0_sel:BYTE_0 src1_sel:BYTE_0
	v_xor_b32_sdwa v19, sext(v14), sext(v15) dst_sel:DWORD dst_unused:UNUSED_PAD src0_sel:BYTE_1 src1_sel:BYTE_1
	v_xor_b32_sdwa v22, sext(v14), sext(v15) dst_sel:DWORD dst_unused:UNUSED_PAD src0_sel:BYTE_2 src1_sel:BYTE_2
	v_xor_b32_sdwa v25, sext(v14), sext(v15) dst_sel:DWORD dst_unused:UNUSED_PAD src0_sel:BYTE_3 src1_sel:BYTE_3
	v_cvt_f32_i32_sdwa v15, sext(v15) dst_sel:DWORD dst_unused:UNUSED_PAD src0_sel:BYTE_3
	v_cvt_f32_i32_sdwa v20, sext(v14) dst_sel:DWORD dst_unused:UNUSED_PAD src0_sel:BYTE_1
	v_rcp_iflag_f32_e32 v26, v12
	v_rcp_iflag_f32_e32 v27, v21
	v_cvt_f32_i32_sdwa v23, sext(v14) dst_sel:DWORD dst_unused:UNUSED_PAD src0_sel:BYTE_2
	v_rcp_iflag_f32_e32 v28, v24
	v_cvt_f32_i32_sdwa v14, sext(v14) dst_sel:DWORD dst_unused:UNUSED_PAD src0_sel:BYTE_3
	v_rcp_iflag_f32_e32 v29, v15
	v_mul_f32_e32 v26, v11, v26
	v_mul_f32_e32 v27, v20, v27
	;; [unrolled: 1-line block ×3, first 2 shown]
	v_trunc_f32_e32 v26, v26
	v_trunc_f32_e32 v27, v27
	v_ashrrev_i32_e32 v10, 30, v10
	v_trunc_f32_e32 v28, v28
	v_mad_f32 v11, -v26, v12, v11
	v_mad_f32 v20, -v27, v21, v20
	v_cvt_i32_f32_e32 v27, v27
	v_ashrrev_i32_e32 v19, 30, v19
	v_or_b32_e32 v10, 1, v10
	v_mul_f32_e32 v29, v14, v29
	v_cvt_i32_f32_e32 v26, v26
	v_mad_f32 v23, -v28, v24, v23
	v_cvt_i32_f32_e32 v28, v28
	v_cmp_ge_f32_e64 vcc, |v11|, |v12|
	v_ashrrev_i32_e32 v22, 30, v22
	v_or_b32_e32 v19, 1, v19
	v_trunc_f32_e32 v29, v29
	v_cndmask_b32_e32 v10, 0, v10, vcc
	v_cmp_ge_f32_e64 vcc, |v20|, |v21|
	v_or_b32_e32 v22, 1, v22
	v_mad_f32 v14, -v29, v15, v14
	v_cvt_i32_f32_e32 v29, v29
	v_cndmask_b32_e32 v11, 0, v19, vcc
	v_cmp_ge_f32_e64 vcc, |v23|, |v24|
	s_waitcnt vmcnt(0)
	v_lshrrev_b32_e32 v13, 8, v16
	v_ashrrev_i32_e32 v25, 30, v25
	v_cndmask_b32_e32 v12, 0, v22, vcc
	v_add_u32_e32 v11, v27, v11
	v_lshrrev_b32_e32 v17, 16, v16
	v_or_b32_e32 v25, 1, v25
	v_cmp_ge_f32_e64 vcc, |v14|, |v15|
	v_add_u32_e32 v10, v26, v10
	v_add_u32_e32 v12, v28, v12
	v_mad_legacy_u16 v11, v4, v11, v13
	v_cndmask_b32_e32 v14, 0, v25, vcc
	v_mad_legacy_u16 v10, v4, v10, v16
	v_mad_legacy_u16 v12, v4, v12, v17
	v_and_b32_e32 v11, 0xff, v11
	v_lshrrev_b32_e32 v18, 24, v16
	v_add_u32_e32 v14, v29, v14
	v_and_b32_e32 v12, 0xff, v12
	v_perm_b32 v10, v11, v10, s6
	v_mad_legacy_u16 v13, v4, v14, v18
	v_lshl_or_b32 v10, v12, 16, v10
	v_lshl_or_b32 v10, v13, 24, v10
	global_store_dword v[8:9], v10, off
	s_andn2_b64 exec, exec, s[2:3]
	s_cbranch_execnz .LBB122_48
.LBB122_49:
	s_endpgm
	.section	.rodata,"a",@progbits
	.p2align	6, 0x0
	.amdhsa_kernel _ZN2at6native12_GLOBAL__N_125multi_tensor_apply_kernelINS1_28TensorListScalarListMetadataIaLi3EEENS1_28PointwiseOpScalarListFunctorIaLi3ELi3ELi0EEEJSt7dividesIaEEEEvT_T0_DpT1_
		.amdhsa_group_segment_fixed_size 0
		.amdhsa_private_segment_fixed_size 0
		.amdhsa_kernarg_size 3448
		.amdhsa_user_sgpr_count 6
		.amdhsa_user_sgpr_private_segment_buffer 1
		.amdhsa_user_sgpr_dispatch_ptr 0
		.amdhsa_user_sgpr_queue_ptr 0
		.amdhsa_user_sgpr_kernarg_segment_ptr 1
		.amdhsa_user_sgpr_dispatch_id 0
		.amdhsa_user_sgpr_flat_scratch_init 0
		.amdhsa_user_sgpr_private_segment_size 0
		.amdhsa_uses_dynamic_stack 0
		.amdhsa_system_sgpr_private_segment_wavefront_offset 0
		.amdhsa_system_sgpr_workgroup_id_x 1
		.amdhsa_system_sgpr_workgroup_id_y 0
		.amdhsa_system_sgpr_workgroup_id_z 0
		.amdhsa_system_sgpr_workgroup_info 0
		.amdhsa_system_vgpr_workitem_id 0
		.amdhsa_next_free_vgpr 48
		.amdhsa_next_free_sgpr 34
		.amdhsa_reserve_vcc 1
		.amdhsa_reserve_flat_scratch 0
		.amdhsa_float_round_mode_32 0
		.amdhsa_float_round_mode_16_64 0
		.amdhsa_float_denorm_mode_32 3
		.amdhsa_float_denorm_mode_16_64 3
		.amdhsa_dx10_clamp 1
		.amdhsa_ieee_mode 1
		.amdhsa_fp16_overflow 0
		.amdhsa_exception_fp_ieee_invalid_op 0
		.amdhsa_exception_fp_denorm_src 0
		.amdhsa_exception_fp_ieee_div_zero 0
		.amdhsa_exception_fp_ieee_overflow 0
		.amdhsa_exception_fp_ieee_underflow 0
		.amdhsa_exception_fp_ieee_inexact 0
		.amdhsa_exception_int_div_zero 0
	.end_amdhsa_kernel
	.section	.text._ZN2at6native12_GLOBAL__N_125multi_tensor_apply_kernelINS1_28TensorListScalarListMetadataIaLi3EEENS1_28PointwiseOpScalarListFunctorIaLi3ELi3ELi0EEEJSt7dividesIaEEEEvT_T0_DpT1_,"axG",@progbits,_ZN2at6native12_GLOBAL__N_125multi_tensor_apply_kernelINS1_28TensorListScalarListMetadataIaLi3EEENS1_28PointwiseOpScalarListFunctorIaLi3ELi3ELi0EEEJSt7dividesIaEEEEvT_T0_DpT1_,comdat
.Lfunc_end122:
	.size	_ZN2at6native12_GLOBAL__N_125multi_tensor_apply_kernelINS1_28TensorListScalarListMetadataIaLi3EEENS1_28PointwiseOpScalarListFunctorIaLi3ELi3ELi0EEEJSt7dividesIaEEEEvT_T0_DpT1_, .Lfunc_end122-_ZN2at6native12_GLOBAL__N_125multi_tensor_apply_kernelINS1_28TensorListScalarListMetadataIaLi3EEENS1_28PointwiseOpScalarListFunctorIaLi3ELi3ELi0EEEJSt7dividesIaEEEEvT_T0_DpT1_
                                        ; -- End function
	.set _ZN2at6native12_GLOBAL__N_125multi_tensor_apply_kernelINS1_28TensorListScalarListMetadataIaLi3EEENS1_28PointwiseOpScalarListFunctorIaLi3ELi3ELi0EEEJSt7dividesIaEEEEvT_T0_DpT1_.num_vgpr, 48
	.set _ZN2at6native12_GLOBAL__N_125multi_tensor_apply_kernelINS1_28TensorListScalarListMetadataIaLi3EEENS1_28PointwiseOpScalarListFunctorIaLi3ELi3ELi0EEEJSt7dividesIaEEEEvT_T0_DpT1_.num_agpr, 0
	.set _ZN2at6native12_GLOBAL__N_125multi_tensor_apply_kernelINS1_28TensorListScalarListMetadataIaLi3EEENS1_28PointwiseOpScalarListFunctorIaLi3ELi3ELi0EEEJSt7dividesIaEEEEvT_T0_DpT1_.numbered_sgpr, 34
	.set _ZN2at6native12_GLOBAL__N_125multi_tensor_apply_kernelINS1_28TensorListScalarListMetadataIaLi3EEENS1_28PointwiseOpScalarListFunctorIaLi3ELi3ELi0EEEJSt7dividesIaEEEEvT_T0_DpT1_.num_named_barrier, 0
	.set _ZN2at6native12_GLOBAL__N_125multi_tensor_apply_kernelINS1_28TensorListScalarListMetadataIaLi3EEENS1_28PointwiseOpScalarListFunctorIaLi3ELi3ELi0EEEJSt7dividesIaEEEEvT_T0_DpT1_.private_seg_size, 0
	.set _ZN2at6native12_GLOBAL__N_125multi_tensor_apply_kernelINS1_28TensorListScalarListMetadataIaLi3EEENS1_28PointwiseOpScalarListFunctorIaLi3ELi3ELi0EEEJSt7dividesIaEEEEvT_T0_DpT1_.uses_vcc, 1
	.set _ZN2at6native12_GLOBAL__N_125multi_tensor_apply_kernelINS1_28TensorListScalarListMetadataIaLi3EEENS1_28PointwiseOpScalarListFunctorIaLi3ELi3ELi0EEEJSt7dividesIaEEEEvT_T0_DpT1_.uses_flat_scratch, 0
	.set _ZN2at6native12_GLOBAL__N_125multi_tensor_apply_kernelINS1_28TensorListScalarListMetadataIaLi3EEENS1_28PointwiseOpScalarListFunctorIaLi3ELi3ELi0EEEJSt7dividesIaEEEEvT_T0_DpT1_.has_dyn_sized_stack, 0
	.set _ZN2at6native12_GLOBAL__N_125multi_tensor_apply_kernelINS1_28TensorListScalarListMetadataIaLi3EEENS1_28PointwiseOpScalarListFunctorIaLi3ELi3ELi0EEEJSt7dividesIaEEEEvT_T0_DpT1_.has_recursion, 0
	.set _ZN2at6native12_GLOBAL__N_125multi_tensor_apply_kernelINS1_28TensorListScalarListMetadataIaLi3EEENS1_28PointwiseOpScalarListFunctorIaLi3ELi3ELi0EEEJSt7dividesIaEEEEvT_T0_DpT1_.has_indirect_call, 0
	.section	.AMDGPU.csdata,"",@progbits
; Kernel info:
; codeLenInByte = 2324
; TotalNumSgprs: 38
; NumVgprs: 48
; ScratchSize: 0
; MemoryBound: 0
; FloatMode: 240
; IeeeMode: 1
; LDSByteSize: 0 bytes/workgroup (compile time only)
; SGPRBlocks: 4
; VGPRBlocks: 11
; NumSGPRsForWavesPerEU: 38
; NumVGPRsForWavesPerEU: 48
; Occupancy: 5
; WaveLimiterHint : 0
; COMPUTE_PGM_RSRC2:SCRATCH_EN: 0
; COMPUTE_PGM_RSRC2:USER_SGPR: 6
; COMPUTE_PGM_RSRC2:TRAP_HANDLER: 0
; COMPUTE_PGM_RSRC2:TGID_X_EN: 1
; COMPUTE_PGM_RSRC2:TGID_Y_EN: 0
; COMPUTE_PGM_RSRC2:TGID_Z_EN: 0
; COMPUTE_PGM_RSRC2:TIDIG_COMP_CNT: 0
	.section	.text._ZN2at6native12_GLOBAL__N_125multi_tensor_apply_kernelINS1_28TensorListScalarListMetadataIiLi3EEENS1_28PointwiseOpScalarListFunctorIiLi3ELi3ELi0EEEJSt7dividesIiEEEEvT_T0_DpT1_,"axG",@progbits,_ZN2at6native12_GLOBAL__N_125multi_tensor_apply_kernelINS1_28TensorListScalarListMetadataIiLi3EEENS1_28PointwiseOpScalarListFunctorIiLi3ELi3ELi0EEEJSt7dividesIiEEEEvT_T0_DpT1_,comdat
	.globl	_ZN2at6native12_GLOBAL__N_125multi_tensor_apply_kernelINS1_28TensorListScalarListMetadataIiLi3EEENS1_28PointwiseOpScalarListFunctorIiLi3ELi3ELi0EEEJSt7dividesIiEEEEvT_T0_DpT1_ ; -- Begin function _ZN2at6native12_GLOBAL__N_125multi_tensor_apply_kernelINS1_28TensorListScalarListMetadataIiLi3EEENS1_28PointwiseOpScalarListFunctorIiLi3ELi3ELi0EEEJSt7dividesIiEEEEvT_T0_DpT1_
	.p2align	8
	.type	_ZN2at6native12_GLOBAL__N_125multi_tensor_apply_kernelINS1_28TensorListScalarListMetadataIiLi3EEENS1_28PointwiseOpScalarListFunctorIiLi3ELi3ELi0EEEJSt7dividesIiEEEEvT_T0_DpT1_,@function
_ZN2at6native12_GLOBAL__N_125multi_tensor_apply_kernelINS1_28TensorListScalarListMetadataIiLi3EEENS1_28PointwiseOpScalarListFunctorIiLi3ELi3ELi0EEEJSt7dividesIiEEEEvT_T0_DpT1_: ; @_ZN2at6native12_GLOBAL__N_125multi_tensor_apply_kernelINS1_28TensorListScalarListMetadataIiLi3EEENS1_28PointwiseOpScalarListFunctorIiLi3ELi3ELi0EEEJSt7dividesIiEEEEvT_T0_DpT1_
; %bb.0:
	v_mov_b32_e32 v1, s6
	global_load_ubyte v1, v1, s[4:5] offset:1728
	s_add_u32 s0, s4, s6
	s_mul_i32 s1, s6, 3
	s_addc_u32 s2, s5, 0
	s_mul_hi_u32 s3, s6, 3
	s_add_u32 s0, s0, s1
	s_addc_u32 s1, s2, s3
	s_load_dword s8, s[0:1], 0x800
	s_mov_b32 s11, 0
	s_mov_b32 s13, s11
	s_waitcnt lgkmcnt(0)
	s_ashr_i32 s9, s8, 31
	s_waitcnt vmcnt(0)
	v_readfirstlane_b32 s0, v1
	v_lshlrev_b32_e32 v1, 2, v1
	s_lshl_b32 s6, s0, 3
	v_sub_co_u32_e32 v1, vcc, 0, v1
	v_subb_co_u32_e64 v2, s[0:1], 0, 0, vcc
	s_add_u32 s10, s4, s6
	s_load_dwordx2 s[24:25], s[4:5], s6 offset:0x480
	s_load_dwordx2 s[14:15], s[4:5], s6 offset:0x0
	;; [unrolled: 1-line block ×4, first 2 shown]
	s_addc_u32 s12, s5, 0
	v_mov_b32_e32 v3, s12
	v_add_co_u32_e32 v1, vcc, s10, v1
	s_lshl_b64 s[6:7], s[8:9], 18
	v_addc_co_u32_e32 v2, vcc, v3, v2, vcc
	v_readfirstlane_b32 s18, v1
	v_readfirstlane_b32 s19, v2
	s_waitcnt lgkmcnt(0)
	s_add_u32 s16, s14, s6
	s_load_dword s17, s[18:19], 0x600
	s_addc_u32 s18, s15, s7
	s_and_b32 s10, s16, 15
	s_add_u32 s19, s2, s6
	s_addc_u32 s20, s3, s7
	s_add_u32 s21, s0, s6
	s_addc_u32 s22, s1, s7
	s_or_b32 s12, s21, s19
	s_and_b32 s12, s12, 15
	s_cmp_eq_u32 s12, 0
	s_cselect_b64 s[26:27], -1, 0
	s_lshl_b64 s[8:9], s[8:9], 16
	s_sub_u32 s8, s24, s8
	s_subb_u32 s9, s25, s9
	s_and_b32 s12, s24, 3
	s_or_b64 s[10:11], s[10:11], s[12:13]
	s_cmp_eq_u64 s[10:11], 0
	s_cselect_b64 s[10:11], -1, 0
	s_and_b64 s[12:13], s[26:27], s[10:11]
	s_mov_b64 s[10:11], -1
	s_and_b64 vcc, exec, s[12:13]
	s_cbranch_vccnz .LBB123_19
; %bb.1:
	v_cmp_lt_i64_e64 s[10:11], s[8:9], 1
	s_and_b64 vcc, exec, s[10:11]
	s_cbranch_vccnz .LBB123_18
; %bb.2:
	v_mov_b32_e32 v1, 0x10000
	s_load_dword s12, s[4:5], 0xd14
	v_mov_b32_e32 v2, 0
	v_cmp_lt_i64_e32 vcc, s[8:9], v[1:2]
	v_mov_b32_e32 v3, 0
	s_and_b64 s[10:11], vcc, exec
	s_cselect_b32 s11, s9, 0
	s_cselect_b32 s10, s8, 0x10000
	v_cmp_lt_u64_e32 vcc, s[8:9], v[1:2]
	s_waitcnt lgkmcnt(0)
	s_and_b32 s25, s12, 0xffff
	v_lshlrev_b32_e32 v2, 2, v0
	v_mad_u64_u32 v[3:4], s[26:27], s25, 12, v[2:3]
	s_and_b64 s[12:13], vcc, exec
	v_mov_b32_e32 v6, s15
	v_add_co_u32_e32 v5, vcc, s14, v3
	s_cselect_b32 s13, s9, 0
	s_cselect_b32 s12, s8, 0x10000
	v_addc_co_u32_e32 v6, vcc, v6, v4, vcc
	s_lshl_b32 s26, s25, 3
	v_add_co_u32_e32 v15, vcc, s26, v2
	v_addc_co_u32_e64 v16, s[26:27], 0, 0, vcc
	v_mov_b32_e32 v8, s3
	v_add_co_u32_e32 v7, vcc, s2, v3
	v_addc_co_u32_e32 v8, vcc, v8, v4, vcc
	v_mov_b32_e32 v10, s1
	v_add_co_u32_e32 v9, vcc, s0, v3
	v_addc_co_u32_e32 v10, vcc, v10, v4, vcc
	;; [unrolled: 3-line block ×6, first 2 shown]
	v_mov_b32_e32 v20, s3
	v_add_co_u32_e32 v19, vcc, s2, v2
	s_lshl_b32 s28, s25, 1
	s_lshl_b32 s23, s25, 2
	;; [unrolled: 1-line block ×3, first 2 shown]
	v_addc_co_u32_e32 v20, vcc, 0, v20, vcc
	v_mov_b32_e32 v22, s1
	s_add_u32 s26, s14, s23
	v_add_co_u32_e32 v21, vcc, s0, v2
	s_addc_u32 s27, s15, 0
	v_addc_co_u32_e32 v22, vcc, 0, v22, vcc
	v_mov_b32_e32 v4, s27
	v_add_co_u32_e32 v23, vcc, s26, v2
	v_addc_co_u32_e32 v24, vcc, 0, v4, vcc
	v_add_co_u32_e32 v25, vcc, s25, v0
	v_lshlrev_b32_e32 v1, 2, v25
	v_addc_co_u32_e64 v26, s[26:27], 0, 0, vcc
	v_mov_b32_e32 v2, s15
	v_add_co_u32_e32 v27, vcc, s14, v1
	v_addc_co_u32_e32 v28, vcc, 0, v2, vcc
	v_mov_b32_e32 v2, s3
	v_add_co_u32_e32 v29, vcc, s2, v1
	v_addc_co_u32_e32 v30, vcc, 0, v2, vcc
	v_mov_b32_e32 v2, s1
	v_add_co_u32_e32 v31, vcc, s0, v1
	s_mul_i32 s29, s25, 3
	v_addc_co_u32_e32 v32, vcc, 0, v2, vcc
	v_add_co_u32_e32 v33, vcc, s29, v0
	v_addc_co_u32_e64 v34, s[0:1], 0, 0, vcc
	v_add_co_u32_e32 v35, vcc, s28, v0
	s_mov_b64 s[14:15], 0
	v_addc_co_u32_e64 v36, s[0:1], 0, 0, vcc
	s_branch .LBB123_4
.LBB123_3:                              ;   in Loop: Header=BB123_4 Depth=1
	s_or_b64 exec, exec, s[0:1]
	v_mov_b32_e32 v46, s7
	v_add_co_u32_e32 v44, vcc, s6, v9
	v_addc_co_u32_e32 v45, vcc, v10, v46, vcc
	global_load_dword v44, v[44:45], off
	s_waitcnt vmcnt(1)
	v_sub_u32_e32 v50, 0, v38
	v_sub_u32_e32 v49, 0, v42
	v_xor_b32_e32 v55, v37, v38
	v_max_i32_e32 v38, v38, v50
	v_sub_u32_e32 v45, 0, v41
	v_xor_b32_e32 v54, v42, v43
	v_max_i32_e32 v42, v42, v49
	v_cvt_f32_u32_e32 v49, v38
	v_sub_u32_e32 v47, 0, v39
	v_xor_b32_e32 v53, v39, v41
	v_max_i32_e32 v41, v41, v45
	v_max_i32_e32 v39, v39, v47
	v_cvt_f32_u32_e32 v47, v41
	v_rcp_iflag_f32_e32 v49, v49
	v_sub_u32_e32 v48, 0, v43
	v_max_i32_e32 v43, v43, v48
	v_rcp_iflag_f32_e32 v47, v47
	v_cvt_f32_u32_e32 v48, v43
	v_mul_f32_e32 v49, 0x4f7ffffe, v49
	v_cvt_u32_f32_e32 v49, v49
	v_mul_f32_e32 v47, 0x4f7ffffe, v47
	v_sub_u32_e32 v52, 0, v40
	v_rcp_iflag_f32_e32 v48, v48
	v_cvt_u32_f32_e32 v47, v47
	v_max_i32_e32 v45, v40, v52
	v_sub_u32_e32 v52, 0, v38
	v_mul_lo_u32 v52, v52, v49
	v_sub_u32_e32 v50, 0, v41
	v_mul_f32_e32 v48, 0x4f7ffffe, v48
	v_mul_lo_u32 v50, v50, v47
	v_cvt_u32_f32_e32 v48, v48
	v_mul_hi_u32 v52, v49, v52
	v_sub_u32_e32 v51, 0, v37
	v_max_i32_e32 v37, v37, v51
	v_sub_u32_e32 v51, 0, v43
	v_mul_hi_u32 v50, v47, v50
	v_mul_lo_u32 v51, v51, v48
	v_add_u32_e32 v49, v49, v52
	v_mul_hi_u32 v49, v37, v49
	v_add_u32_e32 v47, v47, v50
	v_mul_hi_u32 v51, v48, v51
	v_mul_hi_u32 v47, v39, v47
	v_ashrrev_i32_e32 v50, 31, v55
	v_mul_lo_u32 v55, v49, v38
	v_add_u32_e32 v48, v48, v51
	v_mul_lo_u32 v51, v47, v41
	v_mul_hi_u32 v48, v42, v48
	v_sub_u32_e32 v37, v37, v55
	v_sub_u32_e32 v55, v37, v38
	v_cmp_ge_u32_e64 s[2:3], v37, v38
	v_sub_u32_e32 v39, v39, v51
	v_cndmask_b32_e64 v37, v37, v55, s[2:3]
	v_add_u32_e32 v56, 1, v47
	v_cmp_ge_u32_e32 vcc, v39, v41
	v_mul_lo_u32 v52, v48, v43
	v_cndmask_b32_e32 v47, v47, v56, vcc
	v_sub_u32_e32 v51, v39, v41
	v_cndmask_b32_e32 v39, v39, v51, vcc
	v_sub_u32_e32 v42, v42, v52
	v_cmp_ge_u32_e32 vcc, v39, v41
	v_add_u32_e32 v57, 1, v48
	v_sub_u32_e32 v52, v42, v43
	v_cmp_ge_u32_e64 s[0:1], v42, v43
	v_cndmask_b32_e64 v42, v42, v52, s[0:1]
	v_cndmask_b32_e64 v48, v48, v57, s[0:1]
	v_add_u32_e32 v51, 1, v47
	v_add_u32_e32 v52, 1, v48
	v_cndmask_b32_e32 v39, v47, v51, vcc
	v_cmp_ge_u32_e32 vcc, v42, v43
	v_cndmask_b32_e32 v42, v48, v52, vcc
	v_cmp_ge_u32_e32 vcc, v37, v38
	v_ashrrev_i32_e32 v53, 31, v53
	v_ashrrev_i32_e32 v54, 31, v54
	v_add_u32_e32 v58, 1, v49
	v_cndmask_b32_e64 v49, v49, v58, s[2:3]
	v_add_u32_e32 v57, 1, v49
	v_cndmask_b32_e32 v37, v49, v57, vcc
	v_xor_b32_e32 v37, v37, v50
	v_sub_u32_e32 v43, v37, v50
	s_waitcnt vmcnt(0)
	v_sub_u32_e32 v55, 0, v44
	v_max_i32_e32 v55, v44, v55
	v_cvt_f32_u32_e32 v56, v55
	s_add_u32 s14, s14, s23
	s_addc_u32 s15, s15, 0
	v_rcp_iflag_f32_e32 v41, v56
	v_mul_f32_e32 v38, 0x4f7ffffe, v41
	v_cvt_u32_f32_e32 v41, v38
	v_xor_b32_e32 v38, v39, v53
	v_xor_b32_e32 v39, v42, v54
	v_sub_u32_e32 v42, 0, v55
	v_mul_lo_u32 v42, v42, v41
	v_sub_u32_e32 v38, v38, v53
	v_sub_u32_e32 v39, v39, v54
	v_mad_u64_u32 v[37:38], s[0:1], v38, s17, v[2:3]
	v_mul_hi_u32 v42, v41, v42
	v_add_u32_e32 v2, v41, v42
	v_mul_hi_u32 v41, v45, v2
	v_mad_u64_u32 v[2:3], s[0:1], v39, s17, v[3:4]
	v_xor_b32_e32 v3, v40, v44
	v_ashrrev_i32_e32 v3, 31, v3
	v_mad_u64_u32 v[38:39], s[0:1], v43, s17, v[1:2]
	v_mul_lo_u32 v1, v41, v55
	v_add_u32_e32 v39, 1, v41
	v_sub_u32_e32 v1, v45, v1
	v_sub_u32_e32 v40, v1, v55
	v_cmp_ge_u32_e32 vcc, v1, v55
	v_cndmask_b32_e32 v1, v1, v40, vcc
	v_cndmask_b32_e32 v39, v41, v39, vcc
	v_add_u32_e32 v40, 1, v39
	v_cmp_ge_u32_e32 vcc, v1, v55
	v_cndmask_b32_e32 v1, v39, v40, vcc
	v_add_co_u32_e32 v39, vcc, s6, v17
	v_addc_co_u32_e32 v40, vcc, v18, v46, vcc
	global_store_dword v[39:40], v38, off
	v_add_co_u32_e32 v38, vcc, s6, v23
	v_addc_co_u32_e32 v39, vcc, v24, v46, vcc
	v_xor_b32_e32 v1, v1, v3
	global_store_dword v[38:39], v37, off
	v_add_co_u32_e32 v37, vcc, s6, v11
	v_sub_u32_e32 v1, v1, v3
	v_addc_co_u32_e32 v38, vcc, v12, v46, vcc
	v_mad_u64_u32 v[3:4], s[0:1], v1, s17, v[4:5]
	v_add_co_u32_e32 v1, vcc, s6, v5
	global_store_dword v[37:38], v2, off
	v_addc_co_u32_e32 v2, vcc, v6, v46, vcc
	v_add_co_u32_e32 v17, vcc, s24, v17
	v_addc_co_u32_e32 v18, vcc, 0, v18, vcc
	v_add_co_u32_e32 v19, vcc, s24, v19
	;; [unrolled: 2-line block ×11, first 2 shown]
	v_addc_co_u32_e32 v28, vcc, 0, v28, vcc
	global_store_dword v[1:2], v3, off
	v_add_co_u32_e32 v29, vcc, s24, v29
	v_mov_b32_e32 v1, s10
	v_addc_co_u32_e32 v30, vcc, 0, v30, vcc
	v_mov_b32_e32 v2, s11
	v_cmp_lt_i64_e32 vcc, s[14:15], v[1:2]
	v_add_co_u32_e64 v31, s[0:1], s24, v31
	v_addc_co_u32_e64 v32, s[0:1], 0, v32, s[0:1]
	s_cbranch_vccz .LBB123_18
.LBB123_4:                              ; =>This Inner Loop Header: Depth=1
	v_mov_b32_e32 v2, s15
	v_add_co_u32_e32 v1, vcc, s14, v0
	v_addc_co_u32_e32 v2, vcc, 0, v2, vcc
	v_cmp_gt_u64_e32 vcc, s[12:13], v[1:2]
	v_mov_b32_e32 v37, 0
	v_mov_b32_e32 v1, 0
	s_and_saveexec_b64 s[2:3], vcc
	s_cbranch_execz .LBB123_6
; %bb.5:                                ;   in Loop: Header=BB123_4 Depth=1
	v_mov_b32_e32 v1, s7
	v_add_co_u32_e64 v2, s[0:1], s6, v17
	v_addc_co_u32_e64 v3, s[0:1], v18, v1, s[0:1]
	v_add_co_u32_e64 v38, s[0:1], s6, v19
	v_addc_co_u32_e64 v39, s[0:1], v20, v1, s[0:1]
	global_load_dword v1, v[2:3], off
	global_load_dword v37, v[38:39], off
.LBB123_6:                              ;   in Loop: Header=BB123_4 Depth=1
	s_or_b64 exec, exec, s[2:3]
	v_mov_b32_e32 v39, 0
	v_mov_b32_e32 v38, 0
	s_and_saveexec_b64 s[0:1], vcc
	s_cbranch_execz .LBB123_8
; %bb.7:                                ;   in Loop: Header=BB123_4 Depth=1
	v_mov_b32_e32 v3, s7
	v_add_co_u32_e32 v2, vcc, s6, v21
	v_addc_co_u32_e32 v3, vcc, v22, v3, vcc
	global_load_dword v38, v[2:3], off
.LBB123_8:                              ;   in Loop: Header=BB123_4 Depth=1
	s_or_b64 exec, exec, s[0:1]
	v_mov_b32_e32 v3, s15
	v_add_co_u32_e32 v2, vcc, s14, v25
	v_addc_co_u32_e32 v3, vcc, v26, v3, vcc
	v_cmp_gt_u64_e32 vcc, s[12:13], v[2:3]
	v_mov_b32_e32 v2, 0
	s_and_saveexec_b64 s[2:3], vcc
	s_cbranch_execz .LBB123_10
; %bb.9:                                ;   in Loop: Header=BB123_4 Depth=1
	v_mov_b32_e32 v2, s7
	v_add_co_u32_e64 v3, s[0:1], s6, v27
	v_addc_co_u32_e64 v4, s[0:1], v28, v2, s[0:1]
	v_add_co_u32_e64 v40, s[0:1], s6, v29
	v_addc_co_u32_e64 v41, s[0:1], v30, v2, s[0:1]
	global_load_dword v2, v[3:4], off
	global_load_dword v39, v[40:41], off
.LBB123_10:                             ;   in Loop: Header=BB123_4 Depth=1
	s_or_b64 exec, exec, s[2:3]
	v_mov_b32_e32 v42, 0
	v_mov_b32_e32 v41, 0
	s_and_saveexec_b64 s[0:1], vcc
	s_cbranch_execz .LBB123_12
; %bb.11:                               ;   in Loop: Header=BB123_4 Depth=1
	v_mov_b32_e32 v4, s7
	v_add_co_u32_e32 v3, vcc, s6, v31
	v_addc_co_u32_e32 v4, vcc, v32, v4, vcc
	global_load_dword v41, v[3:4], off
.LBB123_12:                             ;   in Loop: Header=BB123_4 Depth=1
	s_or_b64 exec, exec, s[0:1]
	v_mov_b32_e32 v4, s15
	v_add_co_u32_e32 v3, vcc, s14, v35
	v_addc_co_u32_e32 v4, vcc, v36, v4, vcc
	v_cmp_gt_u64_e32 vcc, s[12:13], v[3:4]
	v_mov_b32_e32 v3, 0
	s_and_saveexec_b64 s[2:3], vcc
	s_cbranch_execz .LBB123_14
; %bb.13:                               ;   in Loop: Header=BB123_4 Depth=1
	v_mov_b32_e32 v3, s7
	v_add_co_u32_e64 v43, s[0:1], s6, v11
	v_addc_co_u32_e64 v44, s[0:1], v12, v3, s[0:1]
	v_add_co_u32_e64 v45, s[0:1], s6, v13
	v_addc_co_u32_e64 v46, s[0:1], v14, v3, s[0:1]
	global_load_dword v3, v[43:44], off
	global_load_dword v42, v[45:46], off
.LBB123_14:                             ;   in Loop: Header=BB123_4 Depth=1
	s_or_b64 exec, exec, s[2:3]
	v_mov_b32_e32 v40, 0
	v_mov_b32_e32 v43, 0
	s_and_saveexec_b64 s[0:1], vcc
	s_cbranch_execz .LBB123_16
; %bb.15:                               ;   in Loop: Header=BB123_4 Depth=1
	v_mov_b32_e32 v4, s7
	v_add_co_u32_e32 v43, vcc, s6, v15
	v_addc_co_u32_e32 v44, vcc, v16, v4, vcc
	global_load_dword v43, v[43:44], off
.LBB123_16:                             ;   in Loop: Header=BB123_4 Depth=1
	s_or_b64 exec, exec, s[0:1]
	v_mov_b32_e32 v4, s15
	v_add_co_u32_e32 v44, vcc, s14, v33
	v_addc_co_u32_e32 v45, vcc, v34, v4, vcc
	v_cmp_gt_u64_e32 vcc, s[12:13], v[44:45]
	v_mov_b32_e32 v4, 0
	s_and_saveexec_b64 s[0:1], vcc
	s_cbranch_execz .LBB123_3
; %bb.17:                               ;   in Loop: Header=BB123_4 Depth=1
	v_mov_b32_e32 v4, s7
	v_add_co_u32_e32 v44, vcc, s6, v5
	v_addc_co_u32_e32 v45, vcc, v6, v4, vcc
	v_add_co_u32_e32 v46, vcc, s6, v7
	v_addc_co_u32_e32 v47, vcc, v8, v4, vcc
	global_load_dword v4, v[44:45], off
	global_load_dword v40, v[46:47], off
	s_branch .LBB123_3
.LBB123_18:
	s_mov_b64 s[10:11], 0
.LBB123_19:
	s_andn2_b64 vcc, exec, s[10:11]
	s_cbranch_vccnz .LBB123_23
; %bb.20:
	v_mov_b32_e32 v1, 0x10000
	v_mov_b32_e32 v2, 0
	v_cmp_lt_i64_e32 vcc, s[8:9], v[1:2]
	v_mov_b32_e32 v2, 0
	s_and_b64 s[0:1], vcc, exec
	s_cselect_b32 s9, s9, 0
	s_cselect_b32 s8, s8, 0x10000
	v_lshlrev_b32_e32 v1, 2, v0
	v_cmp_gt_i64_e32 vcc, s[8:9], v[1:2]
	s_and_saveexec_b64 s[0:1], vcc
	s_cbranch_execz .LBB123_23
; %bb.21:
	s_load_dword s0, s[4:5], 0xd14
	v_mov_b32_e32 v1, v2
	v_lshlrev_b32_e32 v2, 4, v0
	s_mov_b64 s[10:11], 0
	s_waitcnt lgkmcnt(0)
	s_and_b32 s12, s0, 0xffff
	s_lshl_b32 s13, s12, 4
.LBB123_22:                             ; =>This Inner Loop Header: Depth=1
	v_add_co_u32_e64 v0, s[2:3], s12, v0
	v_mov_b32_e32 v4, s20
	v_add_co_u32_e32 v15, vcc, s19, v2
	v_addc_co_u32_e64 v1, s[2:3], 0, v1, s[2:3]
	v_mov_b32_e32 v3, s18
	v_mov_b32_e32 v5, s22
	v_add_co_u32_e64 v17, s[0:1], s21, v2
	v_add_co_u32_e64 v19, s[2:3], s16, v2
	v_addc_co_u32_e32 v16, vcc, 0, v4, vcc
	v_addc_co_u32_e64 v20, s[2:3], 0, v3, s[2:3]
	v_addc_co_u32_e64 v18, vcc, 0, v5, s[0:1]
	global_load_dwordx4 v[3:6], v[15:16], off
	global_load_dwordx4 v[7:10], v[17:18], off
	;; [unrolled: 1-line block ×3, first 2 shown]
	v_lshlrev_b64 v[21:22], 2, v[0:1]
	s_add_u32 s21, s21, s13
	v_cmp_le_i64_e32 vcc, s[8:9], v[21:22]
	s_addc_u32 s22, s22, 0
	s_add_u32 s16, s16, s13
	s_addc_u32 s18, s18, 0
	s_add_u32 s19, s19, s13
	s_addc_u32 s20, s20, 0
	s_or_b64 s[10:11], vcc, s[10:11]
	s_waitcnt vmcnt(2)
	v_sub_u32_e32 v22, 0, v4
	s_waitcnt vmcnt(1)
	v_sub_u32_e32 v18, 0, v7
	v_xor_b32_e32 v16, v3, v7
	v_sub_u32_e32 v23, 0, v8
	v_max_i32_e32 v7, v7, v18
	v_xor_b32_e32 v21, v4, v8
	v_xor_b32_e32 v24, v5, v9
	v_sub_u32_e32 v26, 0, v9
	v_max_i32_e32 v4, v4, v22
	v_max_i32_e32 v8, v8, v23
	v_cvt_f32_u32_e32 v22, v7
	v_sub_u32_e32 v29, 0, v10
	v_ashrrev_i32_e32 v18, 31, v24
	v_max_i32_e32 v9, v9, v26
	v_cvt_f32_u32_e32 v24, v8
	v_xor_b32_e32 v27, v6, v10
	v_sub_u32_e32 v28, 0, v6
	v_max_i32_e32 v10, v10, v29
	v_cvt_f32_u32_e32 v26, v9
	v_max_i32_e32 v6, v6, v28
	v_cvt_f32_u32_e32 v28, v10
	v_rcp_iflag_f32_e32 v22, v22
	v_rcp_iflag_f32_e32 v24, v24
	;; [unrolled: 1-line block ×4, first 2 shown]
	v_mul_f32_e32 v22, 0x4f7ffffe, v22
	v_mul_f32_e32 v24, 0x4f7ffffe, v24
	v_cvt_u32_f32_e32 v22, v22
	v_mul_f32_e32 v26, 0x4f7ffffe, v26
	v_cvt_u32_f32_e32 v24, v24
	;; [unrolled: 2-line block ×3, first 2 shown]
	v_sub_u32_e32 v25, 0, v5
	v_sub_u32_e32 v23, 0, v7
	v_cvt_u32_f32_e32 v28, v28
	v_sub_u32_e32 v17, 0, v3
	v_max_i32_e32 v5, v5, v25
	v_sub_u32_e32 v25, 0, v8
	v_mul_lo_u32 v23, v23, v22
	v_max_i32_e32 v3, v3, v17
	v_ashrrev_i32_e32 v17, 31, v21
	v_ashrrev_i32_e32 v21, 31, v27
	v_sub_u32_e32 v27, 0, v9
	v_mul_lo_u32 v25, v25, v24
	v_sub_u32_e32 v29, 0, v10
	v_mul_lo_u32 v27, v27, v26
	v_mul_lo_u32 v29, v29, v28
	v_mul_hi_u32 v23, v22, v23
	v_mul_hi_u32 v25, v24, v25
	;; [unrolled: 1-line block ×4, first 2 shown]
	v_add_u32_e32 v22, v22, v23
	v_add_u32_e32 v23, v24, v25
	v_mul_hi_u32 v22, v3, v22
	v_add_u32_e32 v24, v26, v27
	v_mul_hi_u32 v23, v4, v23
	;; [unrolled: 2-line block ×3, first 2 shown]
	v_mul_hi_u32 v25, v6, v25
	v_mul_lo_u32 v26, v22, v7
	v_mul_lo_u32 v28, v23, v8
	;; [unrolled: 1-line block ×4, first 2 shown]
	v_sub_u32_e32 v3, v3, v26
	v_add_u32_e32 v27, 1, v22
	v_sub_u32_e32 v4, v4, v28
	v_cmp_ge_u32_e64 s[0:1], v3, v7
	v_sub_u32_e32 v26, v3, v7
	v_add_u32_e32 v29, 1, v23
	v_sub_u32_e32 v5, v5, v30
	v_cndmask_b32_e64 v22, v22, v27, s[0:1]
	v_cmp_ge_u32_e64 s[2:3], v4, v8
	v_sub_u32_e32 v27, v4, v8
	v_cndmask_b32_e64 v3, v3, v26, s[0:1]
	v_add_u32_e32 v32, 1, v24
	v_sub_u32_e32 v6, v6, v31
	v_cndmask_b32_e64 v23, v23, v29, s[2:3]
	v_cmp_ge_u32_e64 s[4:5], v5, v9
	v_sub_u32_e32 v28, v5, v9
	v_add_u32_e32 v26, 1, v22
	v_cndmask_b32_e64 v4, v4, v27, s[2:3]
	v_cmp_ge_u32_e64 s[0:1], v3, v7
	v_add_u32_e32 v33, 1, v25
	v_cndmask_b32_e64 v24, v24, v32, s[4:5]
	v_cmp_ge_u32_e64 s[6:7], v6, v10
	v_sub_u32_e32 v29, v6, v10
	v_add_u32_e32 v27, 1, v23
	v_cndmask_b32_e64 v5, v5, v28, s[4:5]
	v_cndmask_b32_e64 v3, v22, v26, s[0:1]
	v_cmp_ge_u32_e64 s[0:1], v4, v8
	v_cndmask_b32_e64 v25, v25, v33, s[6:7]
	v_add_u32_e32 v28, 1, v24
	v_cndmask_b32_e64 v6, v6, v29, s[6:7]
	v_cndmask_b32_e64 v4, v23, v27, s[0:1]
	v_cmp_ge_u32_e64 s[0:1], v5, v9
	v_ashrrev_i32_e32 v16, 31, v16
	v_add_u32_e32 v29, 1, v25
	v_cndmask_b32_e64 v5, v24, v28, s[0:1]
	v_cmp_ge_u32_e64 s[0:1], v6, v10
	v_cndmask_b32_e64 v6, v25, v29, s[0:1]
	v_xor_b32_e32 v3, v3, v16
	v_xor_b32_e32 v4, v4, v17
	;; [unrolled: 1-line block ×4, first 2 shown]
	v_sub_u32_e32 v3, v3, v16
	s_waitcnt vmcnt(0)
	v_mov_b32_e32 v15, v14
	v_sub_u32_e32 v9, v4, v17
	v_sub_u32_e32 v10, v5, v18
	;; [unrolled: 1-line block ×3, first 2 shown]
	v_mad_u64_u32 v[3:4], s[0:1], v3, s17, v[11:12]
	v_mad_u64_u32 v[7:8], s[0:1], v5, s17, v[15:16]
	;; [unrolled: 1-line block ×4, first 2 shown]
	v_mov_b32_e32 v6, v7
	global_store_dwordx4 v[19:20], v[3:6], off
	s_andn2_b64 exec, exec, s[10:11]
	s_cbranch_execnz .LBB123_22
.LBB123_23:
	s_endpgm
	.section	.rodata,"a",@progbits
	.p2align	6, 0x0
	.amdhsa_kernel _ZN2at6native12_GLOBAL__N_125multi_tensor_apply_kernelINS1_28TensorListScalarListMetadataIiLi3EEENS1_28PointwiseOpScalarListFunctorIiLi3ELi3ELi0EEEJSt7dividesIiEEEEvT_T0_DpT1_
		.amdhsa_group_segment_fixed_size 0
		.amdhsa_private_segment_fixed_size 0
		.amdhsa_kernarg_size 3592
		.amdhsa_user_sgpr_count 6
		.amdhsa_user_sgpr_private_segment_buffer 1
		.amdhsa_user_sgpr_dispatch_ptr 0
		.amdhsa_user_sgpr_queue_ptr 0
		.amdhsa_user_sgpr_kernarg_segment_ptr 1
		.amdhsa_user_sgpr_dispatch_id 0
		.amdhsa_user_sgpr_flat_scratch_init 0
		.amdhsa_user_sgpr_private_segment_size 0
		.amdhsa_uses_dynamic_stack 0
		.amdhsa_system_sgpr_private_segment_wavefront_offset 0
		.amdhsa_system_sgpr_workgroup_id_x 1
		.amdhsa_system_sgpr_workgroup_id_y 0
		.amdhsa_system_sgpr_workgroup_id_z 0
		.amdhsa_system_sgpr_workgroup_info 0
		.amdhsa_system_vgpr_workitem_id 0
		.amdhsa_next_free_vgpr 59
		.amdhsa_next_free_sgpr 30
		.amdhsa_reserve_vcc 1
		.amdhsa_reserve_flat_scratch 0
		.amdhsa_float_round_mode_32 0
		.amdhsa_float_round_mode_16_64 0
		.amdhsa_float_denorm_mode_32 3
		.amdhsa_float_denorm_mode_16_64 3
		.amdhsa_dx10_clamp 1
		.amdhsa_ieee_mode 1
		.amdhsa_fp16_overflow 0
		.amdhsa_exception_fp_ieee_invalid_op 0
		.amdhsa_exception_fp_denorm_src 0
		.amdhsa_exception_fp_ieee_div_zero 0
		.amdhsa_exception_fp_ieee_overflow 0
		.amdhsa_exception_fp_ieee_underflow 0
		.amdhsa_exception_fp_ieee_inexact 0
		.amdhsa_exception_int_div_zero 0
	.end_amdhsa_kernel
	.section	.text._ZN2at6native12_GLOBAL__N_125multi_tensor_apply_kernelINS1_28TensorListScalarListMetadataIiLi3EEENS1_28PointwiseOpScalarListFunctorIiLi3ELi3ELi0EEEJSt7dividesIiEEEEvT_T0_DpT1_,"axG",@progbits,_ZN2at6native12_GLOBAL__N_125multi_tensor_apply_kernelINS1_28TensorListScalarListMetadataIiLi3EEENS1_28PointwiseOpScalarListFunctorIiLi3ELi3ELi0EEEJSt7dividesIiEEEEvT_T0_DpT1_,comdat
.Lfunc_end123:
	.size	_ZN2at6native12_GLOBAL__N_125multi_tensor_apply_kernelINS1_28TensorListScalarListMetadataIiLi3EEENS1_28PointwiseOpScalarListFunctorIiLi3ELi3ELi0EEEJSt7dividesIiEEEEvT_T0_DpT1_, .Lfunc_end123-_ZN2at6native12_GLOBAL__N_125multi_tensor_apply_kernelINS1_28TensorListScalarListMetadataIiLi3EEENS1_28PointwiseOpScalarListFunctorIiLi3ELi3ELi0EEEJSt7dividesIiEEEEvT_T0_DpT1_
                                        ; -- End function
	.set _ZN2at6native12_GLOBAL__N_125multi_tensor_apply_kernelINS1_28TensorListScalarListMetadataIiLi3EEENS1_28PointwiseOpScalarListFunctorIiLi3ELi3ELi0EEEJSt7dividesIiEEEEvT_T0_DpT1_.num_vgpr, 59
	.set _ZN2at6native12_GLOBAL__N_125multi_tensor_apply_kernelINS1_28TensorListScalarListMetadataIiLi3EEENS1_28PointwiseOpScalarListFunctorIiLi3ELi3ELi0EEEJSt7dividesIiEEEEvT_T0_DpT1_.num_agpr, 0
	.set _ZN2at6native12_GLOBAL__N_125multi_tensor_apply_kernelINS1_28TensorListScalarListMetadataIiLi3EEENS1_28PointwiseOpScalarListFunctorIiLi3ELi3ELi0EEEJSt7dividesIiEEEEvT_T0_DpT1_.numbered_sgpr, 30
	.set _ZN2at6native12_GLOBAL__N_125multi_tensor_apply_kernelINS1_28TensorListScalarListMetadataIiLi3EEENS1_28PointwiseOpScalarListFunctorIiLi3ELi3ELi0EEEJSt7dividesIiEEEEvT_T0_DpT1_.num_named_barrier, 0
	.set _ZN2at6native12_GLOBAL__N_125multi_tensor_apply_kernelINS1_28TensorListScalarListMetadataIiLi3EEENS1_28PointwiseOpScalarListFunctorIiLi3ELi3ELi0EEEJSt7dividesIiEEEEvT_T0_DpT1_.private_seg_size, 0
	.set _ZN2at6native12_GLOBAL__N_125multi_tensor_apply_kernelINS1_28TensorListScalarListMetadataIiLi3EEENS1_28PointwiseOpScalarListFunctorIiLi3ELi3ELi0EEEJSt7dividesIiEEEEvT_T0_DpT1_.uses_vcc, 1
	.set _ZN2at6native12_GLOBAL__N_125multi_tensor_apply_kernelINS1_28TensorListScalarListMetadataIiLi3EEENS1_28PointwiseOpScalarListFunctorIiLi3ELi3ELi0EEEJSt7dividesIiEEEEvT_T0_DpT1_.uses_flat_scratch, 0
	.set _ZN2at6native12_GLOBAL__N_125multi_tensor_apply_kernelINS1_28TensorListScalarListMetadataIiLi3EEENS1_28PointwiseOpScalarListFunctorIiLi3ELi3ELi0EEEJSt7dividesIiEEEEvT_T0_DpT1_.has_dyn_sized_stack, 0
	.set _ZN2at6native12_GLOBAL__N_125multi_tensor_apply_kernelINS1_28TensorListScalarListMetadataIiLi3EEENS1_28PointwiseOpScalarListFunctorIiLi3ELi3ELi0EEEJSt7dividesIiEEEEvT_T0_DpT1_.has_recursion, 0
	.set _ZN2at6native12_GLOBAL__N_125multi_tensor_apply_kernelINS1_28TensorListScalarListMetadataIiLi3EEENS1_28PointwiseOpScalarListFunctorIiLi3ELi3ELi0EEEJSt7dividesIiEEEEvT_T0_DpT1_.has_indirect_call, 0
	.section	.AMDGPU.csdata,"",@progbits
; Kernel info:
; codeLenInByte = 2740
; TotalNumSgprs: 34
; NumVgprs: 59
; ScratchSize: 0
; MemoryBound: 0
; FloatMode: 240
; IeeeMode: 1
; LDSByteSize: 0 bytes/workgroup (compile time only)
; SGPRBlocks: 4
; VGPRBlocks: 14
; NumSGPRsForWavesPerEU: 34
; NumVGPRsForWavesPerEU: 59
; Occupancy: 4
; WaveLimiterHint : 0
; COMPUTE_PGM_RSRC2:SCRATCH_EN: 0
; COMPUTE_PGM_RSRC2:USER_SGPR: 6
; COMPUTE_PGM_RSRC2:TRAP_HANDLER: 0
; COMPUTE_PGM_RSRC2:TGID_X_EN: 1
; COMPUTE_PGM_RSRC2:TGID_Y_EN: 0
; COMPUTE_PGM_RSRC2:TGID_Z_EN: 0
; COMPUTE_PGM_RSRC2:TIDIG_COMP_CNT: 0
	.section	.text._ZN2at6native12_GLOBAL__N_125multi_tensor_apply_kernelINS1_28TensorListScalarListMetadataIlLi3EEENS1_28PointwiseOpScalarListFunctorIlLi3ELi3ELi0EEEJSt7dividesIlEEEEvT_T0_DpT1_,"axG",@progbits,_ZN2at6native12_GLOBAL__N_125multi_tensor_apply_kernelINS1_28TensorListScalarListMetadataIlLi3EEENS1_28PointwiseOpScalarListFunctorIlLi3ELi3ELi0EEEJSt7dividesIlEEEEvT_T0_DpT1_,comdat
	.globl	_ZN2at6native12_GLOBAL__N_125multi_tensor_apply_kernelINS1_28TensorListScalarListMetadataIlLi3EEENS1_28PointwiseOpScalarListFunctorIlLi3ELi3ELi0EEEJSt7dividesIlEEEEvT_T0_DpT1_ ; -- Begin function _ZN2at6native12_GLOBAL__N_125multi_tensor_apply_kernelINS1_28TensorListScalarListMetadataIlLi3EEENS1_28PointwiseOpScalarListFunctorIlLi3ELi3ELi0EEEJSt7dividesIlEEEEvT_T0_DpT1_
	.p2align	8
	.type	_ZN2at6native12_GLOBAL__N_125multi_tensor_apply_kernelINS1_28TensorListScalarListMetadataIlLi3EEENS1_28PointwiseOpScalarListFunctorIlLi3ELi3ELi0EEEJSt7dividesIlEEEEvT_T0_DpT1_,@function
_ZN2at6native12_GLOBAL__N_125multi_tensor_apply_kernelINS1_28TensorListScalarListMetadataIlLi3EEENS1_28PointwiseOpScalarListFunctorIlLi3ELi3ELi0EEEJSt7dividesIlEEEEvT_T0_DpT1_: ; @_ZN2at6native12_GLOBAL__N_125multi_tensor_apply_kernelINS1_28TensorListScalarListMetadataIlLi3EEENS1_28PointwiseOpScalarListFunctorIlLi3ELi3ELi0EEEJSt7dividesIlEEEEvT_T0_DpT1_
; %bb.0:
	v_mov_b32_e32 v1, s6
	global_load_ubyte v1, v1, s[4:5] offset:1920
	s_add_u32 s0, s4, s6
	s_mul_hi_u32 s1, s6, 3
	s_mul_i32 s6, s6, 3
	s_addc_u32 s2, s5, 0
	s_add_u32 s0, s0, s6
	s_addc_u32 s1, s2, s1
	s_load_dword s6, s[0:1], 0x8c0
	s_mov_b32 s11, 0
	s_mov_b32 s13, s11
	s_waitcnt lgkmcnt(0)
	s_ashr_i32 s7, s6, 31
	s_waitcnt vmcnt(0)
	v_readfirstlane_b32 s0, v1
	s_lshl_b32 s8, s0, 3
	s_load_dwordx2 s[2:3], s[4:5], s8 offset:0x600
	s_load_dwordx2 s[16:17], s[4:5], s8 offset:0x0
	;; [unrolled: 1-line block ×5, first 2 shown]
	s_lshl_b64 s[8:9], s[6:7], 19
	s_waitcnt lgkmcnt(0)
	s_add_u32 s18, s16, s8
	s_addc_u32 s19, s17, s9
	s_and_b32 s10, s18, 31
	s_add_u32 s20, s14, s8
	s_addc_u32 s21, s15, s9
	s_add_u32 s22, s0, s8
	s_addc_u32 s23, s1, s9
	s_or_b32 s12, s22, s20
	s_and_b32 s12, s12, 31
	s_cmp_eq_u32 s12, 0
	s_cselect_b64 s[26:27], -1, 0
	s_lshl_b64 s[6:7], s[6:7], 16
	s_sub_u32 s6, s24, s6
	s_subb_u32 s7, s25, s7
	s_and_b32 s12, s24, 3
	s_or_b64 s[10:11], s[10:11], s[12:13]
	s_cmp_eq_u64 s[10:11], 0
	s_cselect_b64 s[10:11], -1, 0
	s_and_b64 s[12:13], s[26:27], s[10:11]
	s_mov_b64 s[10:11], -1
	s_and_b64 vcc, exec, s[12:13]
	s_cbranch_vccnz .LBB124_35
; %bb.1:
	v_cmp_lt_i64_e64 s[10:11], s[6:7], 1
	s_and_b64 vcc, exec, s[10:11]
	s_cbranch_vccnz .LBB124_34
; %bb.2:
	v_mov_b32_e32 v2, 0x10000
	s_load_dword s12, s[4:5], 0xdd4
	v_mov_b32_e32 v3, 0
	v_cmp_lt_i64_e32 vcc, s[6:7], v[2:3]
	v_mov_b32_e32 v1, 0
	s_and_b64 s[10:11], vcc, exec
	s_cselect_b32 s11, s7, 0
	s_cselect_b32 s10, s6, 0x10000
	v_cmp_lt_u64_e32 vcc, s[6:7], v[2:3]
	s_waitcnt lgkmcnt(0)
	s_and_b32 s28, s12, 0xffff
	v_lshlrev_b32_e32 v2, 3, v0
	v_mov_b32_e32 v3, v1
	v_mad_u64_u32 v[3:4], s[26:27], s28, 24, v[2:3]
	s_and_b64 s[12:13], vcc, exec
	v_mov_b32_e32 v8, s17
	v_add_co_u32_e32 v29, vcc, s16, v3
	v_addc_co_u32_e32 v30, vcc, v8, v4, vcc
	v_mov_b32_e32 v8, s15
	v_add_co_u32_e32 v31, vcc, s14, v3
	v_addc_co_u32_e32 v32, vcc, v8, v4, vcc
	s_cselect_b32 s13, s7, 0
	s_cselect_b32 s12, s6, 0x10000
	s_lshl_b32 s29, s28, 1
	s_lshl_b32 s24, s28, 2
	;; [unrolled: 1-line block ×5, first 2 shown]
	v_mov_b32_e32 v8, s1
	v_add_co_u32_e32 v33, vcc, s0, v3
	s_add_u32 s30, s16, s27
	v_addc_co_u32_e32 v34, vcc, v8, v4, vcc
	s_addc_u32 s27, s17, 0
	v_add_co_u32_e32 v4, vcc, s26, v2
	v_mov_b32_e32 v3, s27
	v_addc_co_u32_e64 v8, s[26:27], 0, 0, vcc
	v_mov_b32_e32 v9, s17
	v_add_co_u32_e32 v35, vcc, s16, v4
	v_addc_co_u32_e32 v36, vcc, v9, v8, vcc
	v_mov_b32_e32 v9, s15
	v_add_co_u32_e32 v37, vcc, s14, v4
	v_addc_co_u32_e32 v38, vcc, v9, v8, vcc
	;; [unrolled: 3-line block ×6, first 2 shown]
	v_add_co_u32_e32 v47, vcc, s30, v2
	v_addc_co_u32_e32 v48, vcc, 0, v3, vcc
	v_add_co_u32_e32 v49, vcc, s28, v0
	v_lshlrev_b32_e32 v2, 3, v49
	v_addc_co_u32_e64 v50, s[26:27], 0, 0, vcc
	v_mov_b32_e32 v3, s17
	v_add_co_u32_e32 v51, vcc, s16, v2
	v_addc_co_u32_e32 v52, vcc, 0, v3, vcc
	v_mov_b32_e32 v3, s15
	v_add_co_u32_e32 v53, vcc, s14, v2
	v_addc_co_u32_e32 v54, vcc, 0, v3, vcc
	v_mov_b32_e32 v3, s1
	v_add_co_u32_e32 v55, vcc, s0, v2
	s_mul_i32 s31, s28, 3
	v_addc_co_u32_e32 v56, vcc, 0, v3, vcc
	v_add_co_u32_e32 v57, vcc, s31, v0
	v_addc_co_u32_e64 v58, s[0:1], 0, 0, vcc
	v_add_co_u32_e32 v59, vcc, s29, v0
	s_mov_b64 s[14:15], 0
	v_addc_co_u32_e64 v60, s[0:1], 0, 0, vcc
	s_branch .LBB124_4
.LBB124_3:                              ;   in Loop: Header=BB124_4 Depth=1
	s_or_b64 exec, exec, s[0:1]
	v_mad_u64_u32 v[7:8], s[0:1], v23, s2, v[13:14]
	v_mul_lo_u32 v2, v23, s3
	v_mul_lo_u32 v11, v24, s2
	v_mad_u64_u32 v[5:6], s[0:1], v15, s2, v[5:6]
	v_mul_lo_u32 v15, v15, s3
	v_add3_u32 v8, v11, v8, v2
	v_mad_u64_u32 v[2:3], s[0:1], v17, s2, v[3:4]
	v_mul_lo_u32 v4, v17, s3
	v_mul_lo_u32 v17, v18, s2
	;; [unrolled: 1-line block ×3, first 2 shown]
	v_mov_b32_e32 v13, s9
	v_add_co_u32_e32 v11, vcc, s8, v41
	v_mad_u64_u32 v[9:10], s[0:1], v21, s2, v[9:10]
	v_mul_lo_u32 v14, v21, s3
	v_mul_lo_u32 v19, v22, s2
	v_addc_co_u32_e32 v12, vcc, v42, v13, vcc
	v_add3_u32 v3, v17, v3, v4
	global_store_dwordx2 v[11:12], v[2:3], off
	v_add_co_u32_e32 v2, vcc, s8, v47
	v_add3_u32 v6, v16, v6, v15
	v_addc_co_u32_e32 v3, vcc, v48, v13, vcc
	global_store_dwordx2 v[2:3], v[5:6], off
	v_add_co_u32_e32 v2, vcc, s8, v35
	v_add3_u32 v10, v19, v10, v14
	v_addc_co_u32_e32 v3, vcc, v36, v13, vcc
	global_store_dwordx2 v[2:3], v[9:10], off
	v_add_co_u32_e32 v2, vcc, s8, v29
	v_addc_co_u32_e32 v3, vcc, v30, v13, vcc
	v_add_co_u32_e32 v41, vcc, s25, v41
	v_addc_co_u32_e32 v42, vcc, 0, v42, vcc
	;; [unrolled: 2-line block ×12, first 2 shown]
	global_store_dwordx2 v[2:3], v[7:8], off
	s_add_u32 s14, s14, s24
	v_add_co_u32_e32 v53, vcc, s25, v53
	v_mov_b32_e32 v2, s10
	s_addc_u32 s15, s15, 0
	v_addc_co_u32_e32 v54, vcc, 0, v54, vcc
	v_mov_b32_e32 v3, s11
	v_cmp_lt_i64_e32 vcc, s[14:15], v[2:3]
	v_add_co_u32_e64 v55, s[0:1], s25, v55
	v_addc_co_u32_e64 v56, s[0:1], 0, v56, s[0:1]
	s_cbranch_vccz .LBB124_34
.LBB124_4:                              ; =>This Inner Loop Header: Depth=1
	v_mov_b32_e32 v3, s15
	v_add_co_u32_e32 v2, vcc, s14, v0
	v_addc_co_u32_e32 v3, vcc, 0, v3, vcc
	v_cmp_gt_u64_e32 vcc, s[12:13], v[2:3]
	v_mov_b32_e32 v11, 0
	v_mov_b32_e32 v7, 0
	;; [unrolled: 1-line block ×6, first 2 shown]
	s_and_saveexec_b64 s[16:17], vcc
	s_cbranch_execz .LBB124_6
; %bb.5:                                ;   in Loop: Header=BB124_4 Depth=1
	v_mov_b32_e32 v2, s9
	v_add_co_u32_e64 v5, s[0:1], s8, v41
	v_addc_co_u32_e64 v6, s[0:1], v42, v2, s[0:1]
	v_add_co_u32_e64 v9, s[0:1], s8, v43
	v_addc_co_u32_e64 v10, s[0:1], v44, v2, s[0:1]
	global_load_dwordx2 v[3:4], v[5:6], off
	global_load_dwordx2 v[7:8], v[9:10], off
.LBB124_6:                              ;   in Loop: Header=BB124_4 Depth=1
	s_or_b64 exec, exec, s[16:17]
	s_and_saveexec_b64 s[0:1], vcc
	s_cbranch_execz .LBB124_8
; %bb.7:                                ;   in Loop: Header=BB124_4 Depth=1
	v_mov_b32_e32 v2, s9
	v_add_co_u32_e32 v5, vcc, s8, v45
	v_addc_co_u32_e32 v6, vcc, v46, v2, vcc
	global_load_dwordx2 v[11:12], v[5:6], off
.LBB124_8:                              ;   in Loop: Header=BB124_4 Depth=1
	s_or_b64 exec, exec, s[0:1]
	v_mov_b32_e32 v2, s15
	v_add_co_u32_e32 v5, vcc, s14, v49
	v_addc_co_u32_e32 v6, vcc, v50, v2, vcc
	v_cmp_gt_u64_e32 vcc, s[12:13], v[5:6]
	v_mov_b32_e32 v27, 0
	v_mov_b32_e32 v21, 0
	;; [unrolled: 1-line block ×6, first 2 shown]
	s_and_saveexec_b64 s[16:17], vcc
	s_cbranch_execz .LBB124_10
; %bb.9:                                ;   in Loop: Header=BB124_4 Depth=1
	v_mov_b32_e32 v2, s9
	v_add_co_u32_e64 v9, s[0:1], s8, v51
	v_addc_co_u32_e64 v10, s[0:1], v52, v2, s[0:1]
	v_add_co_u32_e64 v13, s[0:1], s8, v53
	v_addc_co_u32_e64 v14, s[0:1], v54, v2, s[0:1]
	global_load_dwordx2 v[5:6], v[9:10], off
	global_load_dwordx2 v[21:22], v[13:14], off
.LBB124_10:                             ;   in Loop: Header=BB124_4 Depth=1
	s_or_b64 exec, exec, s[16:17]
	s_and_saveexec_b64 s[0:1], vcc
	s_cbranch_execz .LBB124_12
; %bb.11:                               ;   in Loop: Header=BB124_4 Depth=1
	v_mov_b32_e32 v2, s9
	v_add_co_u32_e32 v9, vcc, s8, v55
	v_addc_co_u32_e32 v10, vcc, v56, v2, vcc
	global_load_dwordx2 v[27:28], v[9:10], off
.LBB124_12:                             ;   in Loop: Header=BB124_4 Depth=1
	s_or_b64 exec, exec, s[0:1]
	v_mov_b32_e32 v2, s15
	v_add_co_u32_e32 v9, vcc, s14, v59
	v_addc_co_u32_e32 v10, vcc, v60, v2, vcc
	v_cmp_gt_u64_e32 vcc, s[12:13], v[9:10]
	v_mov_b32_e32 v25, 0
	v_mov_b32_e32 v23, 0
	;; [unrolled: 1-line block ×6, first 2 shown]
	s_and_saveexec_b64 s[16:17], vcc
	s_cbranch_execz .LBB124_14
; %bb.13:                               ;   in Loop: Header=BB124_4 Depth=1
	v_mov_b32_e32 v2, s9
	v_add_co_u32_e64 v13, s[0:1], s8, v35
	v_addc_co_u32_e64 v14, s[0:1], v36, v2, s[0:1]
	v_add_co_u32_e64 v15, s[0:1], s8, v37
	v_addc_co_u32_e64 v16, s[0:1], v38, v2, s[0:1]
	global_load_dwordx2 v[9:10], v[13:14], off
	global_load_dwordx2 v[23:24], v[15:16], off
.LBB124_14:                             ;   in Loop: Header=BB124_4 Depth=1
	s_or_b64 exec, exec, s[16:17]
	s_and_saveexec_b64 s[0:1], vcc
	s_cbranch_execz .LBB124_16
; %bb.15:                               ;   in Loop: Header=BB124_4 Depth=1
	v_mov_b32_e32 v2, s9
	v_add_co_u32_e32 v13, vcc, s8, v39
	v_addc_co_u32_e32 v14, vcc, v40, v2, vcc
	global_load_dwordx2 v[25:26], v[13:14], off
.LBB124_16:                             ;   in Loop: Header=BB124_4 Depth=1
	s_or_b64 exec, exec, s[0:1]
	v_mov_b32_e32 v2, s15
	v_add_co_u32_e32 v13, vcc, s14, v57
	v_addc_co_u32_e32 v14, vcc, v58, v2, vcc
	v_cmp_gt_u64_e32 vcc, s[12:13], v[13:14]
	v_mov_b32_e32 v17, 0
	v_mov_b32_e32 v13, 0
	;; [unrolled: 1-line block ×4, first 2 shown]
	s_and_saveexec_b64 s[0:1], vcc
	s_cbranch_execz .LBB124_18
; %bb.17:                               ;   in Loop: Header=BB124_4 Depth=1
	v_mov_b32_e32 v2, s9
	v_add_co_u32_e32 v15, vcc, s8, v29
	v_addc_co_u32_e32 v16, vcc, v30, v2, vcc
	v_add_co_u32_e32 v19, vcc, s8, v31
	v_addc_co_u32_e32 v20, vcc, v32, v2, vcc
	global_load_dwordx2 v[13:14], v[15:16], off
	global_load_dwordx2 v[17:18], v[19:20], off
.LBB124_18:                             ;   in Loop: Header=BB124_4 Depth=1
	s_or_b64 exec, exec, s[0:1]
	v_mov_b32_e32 v2, s9
	v_add_co_u32_e32 v15, vcc, s8, v33
	v_addc_co_u32_e32 v16, vcc, v34, v2, vcc
	global_load_dwordx2 v[19:20], v[15:16], off
	s_waitcnt vmcnt(1)
	v_or_b32_e32 v2, v22, v28
	v_cmp_ne_u64_e32 vcc, 0, v[1:2]
                                        ; implicit-def: $vgpr15_vgpr16
	s_and_saveexec_b64 s[0:1], vcc
	s_xor_b64 s[16:17], exec, s[0:1]
	s_cbranch_execz .LBB124_20
; %bb.19:                               ;   in Loop: Header=BB124_4 Depth=1
	v_ashrrev_i32_e32 v2, 31, v28
	v_add_co_u32_e32 v15, vcc, v27, v2
	v_addc_co_u32_e32 v16, vcc, v28, v2, vcc
	v_xor_b32_e32 v63, v16, v2
	v_xor_b32_e32 v64, v15, v2
	v_cvt_f32_u32_e32 v15, v64
	v_cvt_f32_u32_e32 v16, v63
	v_sub_co_u32_e32 v61, vcc, 0, v64
	v_subb_co_u32_e32 v66, vcc, 0, v63, vcc
	v_mac_f32_e32 v15, 0x4f800000, v16
	v_rcp_f32_e32 v15, v15
	v_mul_f32_e32 v15, 0x5f7ffffc, v15
	v_mul_f32_e32 v16, 0x2f800000, v15
	v_trunc_f32_e32 v16, v16
	v_mac_f32_e32 v15, 0xcf800000, v16
	v_cvt_u32_f32_e32 v62, v15
	v_cvt_u32_f32_e32 v65, v16
	v_mul_lo_u32 v27, v66, v62
	v_mul_lo_u32 v28, v61, v65
	v_mad_u64_u32 v[15:16], s[0:1], v61, v62, 0
	v_add3_u32 v67, v16, v28, v27
	v_mul_hi_u32 v16, v62, v15
	v_mad_u64_u32 v[27:28], s[0:1], v62, v67, 0
	v_add_co_u32_e32 v68, vcc, v16, v27
	v_mad_u64_u32 v[15:16], s[0:1], v65, v15, 0
	v_addc_co_u32_e32 v69, vcc, 0, v28, vcc
	v_mad_u64_u32 v[27:28], s[0:1], v65, v67, 0
	v_add_co_u32_e32 v15, vcc, v68, v15
	v_addc_co_u32_e32 v15, vcc, v69, v16, vcc
	v_addc_co_u32_e32 v16, vcc, 0, v28, vcc
	v_add_co_u32_e32 v15, vcc, v15, v27
	v_addc_co_u32_e32 v16, vcc, 0, v16, vcc
	v_add_co_u32_e32 v67, vcc, v62, v15
	v_addc_co_u32_e32 v65, vcc, v65, v16, vcc
	v_mul_lo_u32 v27, v61, v65
	v_mul_lo_u32 v28, v66, v67
	v_mad_u64_u32 v[15:16], s[0:1], v61, v67, 0
	v_add3_u32 v16, v16, v27, v28
	v_mad_u64_u32 v[61:62], s[0:1], v67, v16, 0
	v_mul_hi_u32 v66, v67, v15
	v_mad_u64_u32 v[27:28], s[0:1], v65, v16, 0
	v_mad_u64_u32 v[15:16], s[0:1], v65, v15, 0
	v_add_co_u32_e32 v61, vcc, v66, v61
	v_addc_co_u32_e32 v62, vcc, 0, v62, vcc
	v_add_co_u32_e32 v15, vcc, v61, v15
	v_addc_co_u32_e32 v15, vcc, v62, v16, vcc
	v_addc_co_u32_e32 v16, vcc, 0, v28, vcc
	v_add_co_u32_e32 v15, vcc, v15, v27
	v_addc_co_u32_e32 v16, vcc, 0, v16, vcc
	v_add_co_u32_e32 v27, vcc, v67, v15
	v_addc_co_u32_e32 v28, vcc, v65, v16, vcc
	v_ashrrev_i32_e32 v61, 31, v22
	v_add_co_u32_e32 v15, vcc, v21, v61
	v_xor_b32_e32 v62, v15, v61
	v_mad_u64_u32 v[15:16], s[0:1], v62, v28, 0
	v_mul_hi_u32 v21, v62, v27
	v_addc_co_u32_e32 v22, vcc, v22, v61, vcc
	v_xor_b32_e32 v65, v22, v61
	v_add_co_u32_e32 v66, vcc, v21, v15
	v_addc_co_u32_e32 v67, vcc, 0, v16, vcc
	v_mad_u64_u32 v[15:16], s[0:1], v65, v27, 0
	v_mad_u64_u32 v[21:22], s[0:1], v65, v28, 0
	v_add_co_u32_e32 v15, vcc, v66, v15
	v_addc_co_u32_e32 v15, vcc, v67, v16, vcc
	v_addc_co_u32_e32 v16, vcc, 0, v22, vcc
	v_add_co_u32_e32 v21, vcc, v15, v21
	v_addc_co_u32_e32 v22, vcc, 0, v16, vcc
	v_mul_lo_u32 v27, v63, v21
	v_mul_lo_u32 v28, v64, v22
	v_mad_u64_u32 v[15:16], s[0:1], v64, v21, 0
	v_xor_b32_e32 v2, v61, v2
	v_add3_u32 v16, v16, v28, v27
	v_sub_u32_e32 v27, v65, v16
	v_sub_co_u32_e32 v15, vcc, v62, v15
	v_subb_co_u32_e64 v27, s[0:1], v27, v63, vcc
	v_sub_co_u32_e64 v28, s[0:1], v15, v64
	v_subbrev_co_u32_e64 v27, s[0:1], 0, v27, s[0:1]
	v_cmp_ge_u32_e64 s[0:1], v27, v63
	v_cndmask_b32_e64 v62, 0, -1, s[0:1]
	v_cmp_ge_u32_e64 s[0:1], v28, v64
	v_cndmask_b32_e64 v28, 0, -1, s[0:1]
	v_cmp_eq_u32_e64 s[0:1], v27, v63
	v_cndmask_b32_e64 v27, v62, v28, s[0:1]
	v_add_co_u32_e64 v28, s[0:1], 2, v21
	v_addc_co_u32_e64 v62, s[0:1], 0, v22, s[0:1]
	v_add_co_u32_e64 v66, s[0:1], 1, v21
	v_addc_co_u32_e64 v67, s[0:1], 0, v22, s[0:1]
	v_subb_co_u32_e32 v16, vcc, v65, v16, vcc
	v_cmp_ne_u32_e64 s[0:1], 0, v27
	v_cmp_ge_u32_e32 vcc, v16, v63
	v_cndmask_b32_e64 v27, v67, v62, s[0:1]
	v_cndmask_b32_e64 v62, 0, -1, vcc
	v_cmp_ge_u32_e32 vcc, v15, v64
	v_cndmask_b32_e64 v15, 0, -1, vcc
	v_cmp_eq_u32_e32 vcc, v16, v63
	v_cndmask_b32_e32 v15, v62, v15, vcc
	v_cmp_ne_u32_e32 vcc, 0, v15
	v_cndmask_b32_e64 v16, v66, v28, s[0:1]
	v_cndmask_b32_e32 v15, v22, v27, vcc
	v_cndmask_b32_e32 v16, v21, v16, vcc
	v_xor_b32_e32 v21, v15, v2
	v_xor_b32_e32 v15, v16, v2
	v_sub_co_u32_e32 v15, vcc, v15, v2
	v_subb_co_u32_e32 v16, vcc, v21, v2, vcc
                                        ; implicit-def: $vgpr27_vgpr28
                                        ; implicit-def: $vgpr21_vgpr22
.LBB124_20:                             ;   in Loop: Header=BB124_4 Depth=1
	s_andn2_saveexec_b64 s[0:1], s[16:17]
	s_cbranch_execz .LBB124_22
; %bb.21:                               ;   in Loop: Header=BB124_4 Depth=1
	v_cvt_f32_u32_e32 v2, v27
	v_sub_u32_e32 v15, 0, v27
	v_rcp_iflag_f32_e32 v2, v2
	v_mul_f32_e32 v2, 0x4f7ffffe, v2
	v_cvt_u32_f32_e32 v2, v2
	v_mul_lo_u32 v15, v15, v2
	v_mul_hi_u32 v15, v2, v15
	v_add_u32_e32 v2, v2, v15
	v_mul_hi_u32 v2, v21, v2
	v_mul_lo_u32 v15, v2, v27
	v_add_u32_e32 v16, 1, v2
	v_sub_u32_e32 v15, v21, v15
	v_sub_u32_e32 v21, v15, v27
	v_cmp_ge_u32_e32 vcc, v15, v27
	v_cndmask_b32_e32 v15, v15, v21, vcc
	v_cndmask_b32_e32 v2, v2, v16, vcc
	v_add_u32_e32 v16, 1, v2
	v_cmp_ge_u32_e32 vcc, v15, v27
	v_cndmask_b32_e32 v15, v2, v16, vcc
	v_mov_b32_e32 v16, v1
.LBB124_22:                             ;   in Loop: Header=BB124_4 Depth=1
	s_or_b64 exec, exec, s[0:1]
	v_or_b32_e32 v2, v24, v26
	v_cmp_ne_u64_e32 vcc, 0, v[1:2]
                                        ; implicit-def: $vgpr21_vgpr22
	s_and_saveexec_b64 s[0:1], vcc
	s_xor_b64 s[16:17], exec, s[0:1]
	s_cbranch_execz .LBB124_24
; %bb.23:                               ;   in Loop: Header=BB124_4 Depth=1
	v_ashrrev_i32_e32 v2, 31, v26
	v_add_co_u32_e32 v21, vcc, v25, v2
	v_addc_co_u32_e32 v22, vcc, v26, v2, vcc
	v_xor_b32_e32 v61, v22, v2
	v_xor_b32_e32 v62, v21, v2
	v_cvt_f32_u32_e32 v21, v62
	v_cvt_f32_u32_e32 v22, v61
	v_sub_co_u32_e32 v28, vcc, 0, v62
	v_subb_co_u32_e32 v63, vcc, 0, v61, vcc
	v_mac_f32_e32 v21, 0x4f800000, v22
	v_rcp_f32_e32 v21, v21
	v_mul_f32_e32 v21, 0x5f7ffffc, v21
	v_mul_f32_e32 v22, 0x2f800000, v21
	v_trunc_f32_e32 v22, v22
	v_mac_f32_e32 v21, 0xcf800000, v22
	v_cvt_u32_f32_e32 v27, v21
	v_cvt_u32_f32_e32 v64, v22
	v_mul_lo_u32 v25, v63, v27
	v_mad_u64_u32 v[21:22], s[0:1], v28, v27, 0
	v_mul_lo_u32 v26, v28, v64
	v_add3_u32 v65, v22, v26, v25
	v_mad_u64_u32 v[25:26], s[0:1], v27, v65, 0
	v_mul_hi_u32 v22, v27, v21
	v_add_co_u32_e32 v66, vcc, v22, v25
	v_mad_u64_u32 v[21:22], s[0:1], v64, v21, 0
	v_addc_co_u32_e32 v67, vcc, 0, v26, vcc
	v_mad_u64_u32 v[25:26], s[0:1], v64, v65, 0
	v_add_co_u32_e32 v21, vcc, v66, v21
	v_addc_co_u32_e32 v21, vcc, v67, v22, vcc
	v_addc_co_u32_e32 v22, vcc, 0, v26, vcc
	v_add_co_u32_e32 v21, vcc, v21, v25
	v_addc_co_u32_e32 v22, vcc, 0, v22, vcc
	v_add_co_u32_e32 v65, vcc, v27, v21
	v_addc_co_u32_e32 v64, vcc, v64, v22, vcc
	v_mul_lo_u32 v25, v28, v64
	v_mul_lo_u32 v26, v63, v65
	v_mad_u64_u32 v[21:22], s[0:1], v28, v65, 0
	v_add3_u32 v22, v22, v25, v26
	v_mad_u64_u32 v[27:28], s[0:1], v65, v22, 0
	v_mul_hi_u32 v63, v65, v21
	v_mad_u64_u32 v[25:26], s[0:1], v64, v22, 0
	v_mad_u64_u32 v[21:22], s[0:1], v64, v21, 0
	v_add_co_u32_e32 v27, vcc, v63, v27
	v_addc_co_u32_e32 v28, vcc, 0, v28, vcc
	v_add_co_u32_e32 v21, vcc, v27, v21
	v_addc_co_u32_e32 v21, vcc, v28, v22, vcc
	v_addc_co_u32_e32 v22, vcc, 0, v26, vcc
	v_add_co_u32_e32 v21, vcc, v21, v25
	v_addc_co_u32_e32 v22, vcc, 0, v22, vcc
	v_add_co_u32_e32 v25, vcc, v65, v21
	v_addc_co_u32_e32 v26, vcc, v64, v22, vcc
	v_ashrrev_i32_e32 v27, 31, v24
	v_add_co_u32_e32 v21, vcc, v23, v27
	v_xor_b32_e32 v28, v21, v27
	v_addc_co_u32_e32 v23, vcc, v24, v27, vcc
	v_mad_u64_u32 v[21:22], s[0:1], v28, v26, 0
	v_mul_hi_u32 v24, v28, v25
	v_xor_b32_e32 v63, v23, v27
	v_xor_b32_e32 v2, v27, v2
	v_add_co_u32_e32 v64, vcc, v24, v21
	v_addc_co_u32_e32 v65, vcc, 0, v22, vcc
	v_mad_u64_u32 v[21:22], s[0:1], v63, v25, 0
	v_mad_u64_u32 v[23:24], s[0:1], v63, v26, 0
	v_add_co_u32_e32 v21, vcc, v64, v21
	v_addc_co_u32_e32 v21, vcc, v65, v22, vcc
	v_addc_co_u32_e32 v22, vcc, 0, v24, vcc
	v_add_co_u32_e32 v23, vcc, v21, v23
	v_addc_co_u32_e32 v24, vcc, 0, v22, vcc
	v_mul_lo_u32 v25, v61, v23
	v_mul_lo_u32 v26, v62, v24
	v_mad_u64_u32 v[21:22], s[0:1], v62, v23, 0
	v_add3_u32 v22, v22, v26, v25
	v_sub_u32_e32 v25, v63, v22
	v_sub_co_u32_e32 v21, vcc, v28, v21
	v_subb_co_u32_e64 v25, s[0:1], v25, v61, vcc
	v_sub_co_u32_e64 v26, s[0:1], v21, v62
	v_subbrev_co_u32_e64 v25, s[0:1], 0, v25, s[0:1]
	v_cmp_ge_u32_e64 s[0:1], v25, v61
	v_cndmask_b32_e64 v28, 0, -1, s[0:1]
	v_cmp_ge_u32_e64 s[0:1], v26, v62
	v_cndmask_b32_e64 v26, 0, -1, s[0:1]
	v_cmp_eq_u32_e64 s[0:1], v25, v61
	v_cndmask_b32_e64 v25, v28, v26, s[0:1]
	v_add_co_u32_e64 v26, s[0:1], 2, v23
	v_addc_co_u32_e64 v28, s[0:1], 0, v24, s[0:1]
	v_add_co_u32_e64 v64, s[0:1], 1, v23
	v_addc_co_u32_e64 v65, s[0:1], 0, v24, s[0:1]
	v_subb_co_u32_e32 v22, vcc, v63, v22, vcc
	v_cmp_ne_u32_e64 s[0:1], 0, v25
	v_cmp_ge_u32_e32 vcc, v22, v61
	v_cndmask_b32_e64 v25, v65, v28, s[0:1]
	v_cndmask_b32_e64 v28, 0, -1, vcc
	v_cmp_ge_u32_e32 vcc, v21, v62
	v_cndmask_b32_e64 v21, 0, -1, vcc
	v_cmp_eq_u32_e32 vcc, v22, v61
	v_cndmask_b32_e32 v21, v28, v21, vcc
	v_cmp_ne_u32_e32 vcc, 0, v21
	v_cndmask_b32_e64 v22, v64, v26, s[0:1]
	v_cndmask_b32_e32 v21, v24, v25, vcc
	v_cndmask_b32_e32 v22, v23, v22, vcc
	v_xor_b32_e32 v23, v21, v2
	v_xor_b32_e32 v21, v22, v2
	v_sub_co_u32_e32 v21, vcc, v21, v2
	v_subb_co_u32_e32 v22, vcc, v23, v2, vcc
                                        ; implicit-def: $vgpr25_vgpr26
                                        ; implicit-def: $vgpr23_vgpr24
.LBB124_24:                             ;   in Loop: Header=BB124_4 Depth=1
	s_andn2_saveexec_b64 s[0:1], s[16:17]
	s_cbranch_execz .LBB124_26
; %bb.25:                               ;   in Loop: Header=BB124_4 Depth=1
	v_cvt_f32_u32_e32 v2, v25
	v_sub_u32_e32 v21, 0, v25
	v_rcp_iflag_f32_e32 v2, v2
	v_mul_f32_e32 v2, 0x4f7ffffe, v2
	v_cvt_u32_f32_e32 v2, v2
	v_mul_lo_u32 v21, v21, v2
	v_mul_hi_u32 v21, v2, v21
	v_add_u32_e32 v2, v2, v21
	v_mul_hi_u32 v2, v23, v2
	v_mul_lo_u32 v21, v2, v25
	v_add_u32_e32 v22, 1, v2
	v_sub_u32_e32 v21, v23, v21
	v_sub_u32_e32 v23, v21, v25
	v_cmp_ge_u32_e32 vcc, v21, v25
	v_cndmask_b32_e32 v21, v21, v23, vcc
	v_cndmask_b32_e32 v2, v2, v22, vcc
	v_add_u32_e32 v22, 1, v2
	v_cmp_ge_u32_e32 vcc, v21, v25
	v_cndmask_b32_e32 v21, v2, v22, vcc
	v_mov_b32_e32 v22, v1
.LBB124_26:                             ;   in Loop: Header=BB124_4 Depth=1
	s_or_b64 exec, exec, s[0:1]
	s_waitcnt vmcnt(0)
	v_or_b32_e32 v2, v18, v20
	v_cmp_ne_u64_e32 vcc, 0, v[1:2]
                                        ; implicit-def: $vgpr23_vgpr24
	s_and_saveexec_b64 s[0:1], vcc
	s_xor_b64 s[16:17], exec, s[0:1]
	s_cbranch_execz .LBB124_28
; %bb.27:                               ;   in Loop: Header=BB124_4 Depth=1
	v_ashrrev_i32_e32 v2, 31, v20
	v_add_co_u32_e32 v19, vcc, v19, v2
	v_addc_co_u32_e32 v20, vcc, v20, v2, vcc
	v_xor_b32_e32 v27, v20, v2
	v_xor_b32_e32 v28, v19, v2
	v_cvt_f32_u32_e32 v19, v28
	v_cvt_f32_u32_e32 v20, v27
	v_sub_co_u32_e32 v26, vcc, 0, v28
	v_subb_co_u32_e32 v61, vcc, 0, v27, vcc
	v_mac_f32_e32 v19, 0x4f800000, v20
	v_rcp_f32_e32 v19, v19
	v_mul_f32_e32 v19, 0x5f7ffffc, v19
	v_mul_f32_e32 v20, 0x2f800000, v19
	v_trunc_f32_e32 v20, v20
	v_mac_f32_e32 v19, 0xcf800000, v20
	v_cvt_u32_f32_e32 v25, v19
	v_cvt_u32_f32_e32 v62, v20
	v_mul_lo_u32 v23, v61, v25
	v_mad_u64_u32 v[19:20], s[0:1], v26, v25, 0
	v_mul_lo_u32 v24, v26, v62
	v_add3_u32 v63, v20, v24, v23
	v_mad_u64_u32 v[23:24], s[0:1], v25, v63, 0
	v_mul_hi_u32 v20, v25, v19
	v_add_co_u32_e32 v64, vcc, v20, v23
	v_mad_u64_u32 v[19:20], s[0:1], v62, v19, 0
	v_addc_co_u32_e32 v65, vcc, 0, v24, vcc
	v_mad_u64_u32 v[23:24], s[0:1], v62, v63, 0
	v_add_co_u32_e32 v19, vcc, v64, v19
	v_addc_co_u32_e32 v19, vcc, v65, v20, vcc
	v_addc_co_u32_e32 v20, vcc, 0, v24, vcc
	v_add_co_u32_e32 v19, vcc, v19, v23
	v_addc_co_u32_e32 v20, vcc, 0, v20, vcc
	v_add_co_u32_e32 v63, vcc, v25, v19
	v_addc_co_u32_e32 v62, vcc, v62, v20, vcc
	v_mul_lo_u32 v23, v26, v62
	v_mul_lo_u32 v24, v61, v63
	v_mad_u64_u32 v[19:20], s[0:1], v26, v63, 0
	v_add3_u32 v20, v20, v23, v24
	v_mad_u64_u32 v[25:26], s[0:1], v63, v20, 0
	v_mul_hi_u32 v61, v63, v19
	v_mad_u64_u32 v[23:24], s[0:1], v62, v20, 0
	v_mad_u64_u32 v[19:20], s[0:1], v62, v19, 0
	v_add_co_u32_e32 v25, vcc, v61, v25
	v_addc_co_u32_e32 v26, vcc, 0, v26, vcc
	v_add_co_u32_e32 v19, vcc, v25, v19
	v_addc_co_u32_e32 v19, vcc, v26, v20, vcc
	v_addc_co_u32_e32 v20, vcc, 0, v24, vcc
	v_add_co_u32_e32 v19, vcc, v19, v23
	v_addc_co_u32_e32 v20, vcc, 0, v20, vcc
	v_add_co_u32_e32 v19, vcc, v63, v19
	v_addc_co_u32_e32 v20, vcc, v62, v20, vcc
	v_ashrrev_i32_e32 v23, 31, v18
	v_add_co_u32_e32 v17, vcc, v17, v23
	v_xor_b32_e32 v25, v17, v23
	v_addc_co_u32_e32 v24, vcc, v18, v23, vcc
	v_mad_u64_u32 v[17:18], s[0:1], v25, v20, 0
	v_mul_hi_u32 v26, v25, v19
	v_xor_b32_e32 v24, v24, v23
	v_xor_b32_e32 v2, v23, v2
	v_add_co_u32_e32 v26, vcc, v26, v17
	v_addc_co_u32_e32 v61, vcc, 0, v18, vcc
	v_mad_u64_u32 v[17:18], s[0:1], v24, v19, 0
	v_mad_u64_u32 v[19:20], s[0:1], v24, v20, 0
	v_add_co_u32_e32 v17, vcc, v26, v17
	v_addc_co_u32_e32 v17, vcc, v61, v18, vcc
	v_addc_co_u32_e32 v18, vcc, 0, v20, vcc
	v_add_co_u32_e32 v19, vcc, v17, v19
	v_addc_co_u32_e32 v20, vcc, 0, v18, vcc
	v_mul_lo_u32 v26, v27, v19
	v_mul_lo_u32 v61, v28, v20
	v_mad_u64_u32 v[17:18], s[0:1], v28, v19, 0
	v_add3_u32 v18, v18, v61, v26
	v_sub_u32_e32 v26, v24, v18
	v_sub_co_u32_e32 v17, vcc, v25, v17
	v_subb_co_u32_e64 v25, s[0:1], v26, v27, vcc
	v_sub_co_u32_e64 v26, s[0:1], v17, v28
	v_subbrev_co_u32_e64 v25, s[0:1], 0, v25, s[0:1]
	v_cmp_ge_u32_e64 s[0:1], v25, v27
	v_cndmask_b32_e64 v61, 0, -1, s[0:1]
	v_cmp_ge_u32_e64 s[0:1], v26, v28
	v_cndmask_b32_e64 v26, 0, -1, s[0:1]
	v_cmp_eq_u32_e64 s[0:1], v25, v27
	v_cndmask_b32_e64 v25, v61, v26, s[0:1]
	v_add_co_u32_e64 v26, s[0:1], 2, v19
	v_subb_co_u32_e32 v18, vcc, v24, v18, vcc
	v_addc_co_u32_e64 v61, s[0:1], 0, v20, s[0:1]
	v_cmp_ge_u32_e32 vcc, v18, v27
	v_add_co_u32_e64 v62, s[0:1], 1, v19
	v_cndmask_b32_e64 v24, 0, -1, vcc
	v_cmp_ge_u32_e32 vcc, v17, v28
	v_addc_co_u32_e64 v63, s[0:1], 0, v20, s[0:1]
	v_cndmask_b32_e64 v17, 0, -1, vcc
	v_cmp_eq_u32_e32 vcc, v18, v27
	v_cmp_ne_u32_e64 s[0:1], 0, v25
	v_cndmask_b32_e32 v17, v24, v17, vcc
	v_cmp_ne_u32_e32 vcc, 0, v17
	v_cndmask_b32_e64 v18, v62, v26, s[0:1]
	v_cndmask_b32_e64 v25, v63, v61, s[0:1]
	v_cndmask_b32_e32 v18, v19, v18, vcc
	v_cndmask_b32_e32 v17, v20, v25, vcc
	v_xor_b32_e32 v18, v18, v2
	v_xor_b32_e32 v17, v17, v2
	v_sub_co_u32_e32 v23, vcc, v18, v2
	v_subb_co_u32_e32 v24, vcc, v17, v2, vcc
                                        ; implicit-def: $vgpr19_vgpr20
                                        ; implicit-def: $vgpr17_vgpr18
.LBB124_28:                             ;   in Loop: Header=BB124_4 Depth=1
	s_andn2_saveexec_b64 s[0:1], s[16:17]
	s_cbranch_execz .LBB124_30
; %bb.29:                               ;   in Loop: Header=BB124_4 Depth=1
	v_cvt_f32_u32_e32 v2, v19
	v_sub_u32_e32 v18, 0, v19
	v_mov_b32_e32 v24, v1
	v_rcp_iflag_f32_e32 v2, v2
	v_mul_f32_e32 v2, 0x4f7ffffe, v2
	v_cvt_u32_f32_e32 v2, v2
	v_mul_lo_u32 v18, v18, v2
	v_mul_hi_u32 v18, v2, v18
	v_add_u32_e32 v2, v2, v18
	v_mul_hi_u32 v2, v17, v2
	v_mul_lo_u32 v18, v2, v19
	v_add_u32_e32 v20, 1, v2
	v_sub_u32_e32 v17, v17, v18
	v_sub_u32_e32 v18, v17, v19
	v_cmp_ge_u32_e32 vcc, v17, v19
	v_cndmask_b32_e32 v17, v17, v18, vcc
	v_cndmask_b32_e32 v2, v2, v20, vcc
	v_add_u32_e32 v18, 1, v2
	v_cmp_ge_u32_e32 vcc, v17, v19
	v_cndmask_b32_e32 v23, v2, v18, vcc
.LBB124_30:                             ;   in Loop: Header=BB124_4 Depth=1
	s_or_b64 exec, exec, s[0:1]
	v_or_b32_e32 v2, v8, v12
	v_cmp_ne_u64_e32 vcc, 0, v[1:2]
                                        ; implicit-def: $vgpr17_vgpr18
	s_and_saveexec_b64 s[0:1], vcc
	s_xor_b64 s[16:17], exec, s[0:1]
	s_cbranch_execz .LBB124_32
; %bb.31:                               ;   in Loop: Header=BB124_4 Depth=1
	v_ashrrev_i32_e32 v2, 31, v12
	v_add_co_u32_e32 v11, vcc, v11, v2
	v_addc_co_u32_e32 v12, vcc, v12, v2, vcc
	v_xor_b32_e32 v25, v12, v2
	v_xor_b32_e32 v26, v11, v2
	v_cvt_f32_u32_e32 v11, v26
	v_cvt_f32_u32_e32 v12, v25
	v_sub_co_u32_e32 v20, vcc, 0, v26
	v_subb_co_u32_e32 v27, vcc, 0, v25, vcc
	v_mac_f32_e32 v11, 0x4f800000, v12
	v_rcp_f32_e32 v11, v11
	v_mul_f32_e32 v11, 0x5f7ffffc, v11
	v_mul_f32_e32 v12, 0x2f800000, v11
	v_trunc_f32_e32 v12, v12
	v_mac_f32_e32 v11, 0xcf800000, v12
	v_cvt_u32_f32_e32 v19, v11
	v_cvt_u32_f32_e32 v28, v12
	v_mul_lo_u32 v17, v27, v19
	v_mad_u64_u32 v[11:12], s[0:1], v20, v19, 0
	v_mul_lo_u32 v18, v20, v28
	v_add3_u32 v61, v12, v18, v17
	v_mad_u64_u32 v[17:18], s[0:1], v19, v61, 0
	v_mul_hi_u32 v12, v19, v11
	v_add_co_u32_e32 v62, vcc, v12, v17
	v_mad_u64_u32 v[11:12], s[0:1], v28, v11, 0
	v_addc_co_u32_e32 v63, vcc, 0, v18, vcc
	v_mad_u64_u32 v[17:18], s[0:1], v28, v61, 0
	v_add_co_u32_e32 v11, vcc, v62, v11
	v_addc_co_u32_e32 v11, vcc, v63, v12, vcc
	v_addc_co_u32_e32 v12, vcc, 0, v18, vcc
	v_add_co_u32_e32 v11, vcc, v11, v17
	v_addc_co_u32_e32 v12, vcc, 0, v12, vcc
	v_add_co_u32_e32 v61, vcc, v19, v11
	v_addc_co_u32_e32 v28, vcc, v28, v12, vcc
	v_mul_lo_u32 v17, v20, v28
	v_mul_lo_u32 v18, v27, v61
	v_mad_u64_u32 v[11:12], s[0:1], v20, v61, 0
	v_add3_u32 v12, v12, v17, v18
	v_mad_u64_u32 v[19:20], s[0:1], v61, v12, 0
	v_mul_hi_u32 v27, v61, v11
	v_mad_u64_u32 v[17:18], s[0:1], v28, v12, 0
	v_mad_u64_u32 v[11:12], s[0:1], v28, v11, 0
	v_add_co_u32_e32 v19, vcc, v27, v19
	v_addc_co_u32_e32 v20, vcc, 0, v20, vcc
	v_add_co_u32_e32 v11, vcc, v19, v11
	v_addc_co_u32_e32 v11, vcc, v20, v12, vcc
	v_addc_co_u32_e32 v12, vcc, 0, v18, vcc
	v_add_co_u32_e32 v11, vcc, v11, v17
	v_addc_co_u32_e32 v12, vcc, 0, v12, vcc
	v_add_co_u32_e32 v11, vcc, v61, v11
	v_addc_co_u32_e32 v12, vcc, v28, v12, vcc
	v_ashrrev_i32_e32 v17, 31, v8
	v_add_co_u32_e32 v7, vcc, v7, v17
	v_xor_b32_e32 v19, v7, v17
	v_addc_co_u32_e32 v18, vcc, v8, v17, vcc
	v_mad_u64_u32 v[7:8], s[0:1], v19, v12, 0
	v_mul_hi_u32 v20, v19, v11
	v_xor_b32_e32 v18, v18, v17
	v_xor_b32_e32 v2, v17, v2
	v_add_co_u32_e32 v20, vcc, v20, v7
	v_addc_co_u32_e32 v27, vcc, 0, v8, vcc
	v_mad_u64_u32 v[7:8], s[0:1], v18, v11, 0
	v_mad_u64_u32 v[11:12], s[0:1], v18, v12, 0
	v_add_co_u32_e32 v7, vcc, v20, v7
	v_addc_co_u32_e32 v7, vcc, v27, v8, vcc
	v_addc_co_u32_e32 v8, vcc, 0, v12, vcc
	v_add_co_u32_e32 v11, vcc, v7, v11
	v_addc_co_u32_e32 v12, vcc, 0, v8, vcc
	v_mul_lo_u32 v20, v25, v11
	v_mul_lo_u32 v27, v26, v12
	v_mad_u64_u32 v[7:8], s[0:1], v26, v11, 0
	v_add3_u32 v8, v8, v27, v20
	v_sub_u32_e32 v20, v18, v8
	v_sub_co_u32_e32 v7, vcc, v19, v7
	v_subb_co_u32_e64 v19, s[0:1], v20, v25, vcc
	v_sub_co_u32_e64 v20, s[0:1], v7, v26
	v_subbrev_co_u32_e64 v19, s[0:1], 0, v19, s[0:1]
	v_cmp_ge_u32_e64 s[0:1], v19, v25
	v_cndmask_b32_e64 v27, 0, -1, s[0:1]
	v_cmp_ge_u32_e64 s[0:1], v20, v26
	v_cndmask_b32_e64 v20, 0, -1, s[0:1]
	v_cmp_eq_u32_e64 s[0:1], v19, v25
	v_cndmask_b32_e64 v19, v27, v20, s[0:1]
	v_add_co_u32_e64 v20, s[0:1], 2, v11
	v_subb_co_u32_e32 v8, vcc, v18, v8, vcc
	v_addc_co_u32_e64 v27, s[0:1], 0, v12, s[0:1]
	v_cmp_ge_u32_e32 vcc, v8, v25
	v_add_co_u32_e64 v28, s[0:1], 1, v11
	v_cndmask_b32_e64 v18, 0, -1, vcc
	v_cmp_ge_u32_e32 vcc, v7, v26
	v_addc_co_u32_e64 v61, s[0:1], 0, v12, s[0:1]
	v_cndmask_b32_e64 v7, 0, -1, vcc
	v_cmp_eq_u32_e32 vcc, v8, v25
	v_cmp_ne_u32_e64 s[0:1], 0, v19
	v_cndmask_b32_e32 v7, v18, v7, vcc
	v_cmp_ne_u32_e32 vcc, 0, v7
	v_cndmask_b32_e64 v8, v28, v20, s[0:1]
	v_cndmask_b32_e64 v19, v61, v27, s[0:1]
	v_cndmask_b32_e32 v8, v11, v8, vcc
	v_cndmask_b32_e32 v7, v12, v19, vcc
	v_xor_b32_e32 v8, v8, v2
	v_xor_b32_e32 v7, v7, v2
	v_sub_co_u32_e32 v17, vcc, v8, v2
	v_subb_co_u32_e32 v18, vcc, v7, v2, vcc
                                        ; implicit-def: $vgpr11_vgpr12
                                        ; implicit-def: $vgpr7_vgpr8
.LBB124_32:                             ;   in Loop: Header=BB124_4 Depth=1
	s_andn2_saveexec_b64 s[0:1], s[16:17]
	s_cbranch_execz .LBB124_3
; %bb.33:                               ;   in Loop: Header=BB124_4 Depth=1
	v_cvt_f32_u32_e32 v2, v11
	v_sub_u32_e32 v8, 0, v11
	v_mov_b32_e32 v18, v1
	v_rcp_iflag_f32_e32 v2, v2
	v_mul_f32_e32 v2, 0x4f7ffffe, v2
	v_cvt_u32_f32_e32 v2, v2
	v_mul_lo_u32 v8, v8, v2
	v_mul_hi_u32 v8, v2, v8
	v_add_u32_e32 v2, v2, v8
	v_mul_hi_u32 v2, v7, v2
	v_mul_lo_u32 v8, v2, v11
	v_add_u32_e32 v12, 1, v2
	v_sub_u32_e32 v7, v7, v8
	v_sub_u32_e32 v8, v7, v11
	v_cmp_ge_u32_e32 vcc, v7, v11
	v_cndmask_b32_e32 v7, v7, v8, vcc
	v_cndmask_b32_e32 v2, v2, v12, vcc
	v_add_u32_e32 v8, 1, v2
	v_cmp_ge_u32_e32 vcc, v7, v11
	v_cndmask_b32_e32 v17, v2, v8, vcc
	s_branch .LBB124_3
.LBB124_34:
	s_mov_b64 s[10:11], 0
.LBB124_35:
	s_andn2_b64 vcc, exec, s[10:11]
	s_cbranch_vccnz .LBB124_55
; %bb.36:
	v_mov_b32_e32 v1, 0x10000
	v_mov_b32_e32 v2, 0
	v_cmp_lt_i64_e32 vcc, s[6:7], v[1:2]
	v_mov_b32_e32 v26, 0
	s_and_b64 s[0:1], vcc, exec
	s_cselect_b32 s7, s7, 0
	s_cselect_b32 s6, s6, 0x10000
	v_lshlrev_b32_e32 v1, 2, v0
	v_mov_b32_e32 v2, v26
	v_cmp_gt_i64_e32 vcc, s[6:7], v[1:2]
	s_and_saveexec_b64 s[0:1], vcc
	s_cbranch_execz .LBB124_55
; %bb.37:
	s_load_dword s0, s[4:5], 0xdd4
	v_mov_b32_e32 v1, v26
	v_lshlrev_b32_e32 v32, 5, v0
	s_mov_b64 s[4:5], 0
	s_waitcnt lgkmcnt(0)
	s_and_b32 s10, s0, 0xffff
	s_lshl_b32 s11, s10, 5
	s_branch .LBB124_39
.LBB124_38:                             ;   in Loop: Header=BB124_39 Depth=1
	s_or_b64 exec, exec, s[0:1]
	v_mul_lo_u32 v14, v18, s3
	v_mul_lo_u32 v15, v19, s2
	s_waitcnt vmcnt(0)
	v_mad_u64_u32 v[8:9], s[0:1], v18, s2, v[8:9]
	v_mul_lo_u32 v16, v30, s3
	v_mul_lo_u32 v17, v31, s2
	v_mad_u64_u32 v[6:7], s[0:1], v30, s2, v[6:7]
	v_add_co_u32_e32 v0, vcc, s10, v0
	s_add_u32 s22, s22, s11
	v_add3_u32 v9, v15, v9, v14
	v_add3_u32 v7, v17, v7, v16
	v_addc_co_u32_e32 v1, vcc, 0, v1, vcc
	s_addc_u32 s23, s23, 0
	v_mul_lo_u32 v12, v20, s3
	v_mul_lo_u32 v13, v21, s2
	v_mad_u64_u32 v[2:3], s[0:1], v20, s2, v[2:3]
	v_mul_lo_u32 v18, v10, s3
	v_mul_lo_u32 v11, v11, s2
	v_mad_u64_u32 v[4:5], s[0:1], v10, s2, v[4:5]
	global_store_dwordx4 v[28:29], v[6:9], off
	s_add_u32 s18, s18, s11
	v_lshlrev_b64 v[6:7], 2, v[0:1]
	s_addc_u32 s19, s19, 0
	s_add_u32 s20, s20, s11
	v_cmp_le_i64_e32 vcc, s[6:7], v[6:7]
	s_addc_u32 s21, s21, 0
	v_add3_u32 v3, v13, v3, v12
	v_add3_u32 v5, v11, v5, v18
	s_or_b64 s[4:5], vcc, s[4:5]
	global_store_dwordx4 v[28:29], v[2:5], off offset:16
	s_andn2_b64 exec, exec, s[4:5]
	s_cbranch_execz .LBB124_55
.LBB124_39:                             ; =>This Inner Loop Header: Depth=1
	v_mov_b32_e32 v3, s21
	v_add_co_u32_e32 v2, vcc, s20, v32
	v_addc_co_u32_e32 v3, vcc, 0, v3, vcc
	global_load_dwordx4 v[10:13], v[2:3], off offset:16
	global_load_dwordx4 v[18:21], v[2:3], off
	v_mov_b32_e32 v3, s23
	v_add_co_u32_e32 v2, vcc, s22, v32
	v_addc_co_u32_e32 v3, vcc, 0, v3, vcc
	global_load_dwordx4 v[14:17], v[2:3], off offset:16
	global_load_dwordx4 v[22:25], v[2:3], off
	;; [unrolled: 5-line block ×3, first 2 shown]
                                        ; implicit-def: $vgpr30_vgpr31
	s_waitcnt vmcnt(2)
	v_or_b32_e32 v27, v19, v23
	v_cmp_ne_u64_e32 vcc, 0, v[26:27]
	s_and_saveexec_b64 s[0:1], vcc
	s_xor_b64 s[8:9], exec, s[0:1]
	s_cbranch_execz .LBB124_41
; %bb.40:                               ;   in Loop: Header=BB124_39 Depth=1
	v_ashrrev_i32_e32 v27, 31, v23
	v_add_co_u32_e32 v30, vcc, v22, v27
	v_addc_co_u32_e32 v23, vcc, v23, v27, vcc
	v_xor_b32_e32 v23, v23, v27
	v_xor_b32_e32 v37, v30, v27
	v_cvt_f32_u32_e32 v30, v37
	v_cvt_f32_u32_e32 v31, v23
	v_sub_co_u32_e32 v36, vcc, 0, v37
	v_subb_co_u32_e32 v38, vcc, 0, v23, vcc
	v_mac_f32_e32 v30, 0x4f800000, v31
	v_rcp_f32_e32 v30, v30
	v_mul_f32_e32 v30, 0x5f7ffffc, v30
	v_mul_f32_e32 v31, 0x2f800000, v30
	v_trunc_f32_e32 v31, v31
	v_mac_f32_e32 v30, 0xcf800000, v31
	v_cvt_u32_f32_e32 v35, v30
	v_cvt_u32_f32_e32 v39, v31
	v_mul_lo_u32 v33, v38, v35
	v_mad_u64_u32 v[30:31], s[0:1], v36, v35, 0
	v_mul_lo_u32 v34, v36, v39
	v_add3_u32 v40, v31, v34, v33
	v_mad_u64_u32 v[33:34], s[0:1], v35, v40, 0
	v_mul_hi_u32 v31, v35, v30
	v_add_co_u32_e32 v41, vcc, v31, v33
	v_mad_u64_u32 v[30:31], s[0:1], v39, v30, 0
	v_addc_co_u32_e32 v42, vcc, 0, v34, vcc
	v_mad_u64_u32 v[33:34], s[0:1], v39, v40, 0
	v_add_co_u32_e32 v30, vcc, v41, v30
	v_addc_co_u32_e32 v30, vcc, v42, v31, vcc
	v_addc_co_u32_e32 v31, vcc, 0, v34, vcc
	v_add_co_u32_e32 v30, vcc, v30, v33
	v_addc_co_u32_e32 v31, vcc, 0, v31, vcc
	v_add_co_u32_e32 v40, vcc, v35, v30
	v_addc_co_u32_e32 v39, vcc, v39, v31, vcc
	v_mul_lo_u32 v33, v36, v39
	v_mul_lo_u32 v34, v38, v40
	v_mad_u64_u32 v[30:31], s[0:1], v36, v40, 0
	v_add3_u32 v31, v31, v33, v34
	v_mad_u64_u32 v[35:36], s[0:1], v40, v31, 0
	v_mul_hi_u32 v38, v40, v30
	v_mad_u64_u32 v[33:34], s[0:1], v39, v31, 0
	v_mad_u64_u32 v[30:31], s[0:1], v39, v30, 0
	v_add_co_u32_e32 v35, vcc, v38, v35
	v_addc_co_u32_e32 v36, vcc, 0, v36, vcc
	v_add_co_u32_e32 v30, vcc, v35, v30
	v_addc_co_u32_e32 v30, vcc, v36, v31, vcc
	v_addc_co_u32_e32 v31, vcc, 0, v34, vcc
	v_add_co_u32_e32 v30, vcc, v30, v33
	v_addc_co_u32_e32 v31, vcc, 0, v31, vcc
	v_add_co_u32_e32 v33, vcc, v40, v30
	v_addc_co_u32_e32 v34, vcc, v39, v31, vcc
	v_ashrrev_i32_e32 v35, 31, v19
	v_add_co_u32_e32 v30, vcc, v18, v35
	v_xor_b32_e32 v36, v30, v35
	v_mad_u64_u32 v[30:31], s[0:1], v36, v34, 0
	v_mul_hi_u32 v38, v36, v33
	v_addc_co_u32_e32 v19, vcc, v19, v35, vcc
	v_xor_b32_e32 v19, v19, v35
	v_add_co_u32_e32 v38, vcc, v38, v30
	v_addc_co_u32_e32 v39, vcc, 0, v31, vcc
	v_mad_u64_u32 v[30:31], s[0:1], v19, v33, 0
	v_mad_u64_u32 v[33:34], s[0:1], v19, v34, 0
	v_add_co_u32_e32 v30, vcc, v38, v30
	v_addc_co_u32_e32 v30, vcc, v39, v31, vcc
	v_addc_co_u32_e32 v31, vcc, 0, v34, vcc
	v_add_co_u32_e32 v33, vcc, v30, v33
	v_addc_co_u32_e32 v34, vcc, 0, v31, vcc
	v_mul_lo_u32 v38, v23, v33
	v_mul_lo_u32 v39, v37, v34
	v_mad_u64_u32 v[30:31], s[0:1], v37, v33, 0
	v_xor_b32_e32 v27, v35, v27
	v_add3_u32 v31, v31, v39, v38
	v_sub_u32_e32 v38, v19, v31
	v_sub_co_u32_e32 v30, vcc, v36, v30
	v_subb_co_u32_e64 v36, s[0:1], v38, v23, vcc
	v_sub_co_u32_e64 v38, s[0:1], v30, v37
	v_subbrev_co_u32_e64 v36, s[0:1], 0, v36, s[0:1]
	v_cmp_ge_u32_e64 s[0:1], v36, v23
	v_cndmask_b32_e64 v39, 0, -1, s[0:1]
	v_cmp_ge_u32_e64 s[0:1], v38, v37
	v_cndmask_b32_e64 v38, 0, -1, s[0:1]
	v_cmp_eq_u32_e64 s[0:1], v36, v23
	v_cndmask_b32_e64 v36, v39, v38, s[0:1]
	v_add_co_u32_e64 v38, s[0:1], 2, v33
	v_subb_co_u32_e32 v19, vcc, v19, v31, vcc
	v_addc_co_u32_e64 v39, s[0:1], 0, v34, s[0:1]
	v_cmp_ge_u32_e32 vcc, v19, v23
	v_add_co_u32_e64 v40, s[0:1], 1, v33
	v_cndmask_b32_e64 v31, 0, -1, vcc
	v_cmp_ge_u32_e32 vcc, v30, v37
	v_addc_co_u32_e64 v41, s[0:1], 0, v34, s[0:1]
	v_cndmask_b32_e64 v30, 0, -1, vcc
	v_cmp_eq_u32_e32 vcc, v19, v23
	v_cmp_ne_u32_e64 s[0:1], 0, v36
	v_cndmask_b32_e32 v19, v31, v30, vcc
	v_cmp_ne_u32_e32 vcc, 0, v19
	v_cndmask_b32_e64 v23, v40, v38, s[0:1]
	v_cndmask_b32_e64 v36, v41, v39, s[0:1]
	v_cndmask_b32_e32 v23, v33, v23, vcc
	v_cndmask_b32_e32 v19, v34, v36, vcc
	v_xor_b32_e32 v23, v23, v27
	v_xor_b32_e32 v19, v19, v27
	v_sub_co_u32_e32 v30, vcc, v23, v27
	v_subb_co_u32_e32 v31, vcc, v19, v27, vcc
.LBB124_41:                             ;   in Loop: Header=BB124_39 Depth=1
	s_andn2_saveexec_b64 s[0:1], s[8:9]
	s_cbranch_execz .LBB124_43
; %bb.42:                               ;   in Loop: Header=BB124_39 Depth=1
	v_cvt_f32_u32_e32 v19, v22
	v_sub_u32_e32 v23, 0, v22
	v_mov_b32_e32 v31, v26
	v_rcp_iflag_f32_e32 v19, v19
	v_mul_f32_e32 v19, 0x4f7ffffe, v19
	v_cvt_u32_f32_e32 v19, v19
	v_mul_lo_u32 v23, v23, v19
	v_mul_hi_u32 v23, v19, v23
	v_add_u32_e32 v19, v19, v23
	v_mul_hi_u32 v19, v18, v19
	v_mul_lo_u32 v23, v19, v22
	v_add_u32_e32 v27, 1, v19
	v_sub_u32_e32 v18, v18, v23
	v_sub_u32_e32 v23, v18, v22
	v_cmp_ge_u32_e32 vcc, v18, v22
	v_cndmask_b32_e32 v18, v18, v23, vcc
	v_cndmask_b32_e32 v19, v19, v27, vcc
	v_add_u32_e32 v23, 1, v19
	v_cmp_ge_u32_e32 vcc, v18, v22
	v_cndmask_b32_e32 v30, v19, v23, vcc
.LBB124_43:                             ;   in Loop: Header=BB124_39 Depth=1
	s_or_b64 exec, exec, s[0:1]
	v_or_b32_e32 v27, v21, v25
	v_cmp_ne_u64_e32 vcc, 0, v[26:27]
                                        ; implicit-def: $vgpr18_vgpr19
	s_and_saveexec_b64 s[0:1], vcc
	s_xor_b64 s[8:9], exec, s[0:1]
	s_cbranch_execz .LBB124_45
; %bb.44:                               ;   in Loop: Header=BB124_39 Depth=1
	v_ashrrev_i32_e32 v27, 31, v25
	v_add_co_u32_e32 v18, vcc, v24, v27
	v_addc_co_u32_e32 v19, vcc, v25, v27, vcc
	v_xor_b32_e32 v33, v19, v27
	v_xor_b32_e32 v34, v18, v27
	v_cvt_f32_u32_e32 v18, v34
	v_cvt_f32_u32_e32 v19, v33
	v_sub_co_u32_e32 v25, vcc, 0, v34
	v_subb_co_u32_e32 v35, vcc, 0, v33, vcc
	v_mac_f32_e32 v18, 0x4f800000, v19
	v_rcp_f32_e32 v18, v18
	v_mul_f32_e32 v18, 0x5f7ffffc, v18
	v_mul_f32_e32 v19, 0x2f800000, v18
	v_trunc_f32_e32 v19, v19
	v_mac_f32_e32 v18, 0xcf800000, v19
	v_cvt_u32_f32_e32 v24, v18
	v_cvt_u32_f32_e32 v36, v19
	v_mul_lo_u32 v22, v35, v24
	v_mad_u64_u32 v[18:19], s[0:1], v25, v24, 0
	v_mul_lo_u32 v23, v25, v36
	v_add3_u32 v37, v19, v23, v22
	v_mad_u64_u32 v[22:23], s[0:1], v24, v37, 0
	v_mul_hi_u32 v19, v24, v18
	v_add_co_u32_e32 v38, vcc, v19, v22
	v_mad_u64_u32 v[18:19], s[0:1], v36, v18, 0
	v_addc_co_u32_e32 v39, vcc, 0, v23, vcc
	v_mad_u64_u32 v[22:23], s[0:1], v36, v37, 0
	v_add_co_u32_e32 v18, vcc, v38, v18
	v_addc_co_u32_e32 v18, vcc, v39, v19, vcc
	v_addc_co_u32_e32 v19, vcc, 0, v23, vcc
	v_add_co_u32_e32 v18, vcc, v18, v22
	v_addc_co_u32_e32 v19, vcc, 0, v19, vcc
	v_add_co_u32_e32 v37, vcc, v24, v18
	v_addc_co_u32_e32 v36, vcc, v36, v19, vcc
	v_mul_lo_u32 v22, v25, v36
	v_mul_lo_u32 v23, v35, v37
	v_mad_u64_u32 v[18:19], s[0:1], v25, v37, 0
	v_add3_u32 v19, v19, v22, v23
	v_mad_u64_u32 v[24:25], s[0:1], v37, v19, 0
	v_mul_hi_u32 v35, v37, v18
	v_mad_u64_u32 v[22:23], s[0:1], v36, v19, 0
	v_mad_u64_u32 v[18:19], s[0:1], v36, v18, 0
	v_add_co_u32_e32 v24, vcc, v35, v24
	v_addc_co_u32_e32 v25, vcc, 0, v25, vcc
	v_add_co_u32_e32 v18, vcc, v24, v18
	v_addc_co_u32_e32 v18, vcc, v25, v19, vcc
	v_addc_co_u32_e32 v19, vcc, 0, v23, vcc
	v_add_co_u32_e32 v18, vcc, v18, v22
	v_addc_co_u32_e32 v19, vcc, 0, v19, vcc
	v_add_co_u32_e32 v22, vcc, v37, v18
	v_addc_co_u32_e32 v23, vcc, v36, v19, vcc
	v_ashrrev_i32_e32 v24, 31, v21
	v_add_co_u32_e32 v18, vcc, v20, v24
	v_xor_b32_e32 v25, v18, v24
	v_addc_co_u32_e32 v20, vcc, v21, v24, vcc
	v_mad_u64_u32 v[18:19], s[0:1], v25, v23, 0
	v_mul_hi_u32 v21, v25, v22
	v_xor_b32_e32 v35, v20, v24
	v_add_co_u32_e32 v36, vcc, v21, v18
	v_addc_co_u32_e32 v37, vcc, 0, v19, vcc
	v_mad_u64_u32 v[18:19], s[0:1], v35, v22, 0
	v_mad_u64_u32 v[20:21], s[0:1], v35, v23, 0
	v_add_co_u32_e32 v18, vcc, v36, v18
	v_addc_co_u32_e32 v18, vcc, v37, v19, vcc
	v_addc_co_u32_e32 v19, vcc, 0, v21, vcc
	v_add_co_u32_e32 v20, vcc, v18, v20
	v_addc_co_u32_e32 v21, vcc, 0, v19, vcc
	v_mul_lo_u32 v22, v33, v20
	v_mul_lo_u32 v23, v34, v21
	v_mad_u64_u32 v[18:19], s[0:1], v34, v20, 0
	v_add3_u32 v19, v19, v23, v22
	v_sub_u32_e32 v22, v35, v19
	v_sub_co_u32_e32 v18, vcc, v25, v18
	v_subb_co_u32_e64 v22, s[0:1], v22, v33, vcc
	v_sub_co_u32_e64 v23, s[0:1], v18, v34
	v_subbrev_co_u32_e64 v22, s[0:1], 0, v22, s[0:1]
	v_cmp_ge_u32_e64 s[0:1], v22, v33
	v_cndmask_b32_e64 v25, 0, -1, s[0:1]
	v_cmp_ge_u32_e64 s[0:1], v23, v34
	v_cndmask_b32_e64 v23, 0, -1, s[0:1]
	v_cmp_eq_u32_e64 s[0:1], v22, v33
	v_cndmask_b32_e64 v22, v25, v23, s[0:1]
	v_add_co_u32_e64 v23, s[0:1], 2, v20
	v_addc_co_u32_e64 v25, s[0:1], 0, v21, s[0:1]
	v_add_co_u32_e64 v36, s[0:1], 1, v20
	v_addc_co_u32_e64 v37, s[0:1], 0, v21, s[0:1]
	v_subb_co_u32_e32 v19, vcc, v35, v19, vcc
	v_cmp_ne_u32_e64 s[0:1], 0, v22
	v_cmp_ge_u32_e32 vcc, v19, v33
	v_cndmask_b32_e64 v22, v37, v25, s[0:1]
	v_cndmask_b32_e64 v25, 0, -1, vcc
	v_cmp_ge_u32_e32 vcc, v18, v34
	v_cndmask_b32_e64 v18, 0, -1, vcc
	v_cmp_eq_u32_e32 vcc, v19, v33
	v_cndmask_b32_e32 v18, v25, v18, vcc
	v_cmp_ne_u32_e32 vcc, 0, v18
	v_cndmask_b32_e64 v19, v36, v23, s[0:1]
	v_cndmask_b32_e32 v18, v21, v22, vcc
	v_cndmask_b32_e32 v19, v20, v19, vcc
	v_xor_b32_e32 v20, v24, v27
	v_xor_b32_e32 v21, v18, v20
	;; [unrolled: 1-line block ×3, first 2 shown]
	v_sub_co_u32_e32 v18, vcc, v18, v20
	v_subb_co_u32_e32 v19, vcc, v21, v20, vcc
                                        ; implicit-def: $vgpr24_vgpr25
                                        ; implicit-def: $vgpr20_vgpr21
.LBB124_45:                             ;   in Loop: Header=BB124_39 Depth=1
	s_andn2_saveexec_b64 s[0:1], s[8:9]
	s_cbranch_execz .LBB124_47
; %bb.46:                               ;   in Loop: Header=BB124_39 Depth=1
	v_cvt_f32_u32_e32 v18, v24
	v_sub_u32_e32 v19, 0, v24
	v_rcp_iflag_f32_e32 v18, v18
	v_mul_f32_e32 v18, 0x4f7ffffe, v18
	v_cvt_u32_f32_e32 v18, v18
	v_mul_lo_u32 v19, v19, v18
	v_mul_hi_u32 v19, v18, v19
	v_add_u32_e32 v18, v18, v19
	v_mul_hi_u32 v18, v20, v18
	v_mul_lo_u32 v19, v18, v24
	v_add_u32_e32 v21, 1, v18
	v_sub_u32_e32 v19, v20, v19
	v_sub_u32_e32 v20, v19, v24
	v_cmp_ge_u32_e32 vcc, v19, v24
	v_cndmask_b32_e32 v19, v19, v20, vcc
	v_cndmask_b32_e32 v18, v18, v21, vcc
	v_add_u32_e32 v20, 1, v18
	v_cmp_ge_u32_e32 vcc, v19, v24
	v_cndmask_b32_e32 v18, v18, v20, vcc
	v_mov_b32_e32 v19, v26
.LBB124_47:                             ;   in Loop: Header=BB124_39 Depth=1
	s_or_b64 exec, exec, s[0:1]
	v_or_b32_e32 v27, v11, v15
	v_cmp_ne_u64_e32 vcc, 0, v[26:27]
                                        ; implicit-def: $vgpr20_vgpr21
	s_and_saveexec_b64 s[0:1], vcc
	s_xor_b64 s[8:9], exec, s[0:1]
	s_cbranch_execz .LBB124_49
; %bb.48:                               ;   in Loop: Header=BB124_39 Depth=1
	v_ashrrev_i32_e32 v25, 31, v15
	v_add_co_u32_e32 v20, vcc, v14, v25
	v_addc_co_u32_e32 v15, vcc, v15, v25, vcc
	v_xor_b32_e32 v15, v15, v25
	v_xor_b32_e32 v27, v20, v25
	v_cvt_f32_u32_e32 v20, v27
	v_cvt_f32_u32_e32 v21, v15
	v_sub_co_u32_e32 v33, vcc, 0, v27
	v_subb_co_u32_e32 v34, vcc, 0, v15, vcc
	v_mac_f32_e32 v20, 0x4f800000, v21
	v_rcp_f32_e32 v20, v20
	v_mul_f32_e32 v20, 0x5f7ffffc, v20
	v_mul_f32_e32 v21, 0x2f800000, v20
	v_trunc_f32_e32 v21, v21
	v_mac_f32_e32 v20, 0xcf800000, v21
	v_cvt_u32_f32_e32 v24, v20
	v_cvt_u32_f32_e32 v35, v21
	v_mul_lo_u32 v22, v34, v24
	v_mad_u64_u32 v[20:21], s[0:1], v33, v24, 0
	v_mul_lo_u32 v23, v33, v35
	v_mul_hi_u32 v36, v24, v20
	v_add3_u32 v23, v21, v23, v22
	v_mad_u64_u32 v[21:22], s[0:1], v24, v23, 0
	v_add_co_u32_e32 v36, vcc, v36, v21
	v_mad_u64_u32 v[20:21], s[0:1], v35, v20, 0
	v_addc_co_u32_e32 v37, vcc, 0, v22, vcc
	v_mad_u64_u32 v[22:23], s[0:1], v35, v23, 0
	v_add_co_u32_e32 v20, vcc, v36, v20
	v_addc_co_u32_e32 v20, vcc, v37, v21, vcc
	v_addc_co_u32_e32 v21, vcc, 0, v23, vcc
	v_add_co_u32_e32 v20, vcc, v20, v22
	v_addc_co_u32_e32 v21, vcc, 0, v21, vcc
	v_add_co_u32_e32 v36, vcc, v24, v20
	v_addc_co_u32_e32 v35, vcc, v35, v21, vcc
	v_mul_lo_u32 v22, v33, v35
	v_mul_lo_u32 v23, v34, v36
	v_mad_u64_u32 v[20:21], s[0:1], v33, v36, 0
	v_add3_u32 v23, v21, v22, v23
	v_mad_u64_u32 v[21:22], s[0:1], v35, v23, 0
	v_mad_u64_u32 v[23:24], s[0:1], v36, v23, 0
	v_mul_hi_u32 v37, v36, v20
	v_mad_u64_u32 v[33:34], s[0:1], v35, v20, 0
	v_add_co_u32_e32 v20, vcc, v37, v23
	v_addc_co_u32_e32 v23, vcc, 0, v24, vcc
	v_add_co_u32_e32 v20, vcc, v20, v33
	v_addc_co_u32_e32 v20, vcc, v23, v34, vcc
	v_addc_co_u32_e32 v22, vcc, 0, v22, vcc
	v_add_co_u32_e32 v20, vcc, v20, v21
	v_addc_co_u32_e32 v21, vcc, 0, v22, vcc
	v_add_co_u32_e32 v22, vcc, v36, v20
	v_addc_co_u32_e32 v23, vcc, v35, v21, vcc
	v_ashrrev_i32_e32 v24, 31, v11
	v_add_co_u32_e32 v20, vcc, v10, v24
	v_xor_b32_e32 v33, v20, v24
	v_mad_u64_u32 v[20:21], s[0:1], v33, v23, 0
	v_mul_hi_u32 v34, v33, v22
	v_addc_co_u32_e32 v11, vcc, v11, v24, vcc
	v_xor_b32_e32 v11, v11, v24
	v_add_co_u32_e32 v34, vcc, v34, v20
	v_addc_co_u32_e32 v35, vcc, 0, v21, vcc
	v_mad_u64_u32 v[20:21], s[0:1], v11, v22, 0
	v_mad_u64_u32 v[22:23], s[0:1], v11, v23, 0
	v_add_co_u32_e32 v20, vcc, v34, v20
	v_addc_co_u32_e32 v20, vcc, v35, v21, vcc
	v_addc_co_u32_e32 v21, vcc, 0, v23, vcc
	v_add_co_u32_e32 v22, vcc, v20, v22
	v_addc_co_u32_e32 v23, vcc, 0, v21, vcc
	v_mul_lo_u32 v34, v15, v22
	v_mul_lo_u32 v35, v27, v23
	v_mad_u64_u32 v[20:21], s[0:1], v27, v22, 0
	v_add3_u32 v21, v21, v35, v34
	v_sub_u32_e32 v34, v11, v21
	v_sub_co_u32_e32 v20, vcc, v33, v20
	v_subb_co_u32_e64 v33, s[0:1], v34, v15, vcc
	v_sub_co_u32_e64 v34, s[0:1], v20, v27
	v_subbrev_co_u32_e64 v33, s[0:1], 0, v33, s[0:1]
	v_cmp_ge_u32_e64 s[0:1], v33, v15
	v_cndmask_b32_e64 v35, 0, -1, s[0:1]
	v_cmp_ge_u32_e64 s[0:1], v34, v27
	v_cndmask_b32_e64 v34, 0, -1, s[0:1]
	v_cmp_eq_u32_e64 s[0:1], v33, v15
	v_cndmask_b32_e64 v33, v35, v34, s[0:1]
	v_add_co_u32_e64 v34, s[0:1], 2, v22
	v_subb_co_u32_e32 v11, vcc, v11, v21, vcc
	v_addc_co_u32_e64 v35, s[0:1], 0, v23, s[0:1]
	v_cmp_ge_u32_e32 vcc, v11, v15
	v_add_co_u32_e64 v36, s[0:1], 1, v22
	v_cndmask_b32_e64 v21, 0, -1, vcc
	v_cmp_ge_u32_e32 vcc, v20, v27
	v_addc_co_u32_e64 v37, s[0:1], 0, v23, s[0:1]
	v_cndmask_b32_e64 v20, 0, -1, vcc
	v_cmp_eq_u32_e32 vcc, v11, v15
	v_cmp_ne_u32_e64 s[0:1], 0, v33
	v_cndmask_b32_e32 v11, v21, v20, vcc
	v_cmp_ne_u32_e32 vcc, 0, v11
	v_cndmask_b32_e64 v15, v36, v34, s[0:1]
	v_cndmask_b32_e64 v33, v37, v35, s[0:1]
	v_cndmask_b32_e32 v15, v22, v15, vcc
	v_xor_b32_e32 v21, v24, v25
	v_cndmask_b32_e32 v11, v23, v33, vcc
	v_xor_b32_e32 v15, v15, v21
	v_xor_b32_e32 v11, v11, v21
	v_sub_co_u32_e32 v20, vcc, v15, v21
	v_subb_co_u32_e32 v21, vcc, v11, v21, vcc
.LBB124_49:                             ;   in Loop: Header=BB124_39 Depth=1
	s_andn2_saveexec_b64 s[0:1], s[8:9]
	s_cbranch_execz .LBB124_51
; %bb.50:                               ;   in Loop: Header=BB124_39 Depth=1
	v_cvt_f32_u32_e32 v11, v14
	v_sub_u32_e32 v15, 0, v14
	v_mov_b32_e32 v21, v26
	v_rcp_iflag_f32_e32 v11, v11
	v_mul_f32_e32 v11, 0x4f7ffffe, v11
	v_cvt_u32_f32_e32 v11, v11
	v_mul_lo_u32 v15, v15, v11
	v_mul_hi_u32 v15, v11, v15
	v_add_u32_e32 v11, v11, v15
	v_mul_hi_u32 v11, v10, v11
	v_mul_lo_u32 v15, v11, v14
	v_add_u32_e32 v20, 1, v11
	v_sub_u32_e32 v10, v10, v15
	v_sub_u32_e32 v15, v10, v14
	v_cmp_ge_u32_e32 vcc, v10, v14
	v_cndmask_b32_e32 v10, v10, v15, vcc
	v_cndmask_b32_e32 v11, v11, v20, vcc
	v_add_u32_e32 v15, 1, v11
	v_cmp_ge_u32_e32 vcc, v10, v14
	v_cndmask_b32_e32 v20, v11, v15, vcc
.LBB124_51:                             ;   in Loop: Header=BB124_39 Depth=1
	s_or_b64 exec, exec, s[0:1]
	v_or_b32_e32 v27, v13, v17
	v_cmp_ne_u64_e32 vcc, 0, v[26:27]
                                        ; implicit-def: $vgpr10_vgpr11
	s_and_saveexec_b64 s[0:1], vcc
	s_xor_b64 s[8:9], exec, s[0:1]
	s_cbranch_execz .LBB124_53
; %bb.52:                               ;   in Loop: Header=BB124_39 Depth=1
	v_ashrrev_i32_e32 v22, 31, v17
	v_add_co_u32_e32 v10, vcc, v16, v22
	v_addc_co_u32_e32 v11, vcc, v17, v22, vcc
	v_xor_b32_e32 v23, v11, v22
	v_xor_b32_e32 v24, v10, v22
	v_cvt_f32_u32_e32 v10, v24
	v_cvt_f32_u32_e32 v11, v23
	v_sub_co_u32_e32 v17, vcc, 0, v24
	v_subb_co_u32_e32 v25, vcc, 0, v23, vcc
	v_mac_f32_e32 v10, 0x4f800000, v11
	v_rcp_f32_e32 v10, v10
	v_mul_f32_e32 v10, 0x5f7ffffc, v10
	v_mul_f32_e32 v11, 0x2f800000, v10
	v_trunc_f32_e32 v11, v11
	v_mac_f32_e32 v10, 0xcf800000, v11
	v_cvt_u32_f32_e32 v16, v10
	v_cvt_u32_f32_e32 v27, v11
	v_mul_lo_u32 v14, v25, v16
	v_mad_u64_u32 v[10:11], s[0:1], v17, v16, 0
	v_mul_lo_u32 v15, v17, v27
	v_add3_u32 v33, v11, v15, v14
	v_mad_u64_u32 v[14:15], s[0:1], v16, v33, 0
	v_mul_hi_u32 v11, v16, v10
	v_add_co_u32_e32 v34, vcc, v11, v14
	v_mad_u64_u32 v[10:11], s[0:1], v27, v10, 0
	v_addc_co_u32_e32 v35, vcc, 0, v15, vcc
	v_mad_u64_u32 v[14:15], s[0:1], v27, v33, 0
	v_add_co_u32_e32 v10, vcc, v34, v10
	v_addc_co_u32_e32 v10, vcc, v35, v11, vcc
	v_addc_co_u32_e32 v11, vcc, 0, v15, vcc
	v_add_co_u32_e32 v10, vcc, v10, v14
	v_addc_co_u32_e32 v11, vcc, 0, v11, vcc
	v_add_co_u32_e32 v33, vcc, v16, v10
	v_addc_co_u32_e32 v27, vcc, v27, v11, vcc
	v_mul_lo_u32 v14, v17, v27
	v_mul_lo_u32 v15, v25, v33
	v_mad_u64_u32 v[10:11], s[0:1], v17, v33, 0
	v_add3_u32 v11, v11, v14, v15
	v_mad_u64_u32 v[16:17], s[0:1], v33, v11, 0
	v_mul_hi_u32 v25, v33, v10
	v_mad_u64_u32 v[14:15], s[0:1], v27, v11, 0
	v_mad_u64_u32 v[10:11], s[0:1], v27, v10, 0
	v_add_co_u32_e32 v16, vcc, v25, v16
	v_addc_co_u32_e32 v17, vcc, 0, v17, vcc
	v_add_co_u32_e32 v10, vcc, v16, v10
	v_addc_co_u32_e32 v10, vcc, v17, v11, vcc
	v_addc_co_u32_e32 v11, vcc, 0, v15, vcc
	v_add_co_u32_e32 v10, vcc, v10, v14
	v_addc_co_u32_e32 v11, vcc, 0, v11, vcc
	v_add_co_u32_e32 v14, vcc, v33, v10
	v_addc_co_u32_e32 v15, vcc, v27, v11, vcc
	v_ashrrev_i32_e32 v16, 31, v13
	v_add_co_u32_e32 v10, vcc, v12, v16
	v_xor_b32_e32 v17, v10, v16
	v_addc_co_u32_e32 v12, vcc, v13, v16, vcc
	v_mad_u64_u32 v[10:11], s[0:1], v17, v15, 0
	v_mul_hi_u32 v13, v17, v14
	v_xor_b32_e32 v25, v12, v16
	v_add_co_u32_e32 v27, vcc, v13, v10
	v_addc_co_u32_e32 v33, vcc, 0, v11, vcc
	v_mad_u64_u32 v[10:11], s[0:1], v25, v14, 0
	v_mad_u64_u32 v[12:13], s[0:1], v25, v15, 0
	v_add_co_u32_e32 v10, vcc, v27, v10
	v_addc_co_u32_e32 v10, vcc, v33, v11, vcc
	v_addc_co_u32_e32 v11, vcc, 0, v13, vcc
	v_add_co_u32_e32 v12, vcc, v10, v12
	v_addc_co_u32_e32 v13, vcc, 0, v11, vcc
	v_mul_lo_u32 v14, v23, v12
	v_mul_lo_u32 v15, v24, v13
	v_mad_u64_u32 v[10:11], s[0:1], v24, v12, 0
	v_add3_u32 v11, v11, v15, v14
	v_sub_u32_e32 v14, v25, v11
	v_sub_co_u32_e32 v10, vcc, v17, v10
	v_subb_co_u32_e64 v14, s[0:1], v14, v23, vcc
	v_sub_co_u32_e64 v15, s[0:1], v10, v24
	v_subbrev_co_u32_e64 v14, s[0:1], 0, v14, s[0:1]
	v_cmp_ge_u32_e64 s[0:1], v14, v23
	v_cndmask_b32_e64 v17, 0, -1, s[0:1]
	v_cmp_ge_u32_e64 s[0:1], v15, v24
	v_cndmask_b32_e64 v15, 0, -1, s[0:1]
	v_cmp_eq_u32_e64 s[0:1], v14, v23
	v_cndmask_b32_e64 v14, v17, v15, s[0:1]
	v_add_co_u32_e64 v15, s[0:1], 2, v12
	v_addc_co_u32_e64 v17, s[0:1], 0, v13, s[0:1]
	v_add_co_u32_e64 v27, s[0:1], 1, v12
	v_addc_co_u32_e64 v33, s[0:1], 0, v13, s[0:1]
	v_subb_co_u32_e32 v11, vcc, v25, v11, vcc
	v_cmp_ne_u32_e64 s[0:1], 0, v14
	v_cmp_ge_u32_e32 vcc, v11, v23
	v_cndmask_b32_e64 v14, v33, v17, s[0:1]
	v_cndmask_b32_e64 v17, 0, -1, vcc
	v_cmp_ge_u32_e32 vcc, v10, v24
	v_cndmask_b32_e64 v10, 0, -1, vcc
	v_cmp_eq_u32_e32 vcc, v11, v23
	v_cndmask_b32_e32 v10, v17, v10, vcc
	v_cmp_ne_u32_e32 vcc, 0, v10
	v_cndmask_b32_e64 v11, v27, v15, s[0:1]
	v_cndmask_b32_e32 v10, v13, v14, vcc
	v_cndmask_b32_e32 v11, v12, v11, vcc
	v_xor_b32_e32 v12, v16, v22
	v_xor_b32_e32 v13, v10, v12
	;; [unrolled: 1-line block ×3, first 2 shown]
	v_sub_co_u32_e32 v10, vcc, v10, v12
	v_subb_co_u32_e32 v11, vcc, v13, v12, vcc
                                        ; implicit-def: $vgpr16_vgpr17
                                        ; implicit-def: $vgpr12_vgpr13
.LBB124_53:                             ;   in Loop: Header=BB124_39 Depth=1
	s_andn2_saveexec_b64 s[0:1], s[8:9]
	s_cbranch_execz .LBB124_38
; %bb.54:                               ;   in Loop: Header=BB124_39 Depth=1
	v_cvt_f32_u32_e32 v10, v16
	v_sub_u32_e32 v11, 0, v16
	v_rcp_iflag_f32_e32 v10, v10
	v_mul_f32_e32 v10, 0x4f7ffffe, v10
	v_cvt_u32_f32_e32 v10, v10
	v_mul_lo_u32 v11, v11, v10
	v_mul_hi_u32 v11, v10, v11
	v_add_u32_e32 v10, v10, v11
	v_mul_hi_u32 v10, v12, v10
	v_mul_lo_u32 v11, v10, v16
	v_add_u32_e32 v13, 1, v10
	v_sub_u32_e32 v11, v12, v11
	v_sub_u32_e32 v12, v11, v16
	v_cmp_ge_u32_e32 vcc, v11, v16
	v_cndmask_b32_e32 v11, v11, v12, vcc
	v_cndmask_b32_e32 v10, v10, v13, vcc
	v_add_u32_e32 v12, 1, v10
	v_cmp_ge_u32_e32 vcc, v11, v16
	v_cndmask_b32_e32 v10, v10, v12, vcc
	v_mov_b32_e32 v11, v26
	s_branch .LBB124_38
.LBB124_55:
	s_endpgm
	.section	.rodata,"a",@progbits
	.p2align	6, 0x0
	.amdhsa_kernel _ZN2at6native12_GLOBAL__N_125multi_tensor_apply_kernelINS1_28TensorListScalarListMetadataIlLi3EEENS1_28PointwiseOpScalarListFunctorIlLi3ELi3ELi0EEEJSt7dividesIlEEEEvT_T0_DpT1_
		.amdhsa_group_segment_fixed_size 0
		.amdhsa_private_segment_fixed_size 0
		.amdhsa_kernarg_size 3784
		.amdhsa_user_sgpr_count 6
		.amdhsa_user_sgpr_private_segment_buffer 1
		.amdhsa_user_sgpr_dispatch_ptr 0
		.amdhsa_user_sgpr_queue_ptr 0
		.amdhsa_user_sgpr_kernarg_segment_ptr 1
		.amdhsa_user_sgpr_dispatch_id 0
		.amdhsa_user_sgpr_flat_scratch_init 0
		.amdhsa_user_sgpr_private_segment_size 0
		.amdhsa_uses_dynamic_stack 0
		.amdhsa_system_sgpr_private_segment_wavefront_offset 0
		.amdhsa_system_sgpr_workgroup_id_x 1
		.amdhsa_system_sgpr_workgroup_id_y 0
		.amdhsa_system_sgpr_workgroup_id_z 0
		.amdhsa_system_sgpr_workgroup_info 0
		.amdhsa_system_vgpr_workitem_id 0
		.amdhsa_next_free_vgpr 70
		.amdhsa_next_free_sgpr 32
		.amdhsa_reserve_vcc 1
		.amdhsa_reserve_flat_scratch 0
		.amdhsa_float_round_mode_32 0
		.amdhsa_float_round_mode_16_64 0
		.amdhsa_float_denorm_mode_32 3
		.amdhsa_float_denorm_mode_16_64 3
		.amdhsa_dx10_clamp 1
		.amdhsa_ieee_mode 1
		.amdhsa_fp16_overflow 0
		.amdhsa_exception_fp_ieee_invalid_op 0
		.amdhsa_exception_fp_denorm_src 0
		.amdhsa_exception_fp_ieee_div_zero 0
		.amdhsa_exception_fp_ieee_overflow 0
		.amdhsa_exception_fp_ieee_underflow 0
		.amdhsa_exception_fp_ieee_inexact 0
		.amdhsa_exception_int_div_zero 0
	.end_amdhsa_kernel
	.section	.text._ZN2at6native12_GLOBAL__N_125multi_tensor_apply_kernelINS1_28TensorListScalarListMetadataIlLi3EEENS1_28PointwiseOpScalarListFunctorIlLi3ELi3ELi0EEEJSt7dividesIlEEEEvT_T0_DpT1_,"axG",@progbits,_ZN2at6native12_GLOBAL__N_125multi_tensor_apply_kernelINS1_28TensorListScalarListMetadataIlLi3EEENS1_28PointwiseOpScalarListFunctorIlLi3ELi3ELi0EEEJSt7dividesIlEEEEvT_T0_DpT1_,comdat
.Lfunc_end124:
	.size	_ZN2at6native12_GLOBAL__N_125multi_tensor_apply_kernelINS1_28TensorListScalarListMetadataIlLi3EEENS1_28PointwiseOpScalarListFunctorIlLi3ELi3ELi0EEEJSt7dividesIlEEEEvT_T0_DpT1_, .Lfunc_end124-_ZN2at6native12_GLOBAL__N_125multi_tensor_apply_kernelINS1_28TensorListScalarListMetadataIlLi3EEENS1_28PointwiseOpScalarListFunctorIlLi3ELi3ELi0EEEJSt7dividesIlEEEEvT_T0_DpT1_
                                        ; -- End function
	.set _ZN2at6native12_GLOBAL__N_125multi_tensor_apply_kernelINS1_28TensorListScalarListMetadataIlLi3EEENS1_28PointwiseOpScalarListFunctorIlLi3ELi3ELi0EEEJSt7dividesIlEEEEvT_T0_DpT1_.num_vgpr, 70
	.set _ZN2at6native12_GLOBAL__N_125multi_tensor_apply_kernelINS1_28TensorListScalarListMetadataIlLi3EEENS1_28PointwiseOpScalarListFunctorIlLi3ELi3ELi0EEEJSt7dividesIlEEEEvT_T0_DpT1_.num_agpr, 0
	.set _ZN2at6native12_GLOBAL__N_125multi_tensor_apply_kernelINS1_28TensorListScalarListMetadataIlLi3EEENS1_28PointwiseOpScalarListFunctorIlLi3ELi3ELi0EEEJSt7dividesIlEEEEvT_T0_DpT1_.numbered_sgpr, 32
	.set _ZN2at6native12_GLOBAL__N_125multi_tensor_apply_kernelINS1_28TensorListScalarListMetadataIlLi3EEENS1_28PointwiseOpScalarListFunctorIlLi3ELi3ELi0EEEJSt7dividesIlEEEEvT_T0_DpT1_.num_named_barrier, 0
	.set _ZN2at6native12_GLOBAL__N_125multi_tensor_apply_kernelINS1_28TensorListScalarListMetadataIlLi3EEENS1_28PointwiseOpScalarListFunctorIlLi3ELi3ELi0EEEJSt7dividesIlEEEEvT_T0_DpT1_.private_seg_size, 0
	.set _ZN2at6native12_GLOBAL__N_125multi_tensor_apply_kernelINS1_28TensorListScalarListMetadataIlLi3EEENS1_28PointwiseOpScalarListFunctorIlLi3ELi3ELi0EEEJSt7dividesIlEEEEvT_T0_DpT1_.uses_vcc, 1
	.set _ZN2at6native12_GLOBAL__N_125multi_tensor_apply_kernelINS1_28TensorListScalarListMetadataIlLi3EEENS1_28PointwiseOpScalarListFunctorIlLi3ELi3ELi0EEEJSt7dividesIlEEEEvT_T0_DpT1_.uses_flat_scratch, 0
	.set _ZN2at6native12_GLOBAL__N_125multi_tensor_apply_kernelINS1_28TensorListScalarListMetadataIlLi3EEENS1_28PointwiseOpScalarListFunctorIlLi3ELi3ELi0EEEJSt7dividesIlEEEEvT_T0_DpT1_.has_dyn_sized_stack, 0
	.set _ZN2at6native12_GLOBAL__N_125multi_tensor_apply_kernelINS1_28TensorListScalarListMetadataIlLi3EEENS1_28PointwiseOpScalarListFunctorIlLi3ELi3ELi0EEEJSt7dividesIlEEEEvT_T0_DpT1_.has_recursion, 0
	.set _ZN2at6native12_GLOBAL__N_125multi_tensor_apply_kernelINS1_28TensorListScalarListMetadataIlLi3EEENS1_28PointwiseOpScalarListFunctorIlLi3ELi3ELi0EEEJSt7dividesIlEEEEvT_T0_DpT1_.has_indirect_call, 0
	.section	.AMDGPU.csdata,"",@progbits
; Kernel info:
; codeLenInByte = 7680
; TotalNumSgprs: 36
; NumVgprs: 70
; ScratchSize: 0
; MemoryBound: 1
; FloatMode: 240
; IeeeMode: 1
; LDSByteSize: 0 bytes/workgroup (compile time only)
; SGPRBlocks: 4
; VGPRBlocks: 17
; NumSGPRsForWavesPerEU: 36
; NumVGPRsForWavesPerEU: 70
; Occupancy: 3
; WaveLimiterHint : 1
; COMPUTE_PGM_RSRC2:SCRATCH_EN: 0
; COMPUTE_PGM_RSRC2:USER_SGPR: 6
; COMPUTE_PGM_RSRC2:TRAP_HANDLER: 0
; COMPUTE_PGM_RSRC2:TGID_X_EN: 1
; COMPUTE_PGM_RSRC2:TGID_Y_EN: 0
; COMPUTE_PGM_RSRC2:TGID_Z_EN: 0
; COMPUTE_PGM_RSRC2:TIDIG_COMP_CNT: 0
	.section	.text._ZN2at6native12_GLOBAL__N_125multi_tensor_apply_kernelINS1_28TensorListScalarListMetadataIsLi3EEENS1_28PointwiseOpScalarListFunctorIsLi3ELi3ELi0EEEJSt7dividesIsEEEEvT_T0_DpT1_,"axG",@progbits,_ZN2at6native12_GLOBAL__N_125multi_tensor_apply_kernelINS1_28TensorListScalarListMetadataIsLi3EEENS1_28PointwiseOpScalarListFunctorIsLi3ELi3ELi0EEEJSt7dividesIsEEEEvT_T0_DpT1_,comdat
	.globl	_ZN2at6native12_GLOBAL__N_125multi_tensor_apply_kernelINS1_28TensorListScalarListMetadataIsLi3EEENS1_28PointwiseOpScalarListFunctorIsLi3ELi3ELi0EEEJSt7dividesIsEEEEvT_T0_DpT1_ ; -- Begin function _ZN2at6native12_GLOBAL__N_125multi_tensor_apply_kernelINS1_28TensorListScalarListMetadataIsLi3EEENS1_28PointwiseOpScalarListFunctorIsLi3ELi3ELi0EEEJSt7dividesIsEEEEvT_T0_DpT1_
	.p2align	8
	.type	_ZN2at6native12_GLOBAL__N_125multi_tensor_apply_kernelINS1_28TensorListScalarListMetadataIsLi3EEENS1_28PointwiseOpScalarListFunctorIsLi3ELi3ELi0EEEJSt7dividesIsEEEEvT_T0_DpT1_,@function
_ZN2at6native12_GLOBAL__N_125multi_tensor_apply_kernelINS1_28TensorListScalarListMetadataIsLi3EEENS1_28PointwiseOpScalarListFunctorIsLi3ELi3ELi0EEEJSt7dividesIsEEEEvT_T0_DpT1_: ; @_ZN2at6native12_GLOBAL__N_125multi_tensor_apply_kernelINS1_28TensorListScalarListMetadataIsLi3EEENS1_28PointwiseOpScalarListFunctorIsLi3ELi3ELi0EEEJSt7dividesIsEEEEvT_T0_DpT1_
; %bb.0:
	v_mov_b32_e32 v1, s6
	global_load_ubyte v1, v1, s[4:5] offset:1632
	s_add_u32 s0, s4, s6
	s_mul_i32 s1, s6, 3
	s_addc_u32 s2, s5, 0
	s_mul_hi_u32 s3, s6, 3
	s_add_u32 s0, s0, s1
	s_addc_u32 s1, s2, s3
	s_load_dword s0, s[0:1], 0x7a0
	s_mov_b32 s7, 0
	s_waitcnt lgkmcnt(0)
	s_ashr_i32 s1, s0, 31
	s_waitcnt vmcnt(0)
	v_readfirstlane_b32 s2, v1
	v_mul_hi_i32 v2, v1, -6
	v_mul_lo_u32 v1, v1, -6
	s_lshl_b32 s6, s2, 3
	s_add_u32 s2, s4, s6
	s_addc_u32 s3, s5, 0
	v_mov_b32_e32 v3, s3
	v_add_co_u32_e32 v1, vcc, s2, v1
	v_addc_co_u32_e32 v2, vcc, v3, v2, vcc
	global_load_ushort v3, v[1:2], off offset:1536
	s_load_dwordx2 s[2:3], s[4:5], s6 offset:0x480
	s_load_dwordx2 s[14:15], s[4:5], s6 offset:0x0
	;; [unrolled: 1-line block ×4, first 2 shown]
	s_lshl_b64 s[20:21], s[0:1], 17
	s_waitcnt lgkmcnt(0)
	s_and_b32 s6, s14, 7
	s_add_u32 s8, s16, s20
	s_or_b32 s8, s18, s8
	s_and_b32 s8, s8, 7
	s_cmp_eq_u32 s8, 0
	s_cselect_b64 s[8:9], -1, 0
	s_lshl_b64 s[0:1], s[0:1], 16
	s_sub_u32 s22, s2, s0
	s_subb_u32 s23, s3, s1
	s_and_b32 s0, s2, 3
	s_mov_b32 s1, s7
	s_or_b64 s[0:1], s[6:7], s[0:1]
	s_cmp_eq_u64 s[0:1], 0
	s_cselect_b64 s[0:1], -1, 0
	s_and_b64 s[2:3], s[8:9], s[0:1]
	s_mov_b64 s[0:1], -1
	s_and_b64 vcc, exec, s[2:3]
	s_cbranch_vccnz .LBB125_45
; %bb.1:
	v_cmp_lt_i64_e64 s[0:1], s[22:23], 1
	s_and_b64 vcc, exec, s[0:1]
	s_cbranch_vccnz .LBB125_44
; %bb.2:
	v_mov_b32_e32 v1, 0x10000
	s_load_dword s2, s[4:5], 0xcb4
	v_mov_b32_e32 v2, 0
	v_cmp_lt_i64_e32 vcc, s[22:23], v[1:2]
	v_mov_b32_e32 v19, 0
	s_and_b64 s[0:1], vcc, exec
	s_cselect_b32 s25, s23, 0
	s_cselect_b32 s24, s22, 0x10000
	s_waitcnt lgkmcnt(0)
	s_and_b32 s2, s2, 0xffff
	v_lshlrev_b32_e32 v18, 1, v0
	v_mad_u64_u32 v[6:7], s[0:1], s2, 6, v[18:19]
	v_cmp_lt_u64_e32 vcc, s[22:23], v[1:2]
	v_mov_b32_e32 v1, 1
	s_and_b64 s[0:1], vcc, exec
	s_waitcnt vmcnt(0)
	v_cmp_ne_u32_sdwa s[28:29], v3, v1 src0_sel:WORD_0 src1_sel:DWORD
	v_mov_b32_e32 v2, s15
	v_add_co_u32_e32 v1, vcc, s14, v6
	v_addc_co_u32_e32 v2, vcc, v2, v7, vcc
	v_mov_b32_e32 v5, s17
	v_add_co_u32_e32 v4, vcc, s16, v6
	v_addc_co_u32_e32 v5, vcc, v5, v7, vcc
	v_mov_b32_e32 v8, s19
	v_add_co_u32_e32 v6, vcc, s18, v6
	s_cselect_b32 s27, s23, 0
	s_cselect_b32 s26, s22, 0x10000
	s_lshl_b32 s33, s2, 2
	v_addc_co_u32_e32 v7, vcc, v8, v7, vcc
	v_add_co_u32_e32 v12, vcc, s33, v18
	v_addc_co_u32_e64 v13, s[0:1], 0, 0, vcc
	v_mov_b32_e32 v9, s15
	v_add_co_u32_e32 v8, vcc, s14, v12
	v_addc_co_u32_e32 v9, vcc, v9, v13, vcc
	v_mov_b32_e32 v11, s17
	v_add_co_u32_e32 v10, vcc, s16, v12
	v_addc_co_u32_e32 v11, vcc, v11, v13, vcc
	;; [unrolled: 3-line block ×6, first 2 shown]
	v_add_co_u32_e32 v20, vcc, s2, v0
	v_lshlrev_b32_e32 v26, 1, v20
	v_addc_co_u32_e64 v21, s[0:1], 0, 0, vcc
	v_mov_b32_e32 v23, s15
	v_add_co_u32_e32 v22, vcc, s14, v26
	v_addc_co_u32_e32 v23, vcc, 0, v23, vcc
	v_mov_b32_e32 v25, s17
	v_add_co_u32_e32 v24, vcc, s16, v26
	v_addc_co_u32_e32 v25, vcc, 0, v25, vcc
	v_mov_b32_e32 v27, s19
	v_add_co_u32_e32 v26, vcc, s18, v26
	s_mul_i32 s6, s2, 3
	v_addc_co_u32_e32 v27, vcc, 0, v27, vcc
	s_lshl_b32 s3, s2, 1
	v_add_co_u32_e32 v28, vcc, s6, v0
	v_addc_co_u32_e64 v29, s[0:1], 0, 0, vcc
	v_add_co_u32_e32 v30, vcc, s3, v0
	s_lshl_b32 s34, s2, 3
	s_mov_b64 s[30:31], 0
	v_addc_co_u32_e64 v31, s[0:1], 0, 0, vcc
	s_branch .LBB125_4
.LBB125_3:                              ;   in Loop: Header=BB125_4 Depth=1
	s_or_b64 exec, exec, s[0:1]
	v_add_co_u32_e32 v14, vcc, s34, v14
	v_addc_co_u32_e32 v15, vcc, 0, v15, vcc
	v_add_co_u32_e32 v16, vcc, s34, v16
	v_addc_co_u32_e32 v17, vcc, 0, v17, vcc
	;; [unrolled: 2-line block ×10, first 2 shown]
	s_add_u32 s30, s30, s33
	v_add_co_u32_e32 v24, vcc, s34, v24
	v_mov_b32_e32 v33, s25
	s_addc_u32 s31, s31, 0
	v_addc_co_u32_e32 v25, vcc, 0, v25, vcc
	v_mov_b32_e32 v32, s24
	v_cmp_ge_i64_e32 vcc, s[30:31], v[32:33]
	v_add_co_u32_e64 v26, s[0:1], s34, v26
	v_addc_co_u32_e64 v27, s[0:1], 0, v27, s[0:1]
	s_cbranch_vccnz .LBB125_44
.LBB125_4:                              ; =>This Inner Loop Header: Depth=1
	v_mov_b32_e32 v33, s31
	v_add_co_u32_e32 v32, vcc, s30, v0
	v_addc_co_u32_e32 v33, vcc, 0, v33, vcc
	v_cmp_gt_u64_e64 s[0:1], s[26:27], v[32:33]
	v_mov_b32_e32 v41, 0
	v_mov_b32_e32 v43, 0
	;; [unrolled: 1-line block ×3, first 2 shown]
	s_and_saveexec_b64 s[2:3], s[0:1]
	s_cbranch_execz .LBB125_6
; %bb.5:                                ;   in Loop: Header=BB125_4 Depth=1
	v_mov_b32_e32 v32, s21
	v_add_co_u32_e32 v34, vcc, s20, v14
	v_addc_co_u32_e32 v35, vcc, v15, v32, vcc
	v_add_co_u32_e32 v36, vcc, s20, v16
	v_addc_co_u32_e32 v37, vcc, v17, v32, vcc
	global_load_ushort v33, v[34:35], off
	global_load_sshort v43, v[36:37], off
.LBB125_6:                              ;   in Loop: Header=BB125_4 Depth=1
	s_or_b64 exec, exec, s[2:3]
	s_and_saveexec_b64 s[2:3], s[0:1]
	s_cbranch_execz .LBB125_8
; %bb.7:                                ;   in Loop: Header=BB125_4 Depth=1
	v_mov_b32_e32 v32, s21
	v_add_co_u32_e32 v34, vcc, s20, v18
	v_addc_co_u32_e32 v35, vcc, v19, v32, vcc
	global_load_sshort v41, v[34:35], off
.LBB125_8:                              ;   in Loop: Header=BB125_4 Depth=1
	s_or_b64 exec, exec, s[2:3]
	v_mov_b32_e32 v32, s31
	v_add_co_u32_e32 v34, vcc, s30, v20
	v_addc_co_u32_e32 v35, vcc, v21, v32, vcc
	v_cmp_gt_u64_e64 s[2:3], s[26:27], v[34:35]
	v_mov_b32_e32 v32, 0
	v_mov_b32_e32 v36, 0
	;; [unrolled: 1-line block ×3, first 2 shown]
	s_and_saveexec_b64 s[6:7], s[2:3]
	s_cbranch_execz .LBB125_10
; %bb.9:                                ;   in Loop: Header=BB125_4 Depth=1
	v_mov_b32_e32 v32, s21
	v_add_co_u32_e32 v34, vcc, s20, v24
	v_addc_co_u32_e32 v35, vcc, v25, v32, vcc
	v_add_co_u32_e32 v39, vcc, s20, v22
	v_addc_co_u32_e32 v40, vcc, v23, v32, vcc
	global_load_ushort v32, v[39:40], off
	global_load_sshort v38, v[34:35], off
.LBB125_10:                             ;   in Loop: Header=BB125_4 Depth=1
	s_or_b64 exec, exec, s[6:7]
	s_and_saveexec_b64 s[6:7], s[2:3]
	s_cbranch_execz .LBB125_12
; %bb.11:                               ;   in Loop: Header=BB125_4 Depth=1
	v_mov_b32_e32 v35, s21
	v_add_co_u32_e32 v34, vcc, s20, v26
	v_addc_co_u32_e32 v35, vcc, v27, v35, vcc
	global_load_sshort v36, v[34:35], off
.LBB125_12:                             ;   in Loop: Header=BB125_4 Depth=1
	s_or_b64 exec, exec, s[6:7]
	v_mov_b32_e32 v35, s31
	v_add_co_u32_e32 v34, vcc, s30, v30
	v_addc_co_u32_e32 v35, vcc, v31, v35, vcc
	v_cmp_gt_u64_e64 s[6:7], s[26:27], v[34:35]
	v_mov_b32_e32 v34, 0
	v_mov_b32_e32 v37, 0
	v_mov_b32_e32 v39, 0
	s_and_saveexec_b64 s[8:9], s[6:7]
	s_cbranch_execz .LBB125_14
; %bb.13:                               ;   in Loop: Header=BB125_4 Depth=1
	v_mov_b32_e32 v34, s21
	v_add_co_u32_e32 v44, vcc, s20, v10
	v_addc_co_u32_e32 v45, vcc, v11, v34, vcc
	v_add_co_u32_e32 v46, vcc, s20, v8
	v_addc_co_u32_e32 v47, vcc, v9, v34, vcc
	global_load_ushort v34, v[46:47], off
	global_load_sshort v39, v[44:45], off
.LBB125_14:                             ;   in Loop: Header=BB125_4 Depth=1
	s_or_b64 exec, exec, s[8:9]
	s_and_saveexec_b64 s[8:9], s[6:7]
	s_cbranch_execz .LBB125_16
; %bb.15:                               ;   in Loop: Header=BB125_4 Depth=1
	v_mov_b32_e32 v35, s21
	v_add_co_u32_e32 v44, vcc, s20, v12
	v_addc_co_u32_e32 v45, vcc, v13, v35, vcc
	global_load_sshort v37, v[44:45], off
.LBB125_16:                             ;   in Loop: Header=BB125_4 Depth=1
	s_or_b64 exec, exec, s[8:9]
	v_mov_b32_e32 v35, s31
	v_add_co_u32_e32 v44, vcc, s30, v28
	v_addc_co_u32_e32 v45, vcc, v29, v35, vcc
	v_cmp_gt_u64_e64 s[8:9], s[26:27], v[44:45]
	v_mov_b32_e32 v35, 0
	v_mov_b32_e32 v40, 0
	v_mov_b32_e32 v42, 0
	s_and_saveexec_b64 s[10:11], s[8:9]
	s_cbranch_execz .LBB125_18
; %bb.17:                               ;   in Loop: Header=BB125_4 Depth=1
	v_mov_b32_e32 v35, s21
	v_add_co_u32_e32 v44, vcc, s20, v4
	v_addc_co_u32_e32 v45, vcc, v5, v35, vcc
	v_add_co_u32_e32 v46, vcc, s20, v1
	v_addc_co_u32_e32 v47, vcc, v2, v35, vcc
	global_load_ushort v35, v[46:47], off
	global_load_sshort v42, v[44:45], off
.LBB125_18:                             ;   in Loop: Header=BB125_4 Depth=1
	s_or_b64 exec, exec, s[10:11]
	s_and_saveexec_b64 s[10:11], s[8:9]
	s_cbranch_execz .LBB125_20
; %bb.19:                               ;   in Loop: Header=BB125_4 Depth=1
	v_mov_b32_e32 v40, s21
	v_add_co_u32_e32 v44, vcc, s20, v6
	v_addc_co_u32_e32 v45, vcc, v7, v40, vcc
	global_load_sshort v40, v[44:45], off
.LBB125_20:                             ;   in Loop: Header=BB125_4 Depth=1
	s_or_b64 exec, exec, s[10:11]
	s_waitcnt vmcnt(0)
	v_xor_b32_e32 v44, v43, v41
	v_cvt_f32_i32_e32 v41, v41
	v_cvt_f32_i32_e32 v43, v43
	v_ashrrev_i32_e32 v44, 30, v44
	v_or_b32_e32 v44, 1, v44
	v_rcp_iflag_f32_e32 v45, v41
	s_mov_b64 s[10:11], -1
	v_mul_f32_e32 v45, v43, v45
	v_trunc_f32_e32 v45, v45
	v_mad_f32 v43, -v45, v41, v43
	v_cvt_i32_f32_e32 v45, v45
	v_cmp_ge_f32_e64 vcc, |v43|, |v41|
	v_cndmask_b32_e32 v41, 0, v44, vcc
	s_and_b64 vcc, exec, s[28:29]
	v_add_u32_e32 v43, v45, v41
                                        ; implicit-def: $vgpr41
	s_cbranch_vccz .LBB125_22
; %bb.21:                               ;   in Loop: Header=BB125_4 Depth=1
	v_mad_legacy_u16 v41, v3, v43, v33
	s_mov_b64 s[10:11], 0
.LBB125_22:                             ;   in Loop: Header=BB125_4 Depth=1
	s_andn2_b64 vcc, exec, s[10:11]
	s_cbranch_vccnz .LBB125_24
; %bb.23:                               ;   in Loop: Header=BB125_4 Depth=1
	v_add_u16_e32 v41, v33, v43
.LBB125_24:                             ;   in Loop: Header=BB125_4 Depth=1
	v_cvt_f32_i32_e32 v33, v36
	v_xor_b32_e32 v36, v38, v36
	v_cvt_f32_i32_e32 v38, v38
	v_cndmask_b32_e64 v43, 0, 1, s[28:29]
	v_rcp_iflag_f32_e32 v44, v33
	v_cmp_ne_u32_e64 s[10:11], 1, v43
	v_ashrrev_i32_e32 v36, 30, v36
	v_or_b32_e32 v36, 1, v36
	v_mul_f32_e32 v43, v38, v44
	v_trunc_f32_e32 v43, v43
	v_cvt_i32_f32_e32 v44, v43
	v_mad_f32 v38, -v43, v33, v38
	v_cmp_ge_f32_e64 vcc, |v38|, |v33|
	v_cndmask_b32_e32 v33, 0, v36, vcc
	v_add_u32_e32 v36, v44, v33
	s_andn2_b64 vcc, exec, s[28:29]
	s_mov_b64 s[12:13], -1
                                        ; implicit-def: $vgpr33
	s_cbranch_vccnz .LBB125_26
; %bb.25:                               ;   in Loop: Header=BB125_4 Depth=1
	v_mad_legacy_u16 v33, v3, v36, v32
	s_mov_b64 s[12:13], 0
.LBB125_26:                             ;   in Loop: Header=BB125_4 Depth=1
	s_andn2_b64 vcc, exec, s[12:13]
	s_cbranch_vccnz .LBB125_28
; %bb.27:                               ;   in Loop: Header=BB125_4 Depth=1
	v_add_u16_e32 v33, v32, v36
.LBB125_28:                             ;   in Loop: Header=BB125_4 Depth=1
	v_cvt_f32_i32_e32 v32, v37
	v_xor_b32_e32 v36, v39, v37
	v_cvt_f32_i32_e32 v37, v39
	v_ashrrev_i32_e32 v36, 30, v36
	v_rcp_iflag_f32_e32 v38, v32
	v_or_b32_e32 v36, 1, v36
	s_and_b64 vcc, exec, s[10:11]
	v_mul_f32_e32 v38, v37, v38
	v_trunc_f32_e32 v38, v38
	v_cvt_i32_f32_e32 v39, v38
	v_mad_f32 v37, -v38, v32, v37
	v_cmp_ge_f32_e64 s[12:13], |v37|, |v32|
	v_cndmask_b32_e64 v32, 0, v36, s[12:13]
	v_add_u32_e32 v36, v39, v32
	s_mov_b64 s[12:13], -1
                                        ; implicit-def: $vgpr32
	s_cbranch_vccnz .LBB125_30
; %bb.29:                               ;   in Loop: Header=BB125_4 Depth=1
	v_mad_legacy_u16 v32, v3, v36, v34
	s_mov_b64 s[12:13], 0
.LBB125_30:                             ;   in Loop: Header=BB125_4 Depth=1
	s_andn2_b64 vcc, exec, s[12:13]
	s_cbranch_vccnz .LBB125_32
; %bb.31:                               ;   in Loop: Header=BB125_4 Depth=1
	v_add_u16_e32 v32, v34, v36
.LBB125_32:                             ;   in Loop: Header=BB125_4 Depth=1
	v_cvt_f32_i32_e32 v34, v40
	v_cvt_f32_i32_e32 v37, v42
	v_xor_b32_e32 v36, v42, v40
	v_ashrrev_i32_e32 v36, 30, v36
	v_rcp_iflag_f32_e32 v38, v34
	s_and_b64 vcc, exec, s[10:11]
	v_or_b32_e32 v36, 1, v36
	v_mul_f32_e32 v38, v37, v38
	v_trunc_f32_e32 v38, v38
	v_cvt_i32_f32_e32 v39, v38
	v_mad_f32 v37, -v38, v34, v37
	v_cmp_ge_f32_e64 s[10:11], |v37|, |v34|
	v_cndmask_b32_e64 v34, 0, v36, s[10:11]
	v_add_u32_e32 v36, v39, v34
	s_mov_b64 s[10:11], -1
                                        ; implicit-def: $vgpr34
	s_cbranch_vccz .LBB125_38
; %bb.33:                               ;   in Loop: Header=BB125_4 Depth=1
	s_andn2_b64 vcc, exec, s[10:11]
	s_cbranch_vccz .LBB125_39
.LBB125_34:                             ;   in Loop: Header=BB125_4 Depth=1
	s_and_saveexec_b64 s[10:11], s[0:1]
	s_xor_b64 s[0:1], exec, s[10:11]
	s_cbranch_execnz .LBB125_40
.LBB125_35:                             ;   in Loop: Header=BB125_4 Depth=1
	s_or_b64 exec, exec, s[0:1]
	s_and_saveexec_b64 s[0:1], s[2:3]
	s_cbranch_execnz .LBB125_41
.LBB125_36:                             ;   in Loop: Header=BB125_4 Depth=1
	s_or_b64 exec, exec, s[0:1]
	s_and_saveexec_b64 s[0:1], s[6:7]
	s_cbranch_execnz .LBB125_42
.LBB125_37:                             ;   in Loop: Header=BB125_4 Depth=1
	s_or_b64 exec, exec, s[0:1]
	s_and_saveexec_b64 s[0:1], s[8:9]
	s_cbranch_execz .LBB125_3
	s_branch .LBB125_43
.LBB125_38:                             ;   in Loop: Header=BB125_4 Depth=1
	v_mad_legacy_u16 v34, v3, v36, v35
	s_cbranch_execnz .LBB125_34
.LBB125_39:                             ;   in Loop: Header=BB125_4 Depth=1
	v_add_u16_e32 v34, v35, v36
	s_and_saveexec_b64 s[10:11], s[0:1]
	s_xor_b64 s[0:1], exec, s[10:11]
	s_cbranch_execz .LBB125_35
.LBB125_40:                             ;   in Loop: Header=BB125_4 Depth=1
	v_mov_b32_e32 v36, s21
	v_add_co_u32_e32 v35, vcc, s20, v14
	v_addc_co_u32_e32 v36, vcc, v15, v36, vcc
	global_store_short v[35:36], v41, off
	s_or_b64 exec, exec, s[0:1]
	s_and_saveexec_b64 s[0:1], s[2:3]
	s_cbranch_execz .LBB125_36
.LBB125_41:                             ;   in Loop: Header=BB125_4 Depth=1
	v_mov_b32_e32 v36, s21
	v_add_co_u32_e32 v35, vcc, s20, v22
	v_addc_co_u32_e32 v36, vcc, v23, v36, vcc
	global_store_short v[35:36], v33, off
	s_or_b64 exec, exec, s[0:1]
	s_and_saveexec_b64 s[0:1], s[6:7]
	s_cbranch_execz .LBB125_37
.LBB125_42:                             ;   in Loop: Header=BB125_4 Depth=1
	v_mov_b32_e32 v33, s21
	v_add_co_u32_e32 v35, vcc, s20, v8
	v_addc_co_u32_e32 v36, vcc, v9, v33, vcc
	global_store_short v[35:36], v32, off
	s_or_b64 exec, exec, s[0:1]
	s_and_saveexec_b64 s[0:1], s[8:9]
	s_cbranch_execz .LBB125_3
.LBB125_43:                             ;   in Loop: Header=BB125_4 Depth=1
	v_mov_b32_e32 v33, s21
	v_add_co_u32_e32 v32, vcc, s20, v1
	v_addc_co_u32_e32 v33, vcc, v2, v33, vcc
	global_store_short v[32:33], v34, off
	s_branch .LBB125_3
.LBB125_44:
	s_mov_b64 s[0:1], 0
.LBB125_45:
	s_andn2_b64 vcc, exec, s[0:1]
	s_cbranch_vccnz .LBB125_49
; %bb.46:
	v_mov_b32_e32 v1, 0x10000
	v_mov_b32_e32 v2, 0
	v_cmp_lt_i64_e32 vcc, s[22:23], v[1:2]
	v_mov_b32_e32 v2, 0
	s_and_b64 s[0:1], vcc, exec
	s_cselect_b32 s1, s23, 0
	s_cselect_b32 s0, s22, 0x10000
	v_lshlrev_b32_e32 v1, 2, v0
	v_cmp_gt_i64_e32 vcc, s[0:1], v[1:2]
	s_and_saveexec_b64 s[2:3], vcc
	s_cbranch_execz .LBB125_49
; %bb.47:
	s_load_dword s2, s[4:5], 0xcb4
	v_mov_b32_e32 v1, v2
	v_lshlrev_b32_e32 v2, 3, v0
	v_mov_b32_e32 v4, s21
	v_add_co_u32_e32 v2, vcc, s20, v2
	s_waitcnt lgkmcnt(0)
	s_and_b32 s4, s2, 0xffff
	v_addc_co_u32_e32 v4, vcc, 0, v4, vcc
	s_lshl_b32 s5, s4, 3
	s_mov_b64 s[2:3], 0
	v_mov_b32_e32 v5, s15
	v_mov_b32_e32 v6, s17
	;; [unrolled: 1-line block ×3, first 2 shown]
.LBB125_48:                             ; =>This Inner Loop Header: Depth=1
	v_add_co_u32_e32 v8, vcc, s14, v2
	v_addc_co_u32_e32 v9, vcc, v5, v4, vcc
	v_add_co_u32_e32 v10, vcc, s16, v2
	v_addc_co_u32_e32 v11, vcc, v6, v4, vcc
	;; [unrolled: 2-line block ×3, first 2 shown]
	global_load_dwordx2 v[14:15], v[10:11], off
	global_load_dwordx2 v[16:17], v[12:13], off
	;; [unrolled: 1-line block ×3, first 2 shown]
	v_add_co_u32_e32 v0, vcc, s4, v0
	v_addc_co_u32_e32 v1, vcc, 0, v1, vcc
	v_add_co_u32_e32 v2, vcc, s5, v2
	v_lshlrev_b64 v[10:11], 2, v[0:1]
	v_addc_co_u32_e32 v4, vcc, 0, v4, vcc
	v_cmp_le_i64_e32 vcc, s[0:1], v[10:11]
	s_or_b64 s[2:3], vcc, s[2:3]
	s_waitcnt vmcnt(2)
	v_cvt_f32_i32_sdwa v11, sext(v14) dst_sel:DWORD dst_unused:UNUSED_PAD src0_sel:WORD_0
	s_waitcnt vmcnt(1)
	v_cvt_f32_i32_sdwa v12, sext(v16) dst_sel:DWORD dst_unused:UNUSED_PAD src0_sel:WORD_0
	v_cvt_f32_i32_sdwa v23, sext(v16) dst_sel:DWORD dst_unused:UNUSED_PAD src0_sel:WORD_1
	v_xor_b32_sdwa v10, sext(v14), sext(v16) dst_sel:DWORD dst_unused:UNUSED_PAD src0_sel:WORD_0 src1_sel:WORD_0
	v_xor_b32_sdwa v21, sext(v14), sext(v16) dst_sel:DWORD dst_unused:UNUSED_PAD src0_sel:WORD_1 src1_sel:WORD_1
	v_cvt_f32_i32_sdwa v22, sext(v14) dst_sel:DWORD dst_unused:UNUSED_PAD src0_sel:WORD_1
	v_alignbit_b32 v14, v15, v14, 16
	v_alignbit_b32 v16, v17, v16, 16
	v_xor_b32_sdwa v24, sext(v15), sext(v17) dst_sel:DWORD dst_unused:UNUSED_PAD src0_sel:WORD_1 src1_sel:WORD_1
	v_cvt_f32_i32_sdwa v17, sext(v17) dst_sel:DWORD dst_unused:UNUSED_PAD src0_sel:WORD_1
	v_xor_b32_sdwa v25, sext(v14), sext(v16) dst_sel:DWORD dst_unused:UNUSED_PAD src0_sel:WORD_1 src1_sel:WORD_1
	v_cvt_f32_i32_sdwa v16, sext(v16) dst_sel:DWORD dst_unused:UNUSED_PAD src0_sel:WORD_1
	v_rcp_iflag_f32_e32 v26, v12
	v_rcp_iflag_f32_e32 v27, v23
	v_cvt_f32_i32_sdwa v15, sext(v15) dst_sel:DWORD dst_unused:UNUSED_PAD src0_sel:WORD_1
	v_rcp_iflag_f32_e32 v28, v17
	v_cvt_f32_i32_sdwa v14, sext(v14) dst_sel:DWORD dst_unused:UNUSED_PAD src0_sel:WORD_1
	v_rcp_iflag_f32_e32 v29, v16
	v_mul_f32_e32 v26, v11, v26
	v_mul_f32_e32 v27, v22, v27
	;; [unrolled: 1-line block ×3, first 2 shown]
	v_trunc_f32_e32 v26, v26
	v_trunc_f32_e32 v27, v27
	v_ashrrev_i32_e32 v10, 30, v10
	v_mul_f32_e32 v29, v14, v29
	v_trunc_f32_e32 v28, v28
	v_mad_f32 v11, -v26, v12, v11
	v_cvt_i32_f32_e32 v26, v26
	v_mad_f32 v22, -v27, v23, v22
	v_cvt_i32_f32_e32 v27, v27
	v_ashrrev_i32_e32 v21, 30, v21
	v_or_b32_e32 v10, 1, v10
	v_trunc_f32_e32 v29, v29
	v_mad_f32 v15, -v28, v17, v15
	v_cvt_i32_f32_e32 v28, v28
	v_cmp_ge_f32_e64 vcc, |v11|, |v12|
	v_ashrrev_i32_e32 v24, 30, v24
	v_or_b32_e32 v21, 1, v21
	v_cndmask_b32_e32 v10, 0, v10, vcc
	v_cmp_ge_f32_e64 vcc, |v22|, |v23|
	v_mad_f32 v12, -v29, v16, v14
	v_cvt_i32_f32_e32 v14, v29
	v_ashrrev_i32_e32 v25, 30, v25
	v_or_b32_e32 v24, 1, v24
	v_cndmask_b32_e32 v11, 0, v21, vcc
	v_cmp_ge_f32_e64 vcc, |v15|, |v17|
	s_waitcnt vmcnt(0)
	v_lshrrev_b32_e32 v13, 16, v18
	v_or_b32_e32 v25, 1, v25
	v_cndmask_b32_e32 v15, 0, v24, vcc
	v_cmp_ge_f32_e64 vcc, |v12|, |v16|
	v_add_u32_e32 v10, v26, v10
	v_add_u32_e32 v11, v27, v11
	v_lshrrev_b32_e32 v20, 16, v19
	v_cndmask_b32_e32 v12, 0, v25, vcc
	v_add_u32_e32 v15, v28, v15
	v_mul_lo_u16_e32 v10, v3, v10
	v_mad_legacy_u16 v11, v3, v11, v13
	v_add_u32_e32 v12, v14, v12
	v_mad_legacy_u16 v13, v3, v15, v20
	v_add_u16_e32 v10, v10, v18
	v_lshlrev_b32_e32 v11, 16, v11
	v_mad_legacy_u16 v12, v3, v12, v19
	v_lshlrev_b32_e32 v13, 16, v13
	v_or_b32_e32 v10, v11, v10
	v_or3_b32 v11, v12, 0, v13
	v_or3_b32 v10, 0, v10, 0
	global_store_dwordx2 v[8:9], v[10:11], off
	s_andn2_b64 exec, exec, s[2:3]
	s_cbranch_execnz .LBB125_48
.LBB125_49:
	s_endpgm
	.section	.rodata,"a",@progbits
	.p2align	6, 0x0
	.amdhsa_kernel _ZN2at6native12_GLOBAL__N_125multi_tensor_apply_kernelINS1_28TensorListScalarListMetadataIsLi3EEENS1_28PointwiseOpScalarListFunctorIsLi3ELi3ELi0EEEJSt7dividesIsEEEEvT_T0_DpT1_
		.amdhsa_group_segment_fixed_size 0
		.amdhsa_private_segment_fixed_size 0
		.amdhsa_kernarg_size 3496
		.amdhsa_user_sgpr_count 6
		.amdhsa_user_sgpr_private_segment_buffer 1
		.amdhsa_user_sgpr_dispatch_ptr 0
		.amdhsa_user_sgpr_queue_ptr 0
		.amdhsa_user_sgpr_kernarg_segment_ptr 1
		.amdhsa_user_sgpr_dispatch_id 0
		.amdhsa_user_sgpr_flat_scratch_init 0
		.amdhsa_user_sgpr_private_segment_size 0
		.amdhsa_uses_dynamic_stack 0
		.amdhsa_system_sgpr_private_segment_wavefront_offset 0
		.amdhsa_system_sgpr_workgroup_id_x 1
		.amdhsa_system_sgpr_workgroup_id_y 0
		.amdhsa_system_sgpr_workgroup_id_z 0
		.amdhsa_system_sgpr_workgroup_info 0
		.amdhsa_system_vgpr_workitem_id 0
		.amdhsa_next_free_vgpr 48
		.amdhsa_next_free_sgpr 35
		.amdhsa_reserve_vcc 1
		.amdhsa_reserve_flat_scratch 0
		.amdhsa_float_round_mode_32 0
		.amdhsa_float_round_mode_16_64 0
		.amdhsa_float_denorm_mode_32 3
		.amdhsa_float_denorm_mode_16_64 3
		.amdhsa_dx10_clamp 1
		.amdhsa_ieee_mode 1
		.amdhsa_fp16_overflow 0
		.amdhsa_exception_fp_ieee_invalid_op 0
		.amdhsa_exception_fp_denorm_src 0
		.amdhsa_exception_fp_ieee_div_zero 0
		.amdhsa_exception_fp_ieee_overflow 0
		.amdhsa_exception_fp_ieee_underflow 0
		.amdhsa_exception_fp_ieee_inexact 0
		.amdhsa_exception_int_div_zero 0
	.end_amdhsa_kernel
	.section	.text._ZN2at6native12_GLOBAL__N_125multi_tensor_apply_kernelINS1_28TensorListScalarListMetadataIsLi3EEENS1_28PointwiseOpScalarListFunctorIsLi3ELi3ELi0EEEJSt7dividesIsEEEEvT_T0_DpT1_,"axG",@progbits,_ZN2at6native12_GLOBAL__N_125multi_tensor_apply_kernelINS1_28TensorListScalarListMetadataIsLi3EEENS1_28PointwiseOpScalarListFunctorIsLi3ELi3ELi0EEEJSt7dividesIsEEEEvT_T0_DpT1_,comdat
.Lfunc_end125:
	.size	_ZN2at6native12_GLOBAL__N_125multi_tensor_apply_kernelINS1_28TensorListScalarListMetadataIsLi3EEENS1_28PointwiseOpScalarListFunctorIsLi3ELi3ELi0EEEJSt7dividesIsEEEEvT_T0_DpT1_, .Lfunc_end125-_ZN2at6native12_GLOBAL__N_125multi_tensor_apply_kernelINS1_28TensorListScalarListMetadataIsLi3EEENS1_28PointwiseOpScalarListFunctorIsLi3ELi3ELi0EEEJSt7dividesIsEEEEvT_T0_DpT1_
                                        ; -- End function
	.set _ZN2at6native12_GLOBAL__N_125multi_tensor_apply_kernelINS1_28TensorListScalarListMetadataIsLi3EEENS1_28PointwiseOpScalarListFunctorIsLi3ELi3ELi0EEEJSt7dividesIsEEEEvT_T0_DpT1_.num_vgpr, 48
	.set _ZN2at6native12_GLOBAL__N_125multi_tensor_apply_kernelINS1_28TensorListScalarListMetadataIsLi3EEENS1_28PointwiseOpScalarListFunctorIsLi3ELi3ELi0EEEJSt7dividesIsEEEEvT_T0_DpT1_.num_agpr, 0
	.set _ZN2at6native12_GLOBAL__N_125multi_tensor_apply_kernelINS1_28TensorListScalarListMetadataIsLi3EEENS1_28PointwiseOpScalarListFunctorIsLi3ELi3ELi0EEEJSt7dividesIsEEEEvT_T0_DpT1_.numbered_sgpr, 35
	.set _ZN2at6native12_GLOBAL__N_125multi_tensor_apply_kernelINS1_28TensorListScalarListMetadataIsLi3EEENS1_28PointwiseOpScalarListFunctorIsLi3ELi3ELi0EEEJSt7dividesIsEEEEvT_T0_DpT1_.num_named_barrier, 0
	.set _ZN2at6native12_GLOBAL__N_125multi_tensor_apply_kernelINS1_28TensorListScalarListMetadataIsLi3EEENS1_28PointwiseOpScalarListFunctorIsLi3ELi3ELi0EEEJSt7dividesIsEEEEvT_T0_DpT1_.private_seg_size, 0
	.set _ZN2at6native12_GLOBAL__N_125multi_tensor_apply_kernelINS1_28TensorListScalarListMetadataIsLi3EEENS1_28PointwiseOpScalarListFunctorIsLi3ELi3ELi0EEEJSt7dividesIsEEEEvT_T0_DpT1_.uses_vcc, 1
	.set _ZN2at6native12_GLOBAL__N_125multi_tensor_apply_kernelINS1_28TensorListScalarListMetadataIsLi3EEENS1_28PointwiseOpScalarListFunctorIsLi3ELi3ELi0EEEJSt7dividesIsEEEEvT_T0_DpT1_.uses_flat_scratch, 0
	.set _ZN2at6native12_GLOBAL__N_125multi_tensor_apply_kernelINS1_28TensorListScalarListMetadataIsLi3EEENS1_28PointwiseOpScalarListFunctorIsLi3ELi3ELi0EEEJSt7dividesIsEEEEvT_T0_DpT1_.has_dyn_sized_stack, 0
	.set _ZN2at6native12_GLOBAL__N_125multi_tensor_apply_kernelINS1_28TensorListScalarListMetadataIsLi3EEENS1_28PointwiseOpScalarListFunctorIsLi3ELi3ELi0EEEJSt7dividesIsEEEEvT_T0_DpT1_.has_recursion, 0
	.set _ZN2at6native12_GLOBAL__N_125multi_tensor_apply_kernelINS1_28TensorListScalarListMetadataIsLi3EEENS1_28PointwiseOpScalarListFunctorIsLi3ELi3ELi0EEEJSt7dividesIsEEEEvT_T0_DpT1_.has_indirect_call, 0
	.section	.AMDGPU.csdata,"",@progbits
; Kernel info:
; codeLenInByte = 2348
; TotalNumSgprs: 39
; NumVgprs: 48
; ScratchSize: 0
; MemoryBound: 0
; FloatMode: 240
; IeeeMode: 1
; LDSByteSize: 0 bytes/workgroup (compile time only)
; SGPRBlocks: 4
; VGPRBlocks: 11
; NumSGPRsForWavesPerEU: 39
; NumVGPRsForWavesPerEU: 48
; Occupancy: 5
; WaveLimiterHint : 0
; COMPUTE_PGM_RSRC2:SCRATCH_EN: 0
; COMPUTE_PGM_RSRC2:USER_SGPR: 6
; COMPUTE_PGM_RSRC2:TRAP_HANDLER: 0
; COMPUTE_PGM_RSRC2:TGID_X_EN: 1
; COMPUTE_PGM_RSRC2:TGID_Y_EN: 0
; COMPUTE_PGM_RSRC2:TGID_Z_EN: 0
; COMPUTE_PGM_RSRC2:TIDIG_COMP_CNT: 0
	.section	.text._ZN2at6native12_GLOBAL__N_125multi_tensor_apply_kernelINS1_28TensorListScalarListMetadataIdLi3EEENS1_28PointwiseOpScalarListFunctorIdLi3ELi3ELi0EEEJSt7dividesIdEEEEvT_T0_DpT1_,"axG",@progbits,_ZN2at6native12_GLOBAL__N_125multi_tensor_apply_kernelINS1_28TensorListScalarListMetadataIdLi3EEENS1_28PointwiseOpScalarListFunctorIdLi3ELi3ELi0EEEJSt7dividesIdEEEEvT_T0_DpT1_,comdat
	.globl	_ZN2at6native12_GLOBAL__N_125multi_tensor_apply_kernelINS1_28TensorListScalarListMetadataIdLi3EEENS1_28PointwiseOpScalarListFunctorIdLi3ELi3ELi0EEEJSt7dividesIdEEEEvT_T0_DpT1_ ; -- Begin function _ZN2at6native12_GLOBAL__N_125multi_tensor_apply_kernelINS1_28TensorListScalarListMetadataIdLi3EEENS1_28PointwiseOpScalarListFunctorIdLi3ELi3ELi0EEEJSt7dividesIdEEEEvT_T0_DpT1_
	.p2align	8
	.type	_ZN2at6native12_GLOBAL__N_125multi_tensor_apply_kernelINS1_28TensorListScalarListMetadataIdLi3EEENS1_28PointwiseOpScalarListFunctorIdLi3ELi3ELi0EEEJSt7dividesIdEEEEvT_T0_DpT1_,@function
_ZN2at6native12_GLOBAL__N_125multi_tensor_apply_kernelINS1_28TensorListScalarListMetadataIdLi3EEENS1_28PointwiseOpScalarListFunctorIdLi3ELi3ELi0EEEJSt7dividesIdEEEEvT_T0_DpT1_: ; @_ZN2at6native12_GLOBAL__N_125multi_tensor_apply_kernelINS1_28TensorListScalarListMetadataIdLi3EEENS1_28PointwiseOpScalarListFunctorIdLi3ELi3ELi0EEEJSt7dividesIdEEEEvT_T0_DpT1_
; %bb.0:
	v_mov_b32_e32 v1, s6
	global_load_ubyte v1, v1, s[4:5] offset:1920
	s_add_u32 s0, s4, s6
	s_mul_hi_u32 s3, s6, 3
	s_mul_i32 s6, s6, 3
	s_addc_u32 s7, s5, 0
	s_add_u32 s2, s0, s6
	s_addc_u32 s3, s7, s3
	s_load_dword s10, s[2:3], 0x8c0
	s_mov_b32 s1, 0
	s_mov_b32 s19, s1
	s_waitcnt lgkmcnt(0)
	s_ashr_i32 s11, s10, 31
	s_lshl_b64 s[16:17], s[10:11], 19
	s_waitcnt vmcnt(0)
	v_readfirstlane_b32 s0, v1
	s_lshl_b32 s0, s0, 3
	s_load_dwordx2 s[12:13], s[4:5], s0 offset:0x600
	s_load_dwordx2 s[8:9], s[4:5], s0 offset:0x0
	;; [unrolled: 1-line block ×5, first 2 shown]
	s_waitcnt lgkmcnt(0)
	s_add_u32 s26, s8, s16
	s_addc_u32 s27, s9, s17
	s_and_b32 s0, s26, 31
	s_add_u32 s28, s6, s16
	s_addc_u32 s29, s7, s17
	s_add_u32 s30, s2, s16
	s_addc_u32 s31, s3, s17
	s_or_b32 s14, s30, s28
	s_and_b32 s14, s14, 31
	s_cmp_eq_u32 s14, 0
	s_cselect_b64 s[22:23], -1, 0
	s_lshl_b64 s[10:11], s[10:11], 16
	s_sub_u32 s14, s20, s10
	s_subb_u32 s15, s21, s11
	s_and_b32 s18, s20, 3
	s_or_b64 s[0:1], s[0:1], s[18:19]
	s_cmp_eq_u64 s[0:1], 0
	s_cselect_b64 s[0:1], -1, 0
	s_and_b64 s[10:11], s[22:23], s[0:1]
	s_mov_b64 s[0:1], -1
	s_and_b64 vcc, exec, s[10:11]
	s_cbranch_vccnz .LBB126_29
; %bb.1:
	v_cmp_lt_i64_e64 s[0:1], s[14:15], 1
	s_and_b64 vcc, exec, s[0:1]
	s_cbranch_vccnz .LBB126_28
; %bb.2:
	v_mov_b32_e32 v1, 0x10000
	s_load_dword s10, s[4:5], 0xdd4
	v_mov_b32_e32 v2, 0
	v_cmp_lt_i64_e32 vcc, s[14:15], v[1:2]
	v_mov_b32_e32 v3, 0
	s_and_b64 s[0:1], vcc, exec
	s_cselect_b32 s19, s15, 0
	s_cselect_b32 s18, s14, 0x10000
	v_cmp_lt_u64_e32 vcc, s[14:15], v[1:2]
	s_waitcnt lgkmcnt(0)
	s_and_b32 s10, s10, 0xffff
	v_lshlrev_b32_e32 v2, 3, v0
	v_mad_u64_u32 v[3:4], s[0:1], s10, 24, v[2:3]
	s_and_b64 s[0:1], vcc, exec
	v_mov_b32_e32 v7, s9
	v_add_co_u32_e32 v25, vcc, s8, v3
	v_addc_co_u32_e32 v26, vcc, v7, v4, vcc
	v_mov_b32_e32 v7, s7
	v_add_co_u32_e32 v27, vcc, s6, v3
	v_addc_co_u32_e32 v28, vcc, v7, v4, vcc
	v_mov_b32_e32 v7, s3
	v_add_co_u32_e32 v29, vcc, s2, v3
	s_cselect_b32 s21, s15, 0
	s_cselect_b32 s20, s14, 0x10000
	v_addc_co_u32_e32 v30, vcc, v7, v4, vcc
	s_lshl_b32 s0, s10, 4
	v_add_co_u32_e32 v3, vcc, s0, v2
	v_addc_co_u32_e64 v4, s[0:1], 0, 0, vcc
	v_mov_b32_e32 v7, s9
	v_add_co_u32_e32 v31, vcc, s8, v3
	v_addc_co_u32_e32 v32, vcc, v7, v4, vcc
	v_mov_b32_e32 v7, s7
	v_add_co_u32_e32 v33, vcc, s6, v3
	v_addc_co_u32_e32 v34, vcc, v7, v4, vcc
	;; [unrolled: 3-line block ×6, first 2 shown]
	v_add_co_u32_e32 v43, vcc, s10, v0
	v_lshlrev_b32_e32 v1, 3, v43
	s_lshl_b32 s24, s10, 1
	s_mul_i32 s25, s10, 3
	s_lshl_b32 s33, s10, 2
	s_lshl_b32 s34, s10, 5
	v_addc_co_u32_e64 v44, s[10:11], 0, 0, vcc
	v_mov_b32_e32 v2, s9
	v_add_co_u32_e32 v45, vcc, s8, v1
	v_cmp_eq_f64_e64 s[0:1], s[12:13], 1.0
	v_addc_co_u32_e32 v46, vcc, 0, v2, vcc
	v_mov_b32_e32 v2, s7
	v_add_co_u32_e32 v47, vcc, s6, v1
	v_addc_co_u32_e32 v48, vcc, 0, v2, vcc
	v_mov_b32_e32 v2, s3
	v_add_co_u32_e32 v49, vcc, s2, v1
	v_addc_co_u32_e32 v50, vcc, 0, v2, vcc
	v_add_co_u32_e32 v51, vcc, s25, v0
	v_addc_co_u32_e64 v52, s[2:3], 0, 0, vcc
	v_add_co_u32_e32 v53, vcc, s24, v0
	s_mov_b64 s[22:23], 0
	v_addc_co_u32_e64 v54, s[2:3], 0, 0, vcc
	s_branch .LBB126_4
.LBB126_3:                              ;   in Loop: Header=BB126_4 Depth=1
	s_or_b64 exec, exec, s[2:3]
	v_add_co_u32_e32 v37, vcc, s34, v37
	v_addc_co_u32_e32 v38, vcc, 0, v38, vcc
	v_add_co_u32_e32 v39, vcc, s34, v39
	v_addc_co_u32_e32 v40, vcc, 0, v40, vcc
	;; [unrolled: 2-line block ×10, first 2 shown]
	s_add_u32 s22, s22, s33
	v_add_co_u32_e32 v47, vcc, s34, v47
	s_waitcnt vmcnt(0)
	v_mov_b32_e32 v1, s18
	s_addc_u32 s23, s23, 0
	v_addc_co_u32_e32 v48, vcc, 0, v48, vcc
	v_mov_b32_e32 v2, s19
	v_cmp_lt_i64_e32 vcc, s[22:23], v[1:2]
	v_add_co_u32_e64 v49, s[2:3], s34, v49
	v_addc_co_u32_e64 v50, s[2:3], 0, v50, s[2:3]
	s_cbranch_vccz .LBB126_28
.LBB126_4:                              ; =>This Inner Loop Header: Depth=1
	v_mov_b32_e32 v2, s23
	v_add_co_u32_e32 v1, vcc, s22, v0
	v_addc_co_u32_e32 v2, vcc, 0, v2, vcc
	v_cmp_gt_u64_e32 vcc, s[20:21], v[1:2]
	v_mov_b32_e32 v1, 0
	v_mov_b32_e32 v5, 0
	;; [unrolled: 1-line block ×6, first 2 shown]
	s_and_saveexec_b64 s[6:7], vcc
	s_cbranch_execz .LBB126_6
; %bb.5:                                ;   in Loop: Header=BB126_4 Depth=1
	v_mov_b32_e32 v3, s17
	v_add_co_u32_e64 v7, s[2:3], s16, v37
	v_addc_co_u32_e64 v8, s[2:3], v38, v3, s[2:3]
	v_add_co_u32_e64 v9, s[2:3], s16, v39
	v_addc_co_u32_e64 v10, s[2:3], v40, v3, s[2:3]
	global_load_dwordx2 v[3:4], v[7:8], off
	global_load_dwordx2 v[5:6], v[9:10], off
.LBB126_6:                              ;   in Loop: Header=BB126_4 Depth=1
	s_or_b64 exec, exec, s[6:7]
	s_and_saveexec_b64 s[6:7], vcc
	s_cbranch_execz .LBB126_8
; %bb.7:                                ;   in Loop: Header=BB126_4 Depth=1
	v_mov_b32_e32 v2, s17
	v_add_co_u32_e64 v1, s[2:3], s16, v41
	v_addc_co_u32_e64 v2, s[2:3], v42, v2, s[2:3]
	global_load_dwordx2 v[1:2], v[1:2], off
.LBB126_8:                              ;   in Loop: Header=BB126_4 Depth=1
	s_or_b64 exec, exec, s[6:7]
	v_mov_b32_e32 v8, s23
	v_add_co_u32_e64 v7, s[2:3], s22, v43
	v_addc_co_u32_e64 v8, s[2:3], v44, v8, s[2:3]
	v_cmp_gt_u64_e64 s[2:3], s[20:21], v[7:8]
	v_mov_b32_e32 v7, 0
	v_mov_b32_e32 v11, 0
	;; [unrolled: 1-line block ×6, first 2 shown]
	s_and_saveexec_b64 s[8:9], s[2:3]
	s_cbranch_execz .LBB126_10
; %bb.9:                                ;   in Loop: Header=BB126_4 Depth=1
	v_mov_b32_e32 v9, s17
	v_add_co_u32_e64 v13, s[6:7], s16, v45
	v_addc_co_u32_e64 v14, s[6:7], v46, v9, s[6:7]
	v_add_co_u32_e64 v15, s[6:7], s16, v47
	v_addc_co_u32_e64 v16, s[6:7], v48, v9, s[6:7]
	global_load_dwordx2 v[9:10], v[13:14], off
	global_load_dwordx2 v[11:12], v[15:16], off
.LBB126_10:                             ;   in Loop: Header=BB126_4 Depth=1
	s_or_b64 exec, exec, s[8:9]
	s_and_saveexec_b64 s[8:9], s[2:3]
	s_cbranch_execz .LBB126_12
; %bb.11:                               ;   in Loop: Header=BB126_4 Depth=1
	v_mov_b32_e32 v8, s17
	v_add_co_u32_e64 v7, s[6:7], s16, v49
	v_addc_co_u32_e64 v8, s[6:7], v50, v8, s[6:7]
	global_load_dwordx2 v[7:8], v[7:8], off
.LBB126_12:                             ;   in Loop: Header=BB126_4 Depth=1
	s_or_b64 exec, exec, s[8:9]
	v_mov_b32_e32 v14, s23
	v_add_co_u32_e64 v13, s[6:7], s22, v53
	v_addc_co_u32_e64 v14, s[6:7], v54, v14, s[6:7]
	v_cmp_gt_u64_e64 s[6:7], s[20:21], v[13:14]
	v_mov_b32_e32 v13, 0
	v_mov_b32_e32 v17, 0
	;; [unrolled: 1-line block ×6, first 2 shown]
	s_and_saveexec_b64 s[10:11], s[6:7]
	s_cbranch_execz .LBB126_14
; %bb.13:                               ;   in Loop: Header=BB126_4 Depth=1
	v_mov_b32_e32 v15, s17
	v_add_co_u32_e64 v19, s[8:9], s16, v31
	v_addc_co_u32_e64 v20, s[8:9], v32, v15, s[8:9]
	v_add_co_u32_e64 v21, s[8:9], s16, v33
	v_addc_co_u32_e64 v22, s[8:9], v34, v15, s[8:9]
	global_load_dwordx2 v[15:16], v[19:20], off
	global_load_dwordx2 v[17:18], v[21:22], off
.LBB126_14:                             ;   in Loop: Header=BB126_4 Depth=1
	s_or_b64 exec, exec, s[10:11]
	s_and_saveexec_b64 s[10:11], s[6:7]
	s_cbranch_execz .LBB126_16
; %bb.15:                               ;   in Loop: Header=BB126_4 Depth=1
	v_mov_b32_e32 v14, s17
	v_add_co_u32_e64 v13, s[8:9], s16, v35
	v_addc_co_u32_e64 v14, s[8:9], v36, v14, s[8:9]
	global_load_dwordx2 v[13:14], v[13:14], off
.LBB126_16:                             ;   in Loop: Header=BB126_4 Depth=1
	s_or_b64 exec, exec, s[10:11]
	v_mov_b32_e32 v20, s23
	v_add_co_u32_e64 v19, s[8:9], s22, v51
	v_addc_co_u32_e64 v20, s[8:9], v52, v20, s[8:9]
	v_cmp_gt_u64_e64 s[8:9], s[20:21], v[19:20]
	v_mov_b32_e32 v19, 0
	v_mov_b32_e32 v23, 0
	;; [unrolled: 1-line block ×6, first 2 shown]
	s_and_saveexec_b64 s[24:25], s[8:9]
	s_cbranch_execnz .LBB126_22
; %bb.17:                               ;   in Loop: Header=BB126_4 Depth=1
	s_or_b64 exec, exec, s[24:25]
	s_and_saveexec_b64 s[24:25], s[8:9]
	s_cbranch_execnz .LBB126_23
.LBB126_18:                             ;   in Loop: Header=BB126_4 Depth=1
	s_or_b64 exec, exec, s[24:25]
	s_and_saveexec_b64 s[10:11], vcc
	s_cbranch_execnz .LBB126_24
.LBB126_19:                             ;   in Loop: Header=BB126_4 Depth=1
	s_or_b64 exec, exec, s[10:11]
	s_and_saveexec_b64 s[10:11], s[2:3]
	s_cbranch_execnz .LBB126_25
.LBB126_20:                             ;   in Loop: Header=BB126_4 Depth=1
	s_or_b64 exec, exec, s[10:11]
	s_and_saveexec_b64 s[2:3], s[6:7]
	s_cbranch_execnz .LBB126_26
.LBB126_21:                             ;   in Loop: Header=BB126_4 Depth=1
	s_or_b64 exec, exec, s[2:3]
	s_and_saveexec_b64 s[2:3], s[8:9]
	s_cbranch_execz .LBB126_3
	s_branch .LBB126_27
.LBB126_22:                             ;   in Loop: Header=BB126_4 Depth=1
	v_mov_b32_e32 v21, s17
	v_add_co_u32_e64 v55, s[10:11], s16, v25
	v_addc_co_u32_e64 v56, s[10:11], v26, v21, s[10:11]
	v_add_co_u32_e64 v57, s[10:11], s16, v27
	v_addc_co_u32_e64 v58, s[10:11], v28, v21, s[10:11]
	global_load_dwordx2 v[21:22], v[55:56], off
	global_load_dwordx2 v[23:24], v[57:58], off
	s_or_b64 exec, exec, s[24:25]
	s_and_saveexec_b64 s[24:25], s[8:9]
	s_cbranch_execz .LBB126_18
.LBB126_23:                             ;   in Loop: Header=BB126_4 Depth=1
	v_mov_b32_e32 v20, s17
	v_add_co_u32_e64 v19, s[10:11], s16, v29
	v_addc_co_u32_e64 v20, s[10:11], v30, v20, s[10:11]
	global_load_dwordx2 v[19:20], v[19:20], off
	s_or_b64 exec, exec, s[24:25]
	s_and_saveexec_b64 s[10:11], vcc
	s_cbranch_execz .LBB126_19
.LBB126_24:                             ;   in Loop: Header=BB126_4 Depth=1
	s_waitcnt vmcnt(0)
	v_div_scale_f64 v[55:56], s[24:25], v[1:2], v[1:2], v[5:6]
	v_rcp_f64_e32 v[57:58], v[55:56]
	v_fma_f64 v[59:60], -v[55:56], v[57:58], 1.0
	v_fma_f64 v[57:58], v[57:58], v[59:60], v[57:58]
	v_div_scale_f64 v[59:60], vcc, v[5:6], v[1:2], v[5:6]
	v_fma_f64 v[61:62], -v[55:56], v[57:58], 1.0
	v_fma_f64 v[57:58], v[57:58], v[61:62], v[57:58]
	v_mul_f64 v[61:62], v[59:60], v[57:58]
	v_fma_f64 v[55:56], -v[55:56], v[61:62], v[59:60]
	v_div_fmas_f64 v[55:56], v[55:56], v[57:58], v[61:62]
	v_div_fixup_f64 v[1:2], v[55:56], v[1:2], v[5:6]
	v_add_f64 v[5:6], v[3:4], v[1:2]
	v_fma_f64 v[1:2], s[12:13], v[1:2], v[3:4]
	v_mov_b32_e32 v4, s17
	v_add_co_u32_e32 v3, vcc, s16, v37
	v_addc_co_u32_e32 v4, vcc, v38, v4, vcc
	v_cndmask_b32_e64 v2, v2, v6, s[0:1]
	v_cndmask_b32_e64 v1, v1, v5, s[0:1]
	global_store_dwordx2 v[3:4], v[1:2], off
	s_or_b64 exec, exec, s[10:11]
	s_and_saveexec_b64 s[10:11], s[2:3]
	s_cbranch_execz .LBB126_20
.LBB126_25:                             ;   in Loop: Header=BB126_4 Depth=1
	s_waitcnt vmcnt(0)
	v_div_scale_f64 v[1:2], s[2:3], v[7:8], v[7:8], v[11:12]
	v_rcp_f64_e32 v[3:4], v[1:2]
	v_fma_f64 v[5:6], -v[1:2], v[3:4], 1.0
	v_fma_f64 v[3:4], v[3:4], v[5:6], v[3:4]
	v_div_scale_f64 v[5:6], vcc, v[11:12], v[7:8], v[11:12]
	v_fma_f64 v[55:56], -v[1:2], v[3:4], 1.0
	v_fma_f64 v[3:4], v[3:4], v[55:56], v[3:4]
	v_mul_f64 v[55:56], v[5:6], v[3:4]
	v_fma_f64 v[1:2], -v[1:2], v[55:56], v[5:6]
	v_mov_b32_e32 v5, s17
	v_div_fmas_f64 v[1:2], v[1:2], v[3:4], v[55:56]
	v_div_fixup_f64 v[1:2], v[1:2], v[7:8], v[11:12]
	v_add_f64 v[3:4], v[9:10], v[1:2]
	v_fma_f64 v[1:2], s[12:13], v[1:2], v[9:10]
	v_cndmask_b32_e64 v1, v1, v3, s[0:1]
	v_add_co_u32_e32 v3, vcc, s16, v45
	v_cndmask_b32_e64 v2, v2, v4, s[0:1]
	v_addc_co_u32_e32 v4, vcc, v46, v5, vcc
	global_store_dwordx2 v[3:4], v[1:2], off
	s_or_b64 exec, exec, s[10:11]
	s_and_saveexec_b64 s[2:3], s[6:7]
	s_cbranch_execz .LBB126_21
.LBB126_26:                             ;   in Loop: Header=BB126_4 Depth=1
	s_waitcnt vmcnt(0)
	v_div_scale_f64 v[1:2], s[6:7], v[13:14], v[13:14], v[17:18]
	v_rcp_f64_e32 v[3:4], v[1:2]
	v_fma_f64 v[5:6], -v[1:2], v[3:4], 1.0
	v_fma_f64 v[3:4], v[3:4], v[5:6], v[3:4]
	v_div_scale_f64 v[5:6], vcc, v[17:18], v[13:14], v[17:18]
	v_fma_f64 v[7:8], -v[1:2], v[3:4], 1.0
	v_fma_f64 v[3:4], v[3:4], v[7:8], v[3:4]
	v_mul_f64 v[7:8], v[5:6], v[3:4]
	v_fma_f64 v[1:2], -v[1:2], v[7:8], v[5:6]
	v_mov_b32_e32 v5, s17
	v_div_fmas_f64 v[1:2], v[1:2], v[3:4], v[7:8]
	v_div_fixup_f64 v[1:2], v[1:2], v[13:14], v[17:18]
	v_add_f64 v[3:4], v[15:16], v[1:2]
	v_fma_f64 v[1:2], s[12:13], v[1:2], v[15:16]
	v_cndmask_b32_e64 v1, v1, v3, s[0:1]
	v_add_co_u32_e32 v3, vcc, s16, v31
	v_cndmask_b32_e64 v2, v2, v4, s[0:1]
	v_addc_co_u32_e32 v4, vcc, v32, v5, vcc
	global_store_dwordx2 v[3:4], v[1:2], off
	s_or_b64 exec, exec, s[2:3]
	s_and_saveexec_b64 s[2:3], s[8:9]
	s_cbranch_execz .LBB126_3
.LBB126_27:                             ;   in Loop: Header=BB126_4 Depth=1
	s_waitcnt vmcnt(0)
	v_div_scale_f64 v[1:2], s[6:7], v[19:20], v[19:20], v[23:24]
	v_rcp_f64_e32 v[3:4], v[1:2]
	v_fma_f64 v[5:6], -v[1:2], v[3:4], 1.0
	v_fma_f64 v[3:4], v[3:4], v[5:6], v[3:4]
	v_div_scale_f64 v[5:6], vcc, v[23:24], v[19:20], v[23:24]
	v_fma_f64 v[7:8], -v[1:2], v[3:4], 1.0
	v_fma_f64 v[3:4], v[3:4], v[7:8], v[3:4]
	v_mul_f64 v[7:8], v[5:6], v[3:4]
	v_fma_f64 v[1:2], -v[1:2], v[7:8], v[5:6]
	v_mov_b32_e32 v5, s17
	v_div_fmas_f64 v[1:2], v[1:2], v[3:4], v[7:8]
	v_div_fixup_f64 v[1:2], v[1:2], v[19:20], v[23:24]
	v_add_f64 v[3:4], v[21:22], v[1:2]
	v_fma_f64 v[1:2], s[12:13], v[1:2], v[21:22]
	v_cndmask_b32_e64 v1, v1, v3, s[0:1]
	v_add_co_u32_e32 v3, vcc, s16, v25
	v_cndmask_b32_e64 v2, v2, v4, s[0:1]
	v_addc_co_u32_e32 v4, vcc, v26, v5, vcc
	global_store_dwordx2 v[3:4], v[1:2], off
	s_branch .LBB126_3
.LBB126_28:
	s_mov_b64 s[0:1], 0
.LBB126_29:
	s_andn2_b64 vcc, exec, s[0:1]
	s_cbranch_vccnz .LBB126_33
; %bb.30:
	v_mov_b32_e32 v1, 0x10000
	v_mov_b32_e32 v2, 0
	v_cmp_lt_i64_e32 vcc, s[14:15], v[1:2]
	v_mov_b32_e32 v2, 0
	s_and_b64 s[0:1], vcc, exec
	s_cselect_b32 s9, s15, 0
	s_cselect_b32 s8, s14, 0x10000
	v_lshlrev_b32_e32 v1, 2, v0
	v_cmp_gt_i64_e32 vcc, s[8:9], v[1:2]
	s_and_saveexec_b64 s[0:1], vcc
	s_cbranch_execz .LBB126_33
; %bb.31:
	v_cmp_eq_f64_e64 s[0:1], s[12:13], 1.0
	s_load_dword s2, s[4:5], 0xdd4
	v_mov_b32_e32 v1, v2
	v_lshlrev_b32_e32 v2, 5, v0
	s_mov_b64 s[10:11], 0
	s_waitcnt lgkmcnt(0)
	s_and_b32 s14, s2, 0xffff
	s_lshl_b32 s15, s14, 5
.LBB126_32:                             ; =>This Inner Loop Header: Depth=1
	v_mov_b32_e32 v4, s31
	v_add_co_u32_e32 v19, vcc, s30, v2
	v_mov_b32_e32 v3, s29
	v_add_co_u32_e64 v21, s[2:3], s28, v2
	v_addc_co_u32_e32 v20, vcc, 0, v4, vcc
	v_addc_co_u32_e64 v22, s[2:3], 0, v3, s[2:3]
	global_load_dwordx4 v[3:6], v[19:20], off
	global_load_dwordx4 v[7:10], v[21:22], off
	global_load_dwordx4 v[11:14], v[21:22], off offset:16
	global_load_dwordx4 v[15:18], v[19:20], off offset:16
	v_add_co_u32_e32 v0, vcc, s14, v0
	v_addc_co_u32_e32 v1, vcc, 0, v1, vcc
	v_mov_b32_e32 v19, s27
	v_add_co_u32_e32 v27, vcc, s26, v2
	v_addc_co_u32_e32 v28, vcc, 0, v19, vcc
	global_load_dwordx4 v[19:22], v[27:28], off
	global_load_dwordx4 v[23:26], v[27:28], off offset:16
	s_add_u32 s30, s30, s15
	s_addc_u32 s31, s31, 0
	v_lshlrev_b64 v[37:38], 2, v[0:1]
	s_add_u32 s26, s26, s15
	s_addc_u32 s27, s27, 0
	s_add_u32 s28, s28, s15
	s_addc_u32 s29, s29, 0
	s_waitcnt vmcnt(4)
	v_div_scale_f64 v[29:30], s[2:3], v[3:4], v[3:4], v[7:8]
	v_div_scale_f64 v[31:32], s[2:3], v[5:6], v[5:6], v[9:10]
	s_waitcnt vmcnt(2)
	v_div_scale_f64 v[33:34], s[2:3], v[15:16], v[15:16], v[11:12]
	v_div_scale_f64 v[35:36], s[2:3], v[17:18], v[17:18], v[13:14]
	v_div_scale_f64 v[39:40], vcc, v[7:8], v[3:4], v[7:8]
	v_div_scale_f64 v[49:50], s[2:3], v[9:10], v[5:6], v[9:10]
	v_div_scale_f64 v[51:52], s[4:5], v[11:12], v[15:16], v[11:12]
	;; [unrolled: 1-line block ×3, first 2 shown]
	v_rcp_f64_e32 v[41:42], v[29:30]
	v_rcp_f64_e32 v[43:44], v[31:32]
	;; [unrolled: 1-line block ×4, first 2 shown]
	v_fma_f64 v[55:56], -v[29:30], v[41:42], 1.0
	v_fma_f64 v[57:58], -v[31:32], v[43:44], 1.0
	;; [unrolled: 1-line block ×4, first 2 shown]
	v_fma_f64 v[41:42], v[41:42], v[55:56], v[41:42]
	v_fma_f64 v[43:44], v[43:44], v[57:58], v[43:44]
	;; [unrolled: 1-line block ×4, first 2 shown]
	v_fma_f64 v[55:56], -v[29:30], v[41:42], 1.0
	v_fma_f64 v[57:58], -v[31:32], v[43:44], 1.0
	;; [unrolled: 1-line block ×4, first 2 shown]
	v_fma_f64 v[41:42], v[41:42], v[55:56], v[41:42]
	v_fma_f64 v[43:44], v[43:44], v[57:58], v[43:44]
	;; [unrolled: 1-line block ×4, first 2 shown]
	v_mul_f64 v[55:56], v[39:40], v[41:42]
	v_mul_f64 v[57:58], v[49:50], v[43:44]
	;; [unrolled: 1-line block ×4, first 2 shown]
	v_fma_f64 v[29:30], -v[29:30], v[55:56], v[39:40]
	v_fma_f64 v[31:32], -v[31:32], v[57:58], v[49:50]
	;; [unrolled: 1-line block ×4, first 2 shown]
	v_div_fmas_f64 v[29:30], v[29:30], v[41:42], v[55:56]
	s_mov_b64 vcc, s[2:3]
	v_div_fmas_f64 v[31:32], v[31:32], v[43:44], v[57:58]
	s_mov_b64 vcc, s[4:5]
	;; [unrolled: 2-line block ×3, first 2 shown]
	v_div_fmas_f64 v[35:36], v[35:36], v[47:48], v[61:62]
	v_cmp_le_i64_e32 vcc, s[8:9], v[37:38]
	s_or_b64 s[10:11], vcc, s[10:11]
	v_div_fixup_f64 v[3:4], v[29:30], v[3:4], v[7:8]
	v_div_fixup_f64 v[5:6], v[31:32], v[5:6], v[9:10]
	;; [unrolled: 1-line block ×4, first 2 shown]
	s_waitcnt vmcnt(1)
	v_add_f64 v[11:12], v[19:20], v[3:4]
	v_fma_f64 v[3:4], s[12:13], v[3:4], v[19:20]
	v_add_f64 v[13:14], v[21:22], v[5:6]
	v_fma_f64 v[5:6], s[12:13], v[5:6], v[21:22]
	s_waitcnt vmcnt(0)
	v_add_f64 v[15:16], v[23:24], v[7:8]
	v_fma_f64 v[7:8], s[12:13], v[7:8], v[23:24]
	v_add_f64 v[17:18], v[25:26], v[9:10]
	v_fma_f64 v[9:10], s[12:13], v[9:10], v[25:26]
	v_cndmask_b32_e64 v4, v4, v12, s[0:1]
	v_cndmask_b32_e64 v3, v3, v11, s[0:1]
	;; [unrolled: 1-line block ×8, first 2 shown]
	global_store_dwordx4 v[27:28], v[3:6], off
	global_store_dwordx4 v[27:28], v[7:10], off offset:16
	s_andn2_b64 exec, exec, s[10:11]
	s_cbranch_execnz .LBB126_32
.LBB126_33:
	s_endpgm
	.section	.rodata,"a",@progbits
	.p2align	6, 0x0
	.amdhsa_kernel _ZN2at6native12_GLOBAL__N_125multi_tensor_apply_kernelINS1_28TensorListScalarListMetadataIdLi3EEENS1_28PointwiseOpScalarListFunctorIdLi3ELi3ELi0EEEJSt7dividesIdEEEEvT_T0_DpT1_
		.amdhsa_group_segment_fixed_size 0
		.amdhsa_private_segment_fixed_size 0
		.amdhsa_kernarg_size 3784
		.amdhsa_user_sgpr_count 6
		.amdhsa_user_sgpr_private_segment_buffer 1
		.amdhsa_user_sgpr_dispatch_ptr 0
		.amdhsa_user_sgpr_queue_ptr 0
		.amdhsa_user_sgpr_kernarg_segment_ptr 1
		.amdhsa_user_sgpr_dispatch_id 0
		.amdhsa_user_sgpr_flat_scratch_init 0
		.amdhsa_user_sgpr_private_segment_size 0
		.amdhsa_uses_dynamic_stack 0
		.amdhsa_system_sgpr_private_segment_wavefront_offset 0
		.amdhsa_system_sgpr_workgroup_id_x 1
		.amdhsa_system_sgpr_workgroup_id_y 0
		.amdhsa_system_sgpr_workgroup_id_z 0
		.amdhsa_system_sgpr_workgroup_info 0
		.amdhsa_system_vgpr_workitem_id 0
		.amdhsa_next_free_vgpr 63
		.amdhsa_next_free_sgpr 35
		.amdhsa_reserve_vcc 1
		.amdhsa_reserve_flat_scratch 0
		.amdhsa_float_round_mode_32 0
		.amdhsa_float_round_mode_16_64 0
		.amdhsa_float_denorm_mode_32 3
		.amdhsa_float_denorm_mode_16_64 3
		.amdhsa_dx10_clamp 1
		.amdhsa_ieee_mode 1
		.amdhsa_fp16_overflow 0
		.amdhsa_exception_fp_ieee_invalid_op 0
		.amdhsa_exception_fp_denorm_src 0
		.amdhsa_exception_fp_ieee_div_zero 0
		.amdhsa_exception_fp_ieee_overflow 0
		.amdhsa_exception_fp_ieee_underflow 0
		.amdhsa_exception_fp_ieee_inexact 0
		.amdhsa_exception_int_div_zero 0
	.end_amdhsa_kernel
	.section	.text._ZN2at6native12_GLOBAL__N_125multi_tensor_apply_kernelINS1_28TensorListScalarListMetadataIdLi3EEENS1_28PointwiseOpScalarListFunctorIdLi3ELi3ELi0EEEJSt7dividesIdEEEEvT_T0_DpT1_,"axG",@progbits,_ZN2at6native12_GLOBAL__N_125multi_tensor_apply_kernelINS1_28TensorListScalarListMetadataIdLi3EEENS1_28PointwiseOpScalarListFunctorIdLi3ELi3ELi0EEEJSt7dividesIdEEEEvT_T0_DpT1_,comdat
.Lfunc_end126:
	.size	_ZN2at6native12_GLOBAL__N_125multi_tensor_apply_kernelINS1_28TensorListScalarListMetadataIdLi3EEENS1_28PointwiseOpScalarListFunctorIdLi3ELi3ELi0EEEJSt7dividesIdEEEEvT_T0_DpT1_, .Lfunc_end126-_ZN2at6native12_GLOBAL__N_125multi_tensor_apply_kernelINS1_28TensorListScalarListMetadataIdLi3EEENS1_28PointwiseOpScalarListFunctorIdLi3ELi3ELi0EEEJSt7dividesIdEEEEvT_T0_DpT1_
                                        ; -- End function
	.set _ZN2at6native12_GLOBAL__N_125multi_tensor_apply_kernelINS1_28TensorListScalarListMetadataIdLi3EEENS1_28PointwiseOpScalarListFunctorIdLi3ELi3ELi0EEEJSt7dividesIdEEEEvT_T0_DpT1_.num_vgpr, 63
	.set _ZN2at6native12_GLOBAL__N_125multi_tensor_apply_kernelINS1_28TensorListScalarListMetadataIdLi3EEENS1_28PointwiseOpScalarListFunctorIdLi3ELi3ELi0EEEJSt7dividesIdEEEEvT_T0_DpT1_.num_agpr, 0
	.set _ZN2at6native12_GLOBAL__N_125multi_tensor_apply_kernelINS1_28TensorListScalarListMetadataIdLi3EEENS1_28PointwiseOpScalarListFunctorIdLi3ELi3ELi0EEEJSt7dividesIdEEEEvT_T0_DpT1_.numbered_sgpr, 35
	.set _ZN2at6native12_GLOBAL__N_125multi_tensor_apply_kernelINS1_28TensorListScalarListMetadataIdLi3EEENS1_28PointwiseOpScalarListFunctorIdLi3ELi3ELi0EEEJSt7dividesIdEEEEvT_T0_DpT1_.num_named_barrier, 0
	.set _ZN2at6native12_GLOBAL__N_125multi_tensor_apply_kernelINS1_28TensorListScalarListMetadataIdLi3EEENS1_28PointwiseOpScalarListFunctorIdLi3ELi3ELi0EEEJSt7dividesIdEEEEvT_T0_DpT1_.private_seg_size, 0
	.set _ZN2at6native12_GLOBAL__N_125multi_tensor_apply_kernelINS1_28TensorListScalarListMetadataIdLi3EEENS1_28PointwiseOpScalarListFunctorIdLi3ELi3ELi0EEEJSt7dividesIdEEEEvT_T0_DpT1_.uses_vcc, 1
	.set _ZN2at6native12_GLOBAL__N_125multi_tensor_apply_kernelINS1_28TensorListScalarListMetadataIdLi3EEENS1_28PointwiseOpScalarListFunctorIdLi3ELi3ELi0EEEJSt7dividesIdEEEEvT_T0_DpT1_.uses_flat_scratch, 0
	.set _ZN2at6native12_GLOBAL__N_125multi_tensor_apply_kernelINS1_28TensorListScalarListMetadataIdLi3EEENS1_28PointwiseOpScalarListFunctorIdLi3ELi3ELi0EEEJSt7dividesIdEEEEvT_T0_DpT1_.has_dyn_sized_stack, 0
	.set _ZN2at6native12_GLOBAL__N_125multi_tensor_apply_kernelINS1_28TensorListScalarListMetadataIdLi3EEENS1_28PointwiseOpScalarListFunctorIdLi3ELi3ELi0EEEJSt7dividesIdEEEEvT_T0_DpT1_.has_recursion, 0
	.set _ZN2at6native12_GLOBAL__N_125multi_tensor_apply_kernelINS1_28TensorListScalarListMetadataIdLi3EEENS1_28PointwiseOpScalarListFunctorIdLi3ELi3ELi0EEEJSt7dividesIdEEEEvT_T0_DpT1_.has_indirect_call, 0
	.section	.AMDGPU.csdata,"",@progbits
; Kernel info:
; codeLenInByte = 2732
; TotalNumSgprs: 39
; NumVgprs: 63
; ScratchSize: 0
; MemoryBound: 0
; FloatMode: 240
; IeeeMode: 1
; LDSByteSize: 0 bytes/workgroup (compile time only)
; SGPRBlocks: 4
; VGPRBlocks: 15
; NumSGPRsForWavesPerEU: 39
; NumVGPRsForWavesPerEU: 63
; Occupancy: 4
; WaveLimiterHint : 1
; COMPUTE_PGM_RSRC2:SCRATCH_EN: 0
; COMPUTE_PGM_RSRC2:USER_SGPR: 6
; COMPUTE_PGM_RSRC2:TRAP_HANDLER: 0
; COMPUTE_PGM_RSRC2:TGID_X_EN: 1
; COMPUTE_PGM_RSRC2:TGID_Y_EN: 0
; COMPUTE_PGM_RSRC2:TGID_Z_EN: 0
; COMPUTE_PGM_RSRC2:TIDIG_COMP_CNT: 0
	.section	.text._ZN2at6native12_GLOBAL__N_125multi_tensor_apply_kernelINS1_28TensorListScalarListMetadataIfLi3EEENS1_28PointwiseOpScalarListFunctorIfLi3ELi3ELi0EEEJSt7dividesIfEEEEvT_T0_DpT1_,"axG",@progbits,_ZN2at6native12_GLOBAL__N_125multi_tensor_apply_kernelINS1_28TensorListScalarListMetadataIfLi3EEENS1_28PointwiseOpScalarListFunctorIfLi3ELi3ELi0EEEJSt7dividesIfEEEEvT_T0_DpT1_,comdat
	.globl	_ZN2at6native12_GLOBAL__N_125multi_tensor_apply_kernelINS1_28TensorListScalarListMetadataIfLi3EEENS1_28PointwiseOpScalarListFunctorIfLi3ELi3ELi0EEEJSt7dividesIfEEEEvT_T0_DpT1_ ; -- Begin function _ZN2at6native12_GLOBAL__N_125multi_tensor_apply_kernelINS1_28TensorListScalarListMetadataIfLi3EEENS1_28PointwiseOpScalarListFunctorIfLi3ELi3ELi0EEEJSt7dividesIfEEEEvT_T0_DpT1_
	.p2align	8
	.type	_ZN2at6native12_GLOBAL__N_125multi_tensor_apply_kernelINS1_28TensorListScalarListMetadataIfLi3EEENS1_28PointwiseOpScalarListFunctorIfLi3ELi3ELi0EEEJSt7dividesIfEEEEvT_T0_DpT1_,@function
_ZN2at6native12_GLOBAL__N_125multi_tensor_apply_kernelINS1_28TensorListScalarListMetadataIfLi3EEENS1_28PointwiseOpScalarListFunctorIfLi3ELi3ELi0EEEJSt7dividesIfEEEEvT_T0_DpT1_: ; @_ZN2at6native12_GLOBAL__N_125multi_tensor_apply_kernelINS1_28TensorListScalarListMetadataIfLi3EEENS1_28PointwiseOpScalarListFunctorIfLi3ELi3ELi0EEEJSt7dividesIfEEEEvT_T0_DpT1_
; %bb.0:
	v_mov_b32_e32 v1, s6
	global_load_ubyte v1, v1, s[4:5] offset:1728
	s_add_u32 s0, s4, s6
	s_mul_i32 s1, s6, 3
	s_addc_u32 s2, s5, 0
	s_mul_hi_u32 s3, s6, 3
	s_add_u32 s0, s0, s1
	s_addc_u32 s1, s2, s3
	s_load_dword s0, s[0:1], 0x800
	s_mov_b32 s11, 0
	s_mov_b32 s17, s11
	s_waitcnt lgkmcnt(0)
	s_ashr_i32 s1, s0, 31
	s_waitcnt vmcnt(0)
	v_readfirstlane_b32 s2, v1
	v_lshlrev_b32_e32 v1, 2, v1
	v_sub_co_u32_e32 v1, vcc, 0, v1
	s_lshl_b32 s10, s2, 3
	v_subb_co_u32_e64 v2, s[2:3], 0, 0, vcc
	s_load_dwordx2 s[18:19], s[4:5], s10 offset:0x480
	s_load_dwordx2 s[8:9], s[4:5], s10 offset:0x0
	;; [unrolled: 1-line block ×4, first 2 shown]
	s_add_u32 s14, s4, s10
	s_addc_u32 s10, s5, 0
	s_lshl_b64 s[12:13], s[0:1], 18
	s_waitcnt lgkmcnt(0)
	s_add_u32 s24, s8, s12
	v_mov_b32_e32 v3, s10
	s_addc_u32 s26, s9, s13
	s_and_b32 s10, s24, 15
	v_add_co_u32_e32 v1, vcc, s14, v1
	s_add_u32 s27, s6, s12
	v_addc_co_u32_e32 v2, vcc, v3, v2, vcc
	s_addc_u32 s28, s7, s13
	v_readfirstlane_b32 s14, v1
	v_readfirstlane_b32 s15, v2
	s_add_u32 s29, s2, s12
	s_load_dword s25, s[14:15], 0x600
	s_addc_u32 s30, s3, s13
	s_or_b32 s14, s29, s27
	s_and_b32 s14, s14, 15
	s_cmp_eq_u32 s14, 0
	s_cselect_b64 s[20:21], -1, 0
	s_lshl_b64 s[0:1], s[0:1], 16
	s_sub_u32 s14, s18, s0
	s_subb_u32 s15, s19, s1
	s_and_b32 s16, s18, 3
	s_or_b64 s[0:1], s[10:11], s[16:17]
	s_cmp_eq_u64 s[0:1], 0
	s_cselect_b64 s[0:1], -1, 0
	s_and_b64 s[10:11], s[20:21], s[0:1]
	s_mov_b64 s[0:1], -1
	s_and_b64 vcc, exec, s[10:11]
	s_cbranch_vccnz .LBB127_29
; %bb.1:
	v_cmp_lt_i64_e64 s[0:1], s[14:15], 1
	s_and_b64 vcc, exec, s[0:1]
	s_cbranch_vccnz .LBB127_28
; %bb.2:
	v_mov_b32_e32 v1, 0x10000
	s_load_dword s10, s[4:5], 0xd14
	v_mov_b32_e32 v2, 0
	v_cmp_lt_i64_e32 vcc, s[14:15], v[1:2]
	v_mov_b32_e32 v18, 0
	s_and_b64 s[0:1], vcc, exec
	s_cselect_b32 s17, s15, 0
	s_cselect_b32 s16, s14, 0x10000
	s_waitcnt lgkmcnt(0)
	s_and_b32 s10, s10, 0xffff
	v_lshlrev_b32_e32 v17, 2, v0
	v_mad_u64_u32 v[5:6], s[0:1], s10, 12, v[17:18]
	v_cmp_lt_u64_e32 vcc, s[14:15], v[1:2]
	v_mov_b32_e32 v2, s9
	s_and_b64 s[0:1], vcc, exec
	v_add_co_u32_e32 v1, vcc, s8, v5
	v_addc_co_u32_e32 v2, vcc, v2, v6, vcc
	v_mov_b32_e32 v4, s7
	v_add_co_u32_e32 v3, vcc, s6, v5
	v_addc_co_u32_e32 v4, vcc, v4, v6, vcc
	v_mov_b32_e32 v7, s3
	v_add_co_u32_e32 v5, vcc, s2, v5
	s_cselect_b32 s19, s15, 0
	s_cselect_b32 s18, s14, 0x10000
	v_addc_co_u32_e32 v6, vcc, v7, v6, vcc
	s_lshl_b32 s0, s10, 3
	v_add_co_u32_e32 v11, vcc, s0, v17
	v_addc_co_u32_e64 v12, s[0:1], 0, 0, vcc
	v_mov_b32_e32 v8, s9
	v_add_co_u32_e32 v7, vcc, s8, v11
	v_addc_co_u32_e32 v8, vcc, v8, v12, vcc
	v_mov_b32_e32 v10, s7
	v_add_co_u32_e32 v9, vcc, s6, v11
	v_addc_co_u32_e32 v10, vcc, v10, v12, vcc
	;; [unrolled: 3-line block ×6, first 2 shown]
	v_add_co_u32_e32 v19, vcc, s10, v0
	v_lshlrev_b32_e32 v25, 2, v19
	s_lshl_b32 s22, s10, 1
	s_mul_i32 s23, s10, 3
	s_lshl_b32 s31, s10, 2
	s_lshl_b32 s33, s10, 4
	v_addc_co_u32_e64 v20, s[10:11], 0, 0, vcc
	v_mov_b32_e32 v22, s9
	v_add_co_u32_e32 v21, vcc, s8, v25
	v_addc_co_u32_e32 v22, vcc, 0, v22, vcc
	v_mov_b32_e32 v24, s7
	v_add_co_u32_e32 v23, vcc, s6, v25
	v_addc_co_u32_e32 v24, vcc, 0, v24, vcc
	;; [unrolled: 3-line block ×3, first 2 shown]
	v_add_co_u32_e32 v27, vcc, s23, v0
	v_addc_co_u32_e64 v28, s[2:3], 0, 0, vcc
	v_add_co_u32_e32 v29, vcc, s22, v0
	v_cmp_eq_f32_e64 s[0:1], s25, 1.0
	s_mov_b64 s[20:21], 0
	v_addc_co_u32_e64 v30, s[2:3], 0, 0, vcc
	s_branch .LBB127_4
.LBB127_3:                              ;   in Loop: Header=BB127_4 Depth=1
	s_or_b64 exec, exec, s[2:3]
	v_add_co_u32_e32 v13, vcc, s33, v13
	v_addc_co_u32_e32 v14, vcc, 0, v14, vcc
	v_add_co_u32_e32 v15, vcc, s33, v15
	v_addc_co_u32_e32 v16, vcc, 0, v16, vcc
	;; [unrolled: 2-line block ×10, first 2 shown]
	s_add_u32 s20, s20, s31
	v_add_co_u32_e32 v23, vcc, s33, v23
	s_waitcnt vmcnt(0)
	v_mov_b32_e32 v32, s17
	s_addc_u32 s21, s21, 0
	v_addc_co_u32_e32 v24, vcc, 0, v24, vcc
	v_mov_b32_e32 v31, s16
	v_cmp_lt_i64_e32 vcc, s[20:21], v[31:32]
	v_add_co_u32_e64 v25, s[2:3], s33, v25
	v_addc_co_u32_e64 v26, s[2:3], 0, v26, s[2:3]
	s_cbranch_vccz .LBB127_28
.LBB127_4:                              ; =>This Inner Loop Header: Depth=1
	v_mov_b32_e32 v32, s21
	v_add_co_u32_e32 v31, vcc, s20, v0
	v_addc_co_u32_e32 v32, vcc, 0, v32, vcc
	v_cmp_gt_u64_e32 vcc, s[18:19], v[31:32]
	v_mov_b32_e32 v33, 0
	v_mov_b32_e32 v32, 0
	s_and_saveexec_b64 s[6:7], vcc
	s_cbranch_execz .LBB127_6
; %bb.5:                                ;   in Loop: Header=BB127_4 Depth=1
	v_mov_b32_e32 v31, s13
	v_add_co_u32_e64 v34, s[2:3], s12, v13
	v_addc_co_u32_e64 v35, s[2:3], v14, v31, s[2:3]
	v_add_co_u32_e64 v36, s[2:3], s12, v15
	v_addc_co_u32_e64 v37, s[2:3], v16, v31, s[2:3]
	global_load_dword v32, v[34:35], off
	global_load_dword v33, v[36:37], off
.LBB127_6:                              ;   in Loop: Header=BB127_4 Depth=1
	s_or_b64 exec, exec, s[6:7]
	v_mov_b32_e32 v31, 0
	v_mov_b32_e32 v37, 0
	s_and_saveexec_b64 s[6:7], vcc
	s_cbranch_execz .LBB127_8
; %bb.7:                                ;   in Loop: Header=BB127_4 Depth=1
	v_mov_b32_e32 v35, s13
	v_add_co_u32_e64 v34, s[2:3], s12, v17
	v_addc_co_u32_e64 v35, s[2:3], v18, v35, s[2:3]
	global_load_dword v37, v[34:35], off
.LBB127_8:                              ;   in Loop: Header=BB127_4 Depth=1
	s_or_b64 exec, exec, s[6:7]
	v_mov_b32_e32 v35, s21
	v_add_co_u32_e64 v34, s[2:3], s20, v19
	v_addc_co_u32_e64 v35, s[2:3], v20, v35, s[2:3]
	v_cmp_gt_u64_e64 s[2:3], s[18:19], v[34:35]
	v_mov_b32_e32 v35, 0
	s_and_saveexec_b64 s[8:9], s[2:3]
	s_cbranch_execz .LBB127_10
; %bb.9:                                ;   in Loop: Header=BB127_4 Depth=1
	v_mov_b32_e32 v31, s13
	v_add_co_u32_e64 v38, s[6:7], s12, v21
	v_addc_co_u32_e64 v39, s[6:7], v22, v31, s[6:7]
	v_add_co_u32_e64 v40, s[6:7], s12, v23
	v_addc_co_u32_e64 v41, s[6:7], v24, v31, s[6:7]
	global_load_dword v35, v[38:39], off
	global_load_dword v31, v[40:41], off
.LBB127_10:                             ;   in Loop: Header=BB127_4 Depth=1
	s_or_b64 exec, exec, s[8:9]
	v_mov_b32_e32 v34, 0
	v_mov_b32_e32 v39, 0
	s_and_saveexec_b64 s[8:9], s[2:3]
	s_cbranch_execz .LBB127_12
; %bb.11:                               ;   in Loop: Header=BB127_4 Depth=1
	v_mov_b32_e32 v36, s13
	v_add_co_u32_e64 v38, s[6:7], s12, v25
	v_addc_co_u32_e64 v39, s[6:7], v26, v36, s[6:7]
	global_load_dword v39, v[38:39], off
.LBB127_12:                             ;   in Loop: Header=BB127_4 Depth=1
	s_or_b64 exec, exec, s[8:9]
	v_mov_b32_e32 v36, s21
	v_add_co_u32_e64 v40, s[6:7], s20, v29
	v_addc_co_u32_e64 v41, s[6:7], v30, v36, s[6:7]
	v_cmp_gt_u64_e64 s[6:7], s[18:19], v[40:41]
	v_mov_b32_e32 v38, 0
	s_and_saveexec_b64 s[10:11], s[6:7]
	s_cbranch_execz .LBB127_14
; %bb.13:                               ;   in Loop: Header=BB127_4 Depth=1
	v_mov_b32_e32 v34, s13
	v_add_co_u32_e64 v40, s[8:9], s12, v7
	v_addc_co_u32_e64 v41, s[8:9], v8, v34, s[8:9]
	v_add_co_u32_e64 v42, s[8:9], s12, v9
	v_addc_co_u32_e64 v43, s[8:9], v10, v34, s[8:9]
	global_load_dword v38, v[40:41], off
	global_load_dword v34, v[42:43], off
.LBB127_14:                             ;   in Loop: Header=BB127_4 Depth=1
	s_or_b64 exec, exec, s[10:11]
	v_mov_b32_e32 v36, 0
	v_mov_b32_e32 v41, 0
	s_and_saveexec_b64 s[10:11], s[6:7]
	s_cbranch_execz .LBB127_16
; %bb.15:                               ;   in Loop: Header=BB127_4 Depth=1
	v_mov_b32_e32 v41, s13
	v_add_co_u32_e64 v40, s[8:9], s12, v11
	v_addc_co_u32_e64 v41, s[8:9], v12, v41, s[8:9]
	global_load_dword v41, v[40:41], off
.LBB127_16:                             ;   in Loop: Header=BB127_4 Depth=1
	s_or_b64 exec, exec, s[10:11]
	v_mov_b32_e32 v40, s21
	v_add_co_u32_e64 v42, s[8:9], s20, v27
	v_addc_co_u32_e64 v43, s[8:9], v28, v40, s[8:9]
	v_cmp_gt_u64_e64 s[8:9], s[18:19], v[42:43]
	v_mov_b32_e32 v40, 0
	s_and_saveexec_b64 s[22:23], s[8:9]
	s_cbranch_execnz .LBB127_22
; %bb.17:                               ;   in Loop: Header=BB127_4 Depth=1
	s_or_b64 exec, exec, s[22:23]
	v_mov_b32_e32 v42, 0
	s_and_saveexec_b64 s[22:23], s[8:9]
	s_cbranch_execnz .LBB127_23
.LBB127_18:                             ;   in Loop: Header=BB127_4 Depth=1
	s_or_b64 exec, exec, s[22:23]
	s_and_saveexec_b64 s[10:11], vcc
	s_cbranch_execnz .LBB127_24
.LBB127_19:                             ;   in Loop: Header=BB127_4 Depth=1
	s_or_b64 exec, exec, s[10:11]
	s_and_saveexec_b64 s[10:11], s[2:3]
	s_cbranch_execnz .LBB127_25
.LBB127_20:                             ;   in Loop: Header=BB127_4 Depth=1
	s_or_b64 exec, exec, s[10:11]
	s_and_saveexec_b64 s[2:3], s[6:7]
	s_cbranch_execnz .LBB127_26
.LBB127_21:                             ;   in Loop: Header=BB127_4 Depth=1
	s_or_b64 exec, exec, s[2:3]
	s_and_saveexec_b64 s[2:3], s[8:9]
	s_cbranch_execz .LBB127_3
	s_branch .LBB127_27
.LBB127_22:                             ;   in Loop: Header=BB127_4 Depth=1
	v_mov_b32_e32 v36, s13
	v_add_co_u32_e64 v42, s[10:11], s12, v1
	v_addc_co_u32_e64 v43, s[10:11], v2, v36, s[10:11]
	v_add_co_u32_e64 v44, s[10:11], s12, v3
	v_addc_co_u32_e64 v45, s[10:11], v4, v36, s[10:11]
	global_load_dword v40, v[42:43], off
	global_load_dword v36, v[44:45], off
	s_or_b64 exec, exec, s[22:23]
	v_mov_b32_e32 v42, 0
	s_and_saveexec_b64 s[22:23], s[8:9]
	s_cbranch_execz .LBB127_18
.LBB127_23:                             ;   in Loop: Header=BB127_4 Depth=1
	v_mov_b32_e32 v43, s13
	v_add_co_u32_e64 v42, s[10:11], s12, v5
	v_addc_co_u32_e64 v43, s[10:11], v6, v43, s[10:11]
	global_load_dword v42, v[42:43], off
	s_or_b64 exec, exec, s[22:23]
	s_and_saveexec_b64 s[10:11], vcc
	s_cbranch_execz .LBB127_19
.LBB127_24:                             ;   in Loop: Header=BB127_4 Depth=1
	s_waitcnt vmcnt(0)
	v_div_scale_f32 v43, s[22:23], v37, v37, v33
	v_div_scale_f32 v44, vcc, v33, v37, v33
	v_rcp_f32_e32 v45, v43
	v_fma_f32 v46, -v43, v45, 1.0
	v_fmac_f32_e32 v45, v46, v45
	v_mul_f32_e32 v46, v44, v45
	v_fma_f32 v47, -v43, v46, v44
	v_fmac_f32_e32 v46, v47, v45
	v_fma_f32 v43, -v43, v46, v44
	v_div_fmas_f32 v45, v43, v45, v46
	v_mov_b32_e32 v44, s13
	v_add_co_u32_e32 v43, vcc, s12, v13
	v_addc_co_u32_e32 v44, vcc, v14, v44, vcc
	v_div_fixup_f32 v33, v45, v37, v33
	v_add_f32_e32 v37, v32, v33
	v_fmac_f32_e32 v32, s25, v33
	v_cndmask_b32_e64 v32, v32, v37, s[0:1]
	global_store_dword v[43:44], v32, off
	s_or_b64 exec, exec, s[10:11]
	s_and_saveexec_b64 s[10:11], s[2:3]
	s_cbranch_execz .LBB127_20
.LBB127_25:                             ;   in Loop: Header=BB127_4 Depth=1
	s_waitcnt vmcnt(0)
	v_div_scale_f32 v32, s[2:3], v39, v39, v31
	v_div_scale_f32 v33, vcc, v31, v39, v31
	v_rcp_f32_e32 v37, v32
	v_fma_f32 v43, -v32, v37, 1.0
	v_fmac_f32_e32 v37, v43, v37
	v_mul_f32_e32 v43, v33, v37
	v_fma_f32 v44, -v32, v43, v33
	v_fmac_f32_e32 v43, v44, v37
	v_fma_f32 v32, -v32, v43, v33
	v_div_fmas_f32 v32, v32, v37, v43
	v_mov_b32_e32 v33, s13
	v_div_fixup_f32 v31, v32, v39, v31
	v_add_f32_e32 v32, v35, v31
	v_fmac_f32_e32 v35, s25, v31
	v_add_co_u32_e32 v31, vcc, s12, v21
	v_cndmask_b32_e64 v35, v35, v32, s[0:1]
	v_addc_co_u32_e32 v32, vcc, v22, v33, vcc
	global_store_dword v[31:32], v35, off
	s_or_b64 exec, exec, s[10:11]
	s_and_saveexec_b64 s[2:3], s[6:7]
	s_cbranch_execz .LBB127_21
.LBB127_26:                             ;   in Loop: Header=BB127_4 Depth=1
	s_waitcnt vmcnt(0)
	v_div_scale_f32 v31, s[6:7], v41, v41, v34
	v_div_scale_f32 v32, vcc, v34, v41, v34
	v_rcp_f32_e32 v33, v31
	v_fma_f32 v35, -v31, v33, 1.0
	v_fmac_f32_e32 v33, v35, v33
	v_mul_f32_e32 v35, v32, v33
	v_fma_f32 v37, -v31, v35, v32
	v_fmac_f32_e32 v35, v37, v33
	v_fma_f32 v31, -v31, v35, v32
	v_div_fmas_f32 v31, v31, v33, v35
	v_mov_b32_e32 v32, s13
	v_div_fixup_f32 v31, v31, v41, v34
	v_add_f32_e32 v33, v38, v31
	v_fmac_f32_e32 v38, s25, v31
	v_add_co_u32_e32 v31, vcc, s12, v7
	v_cndmask_b32_e64 v33, v38, v33, s[0:1]
	v_addc_co_u32_e32 v32, vcc, v8, v32, vcc
	global_store_dword v[31:32], v33, off
	s_or_b64 exec, exec, s[2:3]
	s_and_saveexec_b64 s[2:3], s[8:9]
	s_cbranch_execz .LBB127_3
.LBB127_27:                             ;   in Loop: Header=BB127_4 Depth=1
	s_waitcnt vmcnt(0)
	v_div_scale_f32 v31, s[6:7], v42, v42, v36
	v_div_scale_f32 v32, vcc, v36, v42, v36
	v_rcp_f32_e32 v33, v31
	v_fma_f32 v34, -v31, v33, 1.0
	v_fmac_f32_e32 v33, v34, v33
	v_mul_f32_e32 v34, v32, v33
	v_fma_f32 v35, -v31, v34, v32
	v_fmac_f32_e32 v34, v35, v33
	v_fma_f32 v31, -v31, v34, v32
	v_div_fmas_f32 v31, v31, v33, v34
	v_mov_b32_e32 v32, s13
	v_div_fixup_f32 v31, v31, v42, v36
	v_add_f32_e32 v33, v40, v31
	v_fmac_f32_e32 v40, s25, v31
	v_add_co_u32_e32 v31, vcc, s12, v1
	v_cndmask_b32_e64 v33, v40, v33, s[0:1]
	v_addc_co_u32_e32 v32, vcc, v2, v32, vcc
	global_store_dword v[31:32], v33, off
	s_branch .LBB127_3
.LBB127_28:
	s_mov_b64 s[0:1], 0
.LBB127_29:
	s_andn2_b64 vcc, exec, s[0:1]
	s_cbranch_vccnz .LBB127_33
; %bb.30:
	v_mov_b32_e32 v1, 0x10000
	v_mov_b32_e32 v2, 0
	v_cmp_lt_i64_e32 vcc, s[14:15], v[1:2]
	v_mov_b32_e32 v2, 0
	s_and_b64 s[0:1], vcc, exec
	s_cselect_b32 s11, s15, 0
	s_cselect_b32 s10, s14, 0x10000
	v_lshlrev_b32_e32 v1, 2, v0
	v_cmp_gt_i64_e32 vcc, s[10:11], v[1:2]
	s_and_saveexec_b64 s[0:1], vcc
	s_cbranch_execz .LBB127_33
; %bb.31:
	s_load_dword s2, s[4:5], 0xd14
	v_mov_b32_e32 v1, v2
	s_waitcnt lgkmcnt(0)
	v_cmp_eq_f32_e64 s[0:1], s25, 1.0
	v_lshlrev_b32_e32 v2, 4, v0
	s_mov_b64 s[12:13], 0
	s_and_b32 s14, s2, 0xffff
	s_lshl_b32 s15, s14, 4
.LBB127_32:                             ; =>This Inner Loop Header: Depth=1
	v_mov_b32_e32 v3, s28
	v_add_co_u32_e64 v13, s[2:3], s27, v2
	v_mov_b32_e32 v4, s30
	v_add_co_u32_e32 v11, vcc, s29, v2
	v_addc_co_u32_e64 v14, s[2:3], 0, v3, s[2:3]
	v_addc_co_u32_e32 v12, vcc, 0, v4, vcc
	global_load_dwordx4 v[3:6], v[13:14], off
	global_load_dwordx4 v[7:10], v[11:12], off
	v_add_co_u32_e32 v0, vcc, s14, v0
	v_addc_co_u32_e32 v1, vcc, 0, v1, vcc
	v_mov_b32_e32 v11, s26
	v_add_co_u32_e32 v15, vcc, s24, v2
	v_addc_co_u32_e32 v16, vcc, 0, v11, vcc
	global_load_dwordx4 v[11:14], v[15:16], off
	v_lshlrev_b64 v[17:18], 2, v[0:1]
	s_add_u32 s29, s29, s15
	v_cmp_le_i64_e64 s[2:3], s[10:11], v[17:18]
	s_addc_u32 s30, s30, 0
	s_add_u32 s24, s24, s15
	s_addc_u32 s26, s26, 0
	s_add_u32 s27, s27, s15
	s_addc_u32 s28, s28, 0
	s_or_b64 s[12:13], s[2:3], s[12:13]
	s_waitcnt vmcnt(1)
	v_div_scale_f32 v17, s[4:5], v7, v7, v3
	v_div_scale_f32 v18, s[4:5], v8, v8, v4
	;; [unrolled: 1-line block ×4, first 2 shown]
	v_div_scale_f32 v21, vcc, v3, v7, v3
	v_div_scale_f32 v22, s[4:5], v4, v8, v4
	v_div_scale_f32 v23, s[6:7], v5, v9, v5
	;; [unrolled: 1-line block ×3, first 2 shown]
	v_rcp_f32_e32 v25, v17
	v_rcp_f32_e32 v26, v18
	;; [unrolled: 1-line block ×3, first 2 shown]
	v_fma_f32 v29, -v17, v25, 1.0
	v_rcp_f32_e32 v28, v20
	v_fma_f32 v30, -v18, v26, 1.0
	v_fmac_f32_e32 v25, v29, v25
	v_fma_f32 v31, -v19, v27, 1.0
	v_fmac_f32_e32 v26, v30, v26
	v_mul_f32_e32 v29, v21, v25
	v_fma_f32 v32, -v20, v28, 1.0
	v_fmac_f32_e32 v27, v31, v27
	v_mul_f32_e32 v30, v22, v26
	v_fma_f32 v33, -v17, v29, v21
	v_fmac_f32_e32 v28, v32, v28
	v_mul_f32_e32 v31, v23, v27
	v_fma_f32 v34, -v18, v30, v22
	;; [unrolled: 3-line block ×3, first 2 shown]
	v_fmac_f32_e32 v30, v34, v26
	v_fma_f32 v17, -v17, v29, v21
	v_fma_f32 v36, -v20, v32, v24
	v_fmac_f32_e32 v31, v35, v27
	v_fma_f32 v18, -v18, v30, v22
	v_div_fmas_f32 v17, v17, v25, v29
	s_mov_b64 vcc, s[4:5]
	v_fmac_f32_e32 v32, v36, v28
	v_fma_f32 v19, -v19, v31, v23
	v_div_fmas_f32 v18, v18, v26, v30
	s_mov_b64 vcc, s[6:7]
	v_fma_f32 v20, -v20, v32, v24
	v_div_fmas_f32 v19, v19, v27, v31
	s_mov_b64 vcc, s[8:9]
	v_div_fmas_f32 v20, v20, v28, v32
	v_div_fixup_f32 v3, v17, v7, v3
	s_waitcnt vmcnt(0)
	v_add_f32_e32 v7, v11, v3
	v_fma_f32 v3, s25, v3, v11
	v_cndmask_b32_e64 v3, v3, v7, s[0:1]
	v_div_fixup_f32 v4, v18, v8, v4
	v_add_f32_e32 v7, v12, v4
	v_fma_f32 v4, s25, v4, v12
	v_div_fixup_f32 v5, v19, v9, v5
	v_cndmask_b32_e64 v4, v4, v7, s[0:1]
	v_add_f32_e32 v7, v13, v5
	v_fma_f32 v5, s25, v5, v13
	v_div_fixup_f32 v6, v20, v10, v6
	v_cndmask_b32_e64 v5, v5, v7, s[0:1]
	v_add_f32_e32 v7, v14, v6
	v_fmac_f32_e32 v14, s25, v6
	v_cndmask_b32_e64 v6, v14, v7, s[0:1]
	global_store_dwordx4 v[15:16], v[3:6], off
	s_andn2_b64 exec, exec, s[12:13]
	s_cbranch_execnz .LBB127_32
.LBB127_33:
	s_endpgm
	.section	.rodata,"a",@progbits
	.p2align	6, 0x0
	.amdhsa_kernel _ZN2at6native12_GLOBAL__N_125multi_tensor_apply_kernelINS1_28TensorListScalarListMetadataIfLi3EEENS1_28PointwiseOpScalarListFunctorIfLi3ELi3ELi0EEEJSt7dividesIfEEEEvT_T0_DpT1_
		.amdhsa_group_segment_fixed_size 0
		.amdhsa_private_segment_fixed_size 0
		.amdhsa_kernarg_size 3592
		.amdhsa_user_sgpr_count 6
		.amdhsa_user_sgpr_private_segment_buffer 1
		.amdhsa_user_sgpr_dispatch_ptr 0
		.amdhsa_user_sgpr_queue_ptr 0
		.amdhsa_user_sgpr_kernarg_segment_ptr 1
		.amdhsa_user_sgpr_dispatch_id 0
		.amdhsa_user_sgpr_flat_scratch_init 0
		.amdhsa_user_sgpr_private_segment_size 0
		.amdhsa_uses_dynamic_stack 0
		.amdhsa_system_sgpr_private_segment_wavefront_offset 0
		.amdhsa_system_sgpr_workgroup_id_x 1
		.amdhsa_system_sgpr_workgroup_id_y 0
		.amdhsa_system_sgpr_workgroup_id_z 0
		.amdhsa_system_sgpr_workgroup_info 0
		.amdhsa_system_vgpr_workitem_id 0
		.amdhsa_next_free_vgpr 48
		.amdhsa_next_free_sgpr 34
		.amdhsa_reserve_vcc 1
		.amdhsa_reserve_flat_scratch 0
		.amdhsa_float_round_mode_32 0
		.amdhsa_float_round_mode_16_64 0
		.amdhsa_float_denorm_mode_32 3
		.amdhsa_float_denorm_mode_16_64 3
		.amdhsa_dx10_clamp 1
		.amdhsa_ieee_mode 1
		.amdhsa_fp16_overflow 0
		.amdhsa_exception_fp_ieee_invalid_op 0
		.amdhsa_exception_fp_denorm_src 0
		.amdhsa_exception_fp_ieee_div_zero 0
		.amdhsa_exception_fp_ieee_overflow 0
		.amdhsa_exception_fp_ieee_underflow 0
		.amdhsa_exception_fp_ieee_inexact 0
		.amdhsa_exception_int_div_zero 0
	.end_amdhsa_kernel
	.section	.text._ZN2at6native12_GLOBAL__N_125multi_tensor_apply_kernelINS1_28TensorListScalarListMetadataIfLi3EEENS1_28PointwiseOpScalarListFunctorIfLi3ELi3ELi0EEEJSt7dividesIfEEEEvT_T0_DpT1_,"axG",@progbits,_ZN2at6native12_GLOBAL__N_125multi_tensor_apply_kernelINS1_28TensorListScalarListMetadataIfLi3EEENS1_28PointwiseOpScalarListFunctorIfLi3ELi3ELi0EEEJSt7dividesIfEEEEvT_T0_DpT1_,comdat
.Lfunc_end127:
	.size	_ZN2at6native12_GLOBAL__N_125multi_tensor_apply_kernelINS1_28TensorListScalarListMetadataIfLi3EEENS1_28PointwiseOpScalarListFunctorIfLi3ELi3ELi0EEEJSt7dividesIfEEEEvT_T0_DpT1_, .Lfunc_end127-_ZN2at6native12_GLOBAL__N_125multi_tensor_apply_kernelINS1_28TensorListScalarListMetadataIfLi3EEENS1_28PointwiseOpScalarListFunctorIfLi3ELi3ELi0EEEJSt7dividesIfEEEEvT_T0_DpT1_
                                        ; -- End function
	.set _ZN2at6native12_GLOBAL__N_125multi_tensor_apply_kernelINS1_28TensorListScalarListMetadataIfLi3EEENS1_28PointwiseOpScalarListFunctorIfLi3ELi3ELi0EEEJSt7dividesIfEEEEvT_T0_DpT1_.num_vgpr, 48
	.set _ZN2at6native12_GLOBAL__N_125multi_tensor_apply_kernelINS1_28TensorListScalarListMetadataIfLi3EEENS1_28PointwiseOpScalarListFunctorIfLi3ELi3ELi0EEEJSt7dividesIfEEEEvT_T0_DpT1_.num_agpr, 0
	.set _ZN2at6native12_GLOBAL__N_125multi_tensor_apply_kernelINS1_28TensorListScalarListMetadataIfLi3EEENS1_28PointwiseOpScalarListFunctorIfLi3ELi3ELi0EEEJSt7dividesIfEEEEvT_T0_DpT1_.numbered_sgpr, 34
	.set _ZN2at6native12_GLOBAL__N_125multi_tensor_apply_kernelINS1_28TensorListScalarListMetadataIfLi3EEENS1_28PointwiseOpScalarListFunctorIfLi3ELi3ELi0EEEJSt7dividesIfEEEEvT_T0_DpT1_.num_named_barrier, 0
	.set _ZN2at6native12_GLOBAL__N_125multi_tensor_apply_kernelINS1_28TensorListScalarListMetadataIfLi3EEENS1_28PointwiseOpScalarListFunctorIfLi3ELi3ELi0EEEJSt7dividesIfEEEEvT_T0_DpT1_.private_seg_size, 0
	.set _ZN2at6native12_GLOBAL__N_125multi_tensor_apply_kernelINS1_28TensorListScalarListMetadataIfLi3EEENS1_28PointwiseOpScalarListFunctorIfLi3ELi3ELi0EEEJSt7dividesIfEEEEvT_T0_DpT1_.uses_vcc, 1
	.set _ZN2at6native12_GLOBAL__N_125multi_tensor_apply_kernelINS1_28TensorListScalarListMetadataIfLi3EEENS1_28PointwiseOpScalarListFunctorIfLi3ELi3ELi0EEEJSt7dividesIfEEEEvT_T0_DpT1_.uses_flat_scratch, 0
	.set _ZN2at6native12_GLOBAL__N_125multi_tensor_apply_kernelINS1_28TensorListScalarListMetadataIfLi3EEENS1_28PointwiseOpScalarListFunctorIfLi3ELi3ELi0EEEJSt7dividesIfEEEEvT_T0_DpT1_.has_dyn_sized_stack, 0
	.set _ZN2at6native12_GLOBAL__N_125multi_tensor_apply_kernelINS1_28TensorListScalarListMetadataIfLi3EEENS1_28PointwiseOpScalarListFunctorIfLi3ELi3ELi0EEEJSt7dividesIfEEEEvT_T0_DpT1_.has_recursion, 0
	.set _ZN2at6native12_GLOBAL__N_125multi_tensor_apply_kernelINS1_28TensorListScalarListMetadataIfLi3EEENS1_28PointwiseOpScalarListFunctorIfLi3ELi3ELi0EEEJSt7dividesIfEEEEvT_T0_DpT1_.has_indirect_call, 0
	.section	.AMDGPU.csdata,"",@progbits
; Kernel info:
; codeLenInByte = 2484
; TotalNumSgprs: 38
; NumVgprs: 48
; ScratchSize: 0
; MemoryBound: 0
; FloatMode: 240
; IeeeMode: 1
; LDSByteSize: 0 bytes/workgroup (compile time only)
; SGPRBlocks: 4
; VGPRBlocks: 11
; NumSGPRsForWavesPerEU: 38
; NumVGPRsForWavesPerEU: 48
; Occupancy: 5
; WaveLimiterHint : 0
; COMPUTE_PGM_RSRC2:SCRATCH_EN: 0
; COMPUTE_PGM_RSRC2:USER_SGPR: 6
; COMPUTE_PGM_RSRC2:TRAP_HANDLER: 0
; COMPUTE_PGM_RSRC2:TGID_X_EN: 1
; COMPUTE_PGM_RSRC2:TGID_Y_EN: 0
; COMPUTE_PGM_RSRC2:TGID_Z_EN: 0
; COMPUTE_PGM_RSRC2:TIDIG_COMP_CNT: 0
	.section	.text._ZN2at6native12_GLOBAL__N_125multi_tensor_apply_kernelINS1_28TensorListScalarListMetadataIN3c107complexIdEELi3EEENS1_28PointwiseOpScalarListFunctorIS6_Li3ELi3ELi0EEEJSt7dividesIS6_EEEEvT_T0_DpT1_,"axG",@progbits,_ZN2at6native12_GLOBAL__N_125multi_tensor_apply_kernelINS1_28TensorListScalarListMetadataIN3c107complexIdEELi3EEENS1_28PointwiseOpScalarListFunctorIS6_Li3ELi3ELi0EEEJSt7dividesIS6_EEEEvT_T0_DpT1_,comdat
	.globl	_ZN2at6native12_GLOBAL__N_125multi_tensor_apply_kernelINS1_28TensorListScalarListMetadataIN3c107complexIdEELi3EEENS1_28PointwiseOpScalarListFunctorIS6_Li3ELi3ELi0EEEJSt7dividesIS6_EEEEvT_T0_DpT1_ ; -- Begin function _ZN2at6native12_GLOBAL__N_125multi_tensor_apply_kernelINS1_28TensorListScalarListMetadataIN3c107complexIdEELi3EEENS1_28PointwiseOpScalarListFunctorIS6_Li3ELi3ELi0EEEJSt7dividesIS6_EEEEvT_T0_DpT1_
	.p2align	8
	.type	_ZN2at6native12_GLOBAL__N_125multi_tensor_apply_kernelINS1_28TensorListScalarListMetadataIN3c107complexIdEELi3EEENS1_28PointwiseOpScalarListFunctorIS6_Li3ELi3ELi0EEEJSt7dividesIS6_EEEEvT_T0_DpT1_,@function
_ZN2at6native12_GLOBAL__N_125multi_tensor_apply_kernelINS1_28TensorListScalarListMetadataIN3c107complexIdEELi3EEENS1_28PointwiseOpScalarListFunctorIS6_Li3ELi3ELi0EEEJSt7dividesIS6_EEEEvT_T0_DpT1_: ; @_ZN2at6native12_GLOBAL__N_125multi_tensor_apply_kernelINS1_28TensorListScalarListMetadataIN3c107complexIdEELi3EEENS1_28PointwiseOpScalarListFunctorIS6_Li3ELi3ELi0EEEJSt7dividesIS6_EEEEvT_T0_DpT1_
; %bb.0:
	v_mov_b32_e32 v1, s6
	global_load_ubyte v1, v1, s[4:5] offset:2304
	s_add_u32 s0, s4, s6
	s_mul_hi_u32 s1, s6, 3
	s_mul_i32 s6, s6, 3
	s_addc_u32 s2, s5, 0
	s_add_u32 s0, s0, s6
	s_addc_u32 s1, s2, s1
	s_load_dword s0, s[0:1], 0xa40
	s_mov_b32 s3, 0
	s_mov_b32 s7, s3
	s_waitcnt lgkmcnt(0)
	s_ashr_i32 s1, s0, 31
	s_waitcnt vmcnt(0)
	v_readfirstlane_b32 s2, v1
	s_lshl_b32 s2, s2, 3
	s_load_dwordx2 s[10:11], s[4:5], s2 offset:0x480
	s_load_dwordx2 s[12:13], s[4:5], s2 offset:0x0
	;; [unrolled: 1-line block ×4, first 2 shown]
	s_add_u32 s8, s4, s2
	s_addc_u32 s9, s5, 0
	s_lshl_b64 s[22:23], s[0:1], 20
	s_waitcnt lgkmcnt(0)
	s_add_u32 s33, s12, s22
	s_addc_u32 s36, s13, s23
	s_add_u32 s37, s14, s22
	s_addc_u32 s38, s15, s23
	;; [unrolled: 2-line block ×3, first 2 shown]
	s_or_b32 s6, s39, s37
	s_load_dwordx4 s[16:19], s[8:9], s2 offset:0x600
	s_and_b32 s2, s33, 63
	s_and_b32 s6, s6, 63
	s_cmp_eq_u32 s6, 0
	s_cselect_b64 s[8:9], -1, 0
	s_lshl_b64 s[0:1], s[0:1], 16
	s_sub_u32 s20, s10, s0
	s_subb_u32 s21, s11, s1
	s_and_b32 s6, s10, 3
	s_or_b64 s[0:1], s[2:3], s[6:7]
	s_cmp_eq_u64 s[0:1], 0
	s_cselect_b64 s[0:1], -1, 0
	s_and_b64 s[2:3], s[8:9], s[0:1]
	s_mov_b64 s[0:1], -1
	s_and_b64 vcc, exec, s[2:3]
	s_cbranch_vccnz .LBB128_109
; %bb.1:
	v_cmp_lt_i64_e64 s[0:1], s[20:21], 1
	s_and_b64 vcc, exec, s[0:1]
	s_cbranch_vccnz .LBB128_108
; %bb.2:
	v_mov_b32_e32 v1, 0x10000
	v_mov_b32_e32 v2, 0
	v_cmp_lt_i64_e32 vcc, s[20:21], v[1:2]
	s_waitcnt lgkmcnt(0)
	v_cmp_neq_f64_e64 s[2:3], s[18:19], 0
	s_and_b64 s[0:1], vcc, exec
	v_cmp_neq_f64_e64 s[0:1], s[16:17], 1.0
	s_load_dword s6, s[4:5], 0xf54
	v_cmp_lt_u64_e32 vcc, s[20:21], v[1:2]
	s_cselect_b32 s23, s21, 0
	s_cselect_b32 s22, s20, 0x10000
	s_mov_b64 s[26:27], 0
	s_waitcnt lgkmcnt(0)
	s_and_b32 s41, s6, 0xffff
	s_and_b64 s[6:7], vcc, exec
	s_cselect_b32 s25, s21, 0
	s_cselect_b32 s24, s20, 0x10000
	s_lshl_b32 s42, s41, 1
	s_mul_i32 s43, s41, 3
	s_or_b64 s[28:29], s[0:1], s[2:3]
	s_lshl_b32 s44, s41, 2
	s_branch .LBB128_4
.LBB128_3:                              ;   in Loop: Header=BB128_4 Depth=1
	s_or_b64 exec, exec, s[0:1]
	s_add_u32 s26, s26, s44
	v_mov_b32_e32 v1, s22
	s_addc_u32 s27, s27, 0
	v_mov_b32_e32 v2, s23
	v_cmp_ge_i64_e32 vcc, s[26:27], v[1:2]
	s_cbranch_vccnz .LBB128_108
.LBB128_4:                              ; =>This Inner Loop Header: Depth=1
	v_mov_b32_e32 v1, s27
	v_add_co_u32_e32 v49, vcc, s26, v0
	v_addc_co_u32_e32 v50, vcc, 0, v1, vcc
	v_cmp_gt_u64_e64 s[0:1], s[24:25], v[49:50]
	v_mov_b32_e32 v47, 0
	v_mov_b32_e32 v43, 0
	;; [unrolled: 1-line block ×10, first 2 shown]
	s_and_saveexec_b64 s[2:3], s[0:1]
	s_cbranch_execz .LBB128_6
; %bb.5:                                ;   in Loop: Header=BB128_4 Depth=1
	v_lshlrev_b64 v[1:2], 4, v[49:50]
	v_mov_b32_e32 v3, s38
	v_add_co_u32_e32 v5, vcc, s37, v1
	v_addc_co_u32_e32 v6, vcc, v3, v2, vcc
	v_mov_b32_e32 v3, s36
	v_add_co_u32_e32 v7, vcc, s33, v1
	v_addc_co_u32_e32 v8, vcc, v3, v2, vcc
	global_load_dwordx4 v[1:4], v[7:8], off
	global_load_dwordx4 v[41:44], v[5:6], off
.LBB128_6:                              ;   in Loop: Header=BB128_4 Depth=1
	s_or_b64 exec, exec, s[2:3]
	v_mov_b32_e32 v45, 0
	v_mov_b32_e32 v46, 0
	s_and_saveexec_b64 s[2:3], s[0:1]
	s_cbranch_execz .LBB128_8
; %bb.7:                                ;   in Loop: Header=BB128_4 Depth=1
	v_lshlrev_b64 v[5:6], 4, v[49:50]
	v_mov_b32_e32 v7, s40
	v_add_co_u32_e32 v5, vcc, s39, v5
	v_addc_co_u32_e32 v6, vcc, v7, v6, vcc
	global_load_dwordx4 v[45:48], v[5:6], off
.LBB128_8:                              ;   in Loop: Header=BB128_4 Depth=1
	s_or_b64 exec, exec, s[2:3]
	v_add_co_u32_e32 v51, vcc, s41, v49
	v_addc_co_u32_e32 v52, vcc, 0, v50, vcc
	v_cmp_gt_u64_e64 s[2:3], s[24:25], v[51:52]
	v_mov_b32_e32 v39, 0
	v_mov_b32_e32 v35, 0
	;; [unrolled: 1-line block ×10, first 2 shown]
	s_and_saveexec_b64 s[6:7], s[2:3]
	s_cbranch_execz .LBB128_10
; %bb.9:                                ;   in Loop: Header=BB128_4 Depth=1
	v_lshlrev_b64 v[5:6], 4, v[51:52]
	v_mov_b32_e32 v7, s38
	v_add_co_u32_e32 v9, vcc, s37, v5
	v_addc_co_u32_e32 v10, vcc, v7, v6, vcc
	v_mov_b32_e32 v7, s36
	v_add_co_u32_e32 v11, vcc, s33, v5
	v_addc_co_u32_e32 v12, vcc, v7, v6, vcc
	global_load_dwordx4 v[5:8], v[11:12], off
	global_load_dwordx4 v[33:36], v[9:10], off
.LBB128_10:                             ;   in Loop: Header=BB128_4 Depth=1
	s_or_b64 exec, exec, s[6:7]
	v_mov_b32_e32 v37, 0
	v_mov_b32_e32 v38, 0
	s_and_saveexec_b64 s[6:7], s[2:3]
	s_cbranch_execz .LBB128_12
; %bb.11:                               ;   in Loop: Header=BB128_4 Depth=1
	v_lshlrev_b64 v[9:10], 4, v[51:52]
	v_mov_b32_e32 v11, s40
	v_add_co_u32_e32 v9, vcc, s39, v9
	v_addc_co_u32_e32 v10, vcc, v11, v10, vcc
	global_load_dwordx4 v[37:40], v[9:10], off
.LBB128_12:                             ;   in Loop: Header=BB128_4 Depth=1
	s_or_b64 exec, exec, s[6:7]
	v_add_co_u32_e32 v53, vcc, s42, v49
	v_addc_co_u32_e32 v54, vcc, 0, v50, vcc
	v_cmp_gt_u64_e64 s[6:7], s[24:25], v[53:54]
	v_mov_b32_e32 v31, 0
	v_mov_b32_e32 v27, 0
	;; [unrolled: 1-line block ×10, first 2 shown]
	s_and_saveexec_b64 s[8:9], s[6:7]
	s_cbranch_execz .LBB128_14
; %bb.13:                               ;   in Loop: Header=BB128_4 Depth=1
	v_lshlrev_b64 v[9:10], 4, v[53:54]
	v_mov_b32_e32 v11, s38
	v_add_co_u32_e32 v13, vcc, s37, v9
	v_addc_co_u32_e32 v14, vcc, v11, v10, vcc
	v_mov_b32_e32 v11, s36
	v_add_co_u32_e32 v15, vcc, s33, v9
	v_addc_co_u32_e32 v16, vcc, v11, v10, vcc
	global_load_dwordx4 v[9:12], v[15:16], off
	global_load_dwordx4 v[25:28], v[13:14], off
.LBB128_14:                             ;   in Loop: Header=BB128_4 Depth=1
	s_or_b64 exec, exec, s[8:9]
	v_mov_b32_e32 v29, 0
	v_mov_b32_e32 v30, 0
	s_and_saveexec_b64 s[8:9], s[6:7]
	s_cbranch_execz .LBB128_16
; %bb.15:                               ;   in Loop: Header=BB128_4 Depth=1
	v_lshlrev_b64 v[13:14], 4, v[53:54]
	v_mov_b32_e32 v15, s40
	v_add_co_u32_e32 v13, vcc, s39, v13
	v_addc_co_u32_e32 v14, vcc, v15, v14, vcc
	global_load_dwordx4 v[29:32], v[13:14], off
.LBB128_16:                             ;   in Loop: Header=BB128_4 Depth=1
	s_or_b64 exec, exec, s[8:9]
	v_add_co_u32_e32 v55, vcc, s43, v49
	v_addc_co_u32_e32 v56, vcc, 0, v50, vcc
	v_cmp_gt_u64_e64 s[8:9], s[24:25], v[55:56]
	v_mov_b32_e32 v23, 0
	v_mov_b32_e32 v19, 0
	;; [unrolled: 1-line block ×10, first 2 shown]
	s_and_saveexec_b64 s[10:11], s[8:9]
	s_cbranch_execz .LBB128_18
; %bb.17:                               ;   in Loop: Header=BB128_4 Depth=1
	v_lshlrev_b64 v[13:14], 4, v[55:56]
	v_mov_b32_e32 v15, s38
	v_add_co_u32_e32 v21, vcc, s37, v13
	v_addc_co_u32_e32 v22, vcc, v15, v14, vcc
	v_mov_b32_e32 v15, s36
	v_add_co_u32_e32 v57, vcc, s33, v13
	v_addc_co_u32_e32 v58, vcc, v15, v14, vcc
	global_load_dwordx4 v[13:16], v[57:58], off
	global_load_dwordx4 v[17:20], v[21:22], off
.LBB128_18:                             ;   in Loop: Header=BB128_4 Depth=1
	s_or_b64 exec, exec, s[10:11]
	v_mov_b32_e32 v21, 0
	v_mov_b32_e32 v22, 0
	s_and_saveexec_b64 s[10:11], s[8:9]
	s_cbranch_execz .LBB128_20
; %bb.19:                               ;   in Loop: Header=BB128_4 Depth=1
	v_lshlrev_b64 v[21:22], 4, v[55:56]
	v_mov_b32_e32 v23, s40
	v_add_co_u32_e32 v21, vcc, s39, v21
	v_addc_co_u32_e32 v22, vcc, v23, v22, vcc
	global_load_dwordx4 v[21:24], v[21:22], off
.LBB128_20:                             ;   in Loop: Header=BB128_4 Depth=1
	s_or_b64 exec, exec, s[10:11]
	s_waitcnt vmcnt(0)
	v_cmp_gt_f64_e32 vcc, 0, v[45:46]
	v_xor_b32_e32 v57, 0x80000000, v46
	v_mov_b32_e32 v61, v45
	v_mov_b32_e32 v63, v47
	s_mov_b64 s[12:13], -1
                                        ; implicit-def: $vgpr59_vgpr60
	v_cndmask_b32_e32 v62, v46, v57, vcc
	v_cmp_gt_f64_e32 vcc, 0, v[47:48]
	v_xor_b32_e32 v57, 0x80000000, v48
	v_cndmask_b32_e32 v64, v48, v57, vcc
	v_cmp_ge_f64_e64 s[10:11], v[61:62], v[63:64]
	s_and_b64 vcc, exec, s[28:29]
                                        ; implicit-def: $vgpr57_vgpr58
	s_cbranch_vccz .LBB128_30
; %bb.21:                               ;   in Loop: Header=BB128_4 Depth=1
                                        ; implicit-def: $vgpr57_vgpr58
                                        ; implicit-def: $vgpr59_vgpr60
	s_and_saveexec_b64 s[12:13], s[10:11]
	s_xor_b64 s[14:15], exec, s[12:13]
	s_cbranch_execz .LBB128_27
; %bb.22:                               ;   in Loop: Header=BB128_4 Depth=1
	v_cmp_neq_f64_e32 vcc, 0, v[45:46]
	v_cmp_neq_f64_e64 s[12:13], 0, v[47:48]
                                        ; implicit-def: $vgpr57_vgpr58
                                        ; implicit-def: $vgpr59_vgpr60
	s_or_b64 s[12:13], s[12:13], vcc
	s_and_saveexec_b64 s[30:31], s[12:13]
	s_xor_b64 s[12:13], exec, s[30:31]
	s_cbranch_execz .LBB128_24
; %bb.23:                               ;   in Loop: Header=BB128_4 Depth=1
	v_div_scale_f64 v[57:58], s[30:31], v[45:46], v[45:46], v[47:48]
	v_rcp_f64_e32 v[59:60], v[57:58]
	v_fma_f64 v[65:66], -v[57:58], v[59:60], 1.0
	v_fma_f64 v[59:60], v[59:60], v[65:66], v[59:60]
	v_div_scale_f64 v[65:66], vcc, v[47:48], v[45:46], v[47:48]
	v_fma_f64 v[67:68], -v[57:58], v[59:60], 1.0
	v_fma_f64 v[59:60], v[59:60], v[67:68], v[59:60]
	v_mul_f64 v[67:68], v[65:66], v[59:60]
	v_fma_f64 v[57:58], -v[57:58], v[67:68], v[65:66]
	v_div_fmas_f64 v[57:58], v[57:58], v[59:60], v[67:68]
	v_div_fixup_f64 v[57:58], v[57:58], v[45:46], v[47:48]
	v_fma_f64 v[59:60], v[47:48], v[57:58], v[45:46]
	v_div_scale_f64 v[65:66], s[30:31], v[59:60], v[59:60], 1.0
	v_rcp_f64_e32 v[67:68], v[65:66]
	v_fma_f64 v[69:70], -v[65:66], v[67:68], 1.0
	v_fma_f64 v[67:68], v[67:68], v[69:70], v[67:68]
	v_div_scale_f64 v[69:70], vcc, 1.0, v[59:60], 1.0
	v_fma_f64 v[71:72], -v[65:66], v[67:68], 1.0
	v_fma_f64 v[67:68], v[67:68], v[71:72], v[67:68]
	v_mul_f64 v[71:72], v[69:70], v[67:68]
	v_fma_f64 v[65:66], -v[65:66], v[71:72], v[69:70]
	v_div_fmas_f64 v[65:66], v[65:66], v[67:68], v[71:72]
	v_fma_f64 v[67:68], v[43:44], v[57:58], v[41:42]
	v_fma_f64 v[57:58], -v[41:42], v[57:58], v[43:44]
	v_div_fixup_f64 v[65:66], v[65:66], v[59:60], 1.0
	v_mul_f64 v[59:60], v[67:68], v[65:66]
	v_mul_f64 v[57:58], v[57:58], v[65:66]
.LBB128_24:                             ;   in Loop: Header=BB128_4 Depth=1
	s_andn2_saveexec_b64 s[30:31], s[12:13]
	s_cbranch_execz .LBB128_26
; %bb.25:                               ;   in Loop: Header=BB128_4 Depth=1
	v_div_scale_f64 v[57:58], s[12:13], v[61:62], v[61:62], v[41:42]
	v_div_scale_f64 v[59:60], s[12:13], v[63:64], v[63:64], v[43:44]
	;; [unrolled: 1-line block ×3, first 2 shown]
	v_rcp_f64_e32 v[65:66], v[57:58]
	v_rcp_f64_e32 v[67:68], v[59:60]
	v_fma_f64 v[69:70], -v[57:58], v[65:66], 1.0
	v_fma_f64 v[71:72], -v[59:60], v[67:68], 1.0
	v_fma_f64 v[65:66], v[65:66], v[69:70], v[65:66]
	v_div_scale_f64 v[69:70], vcc, v[41:42], v[61:62], v[41:42]
	v_fma_f64 v[67:68], v[67:68], v[71:72], v[67:68]
	v_fma_f64 v[71:72], -v[57:58], v[65:66], 1.0
	v_fma_f64 v[75:76], -v[59:60], v[67:68], 1.0
	v_fma_f64 v[65:66], v[65:66], v[71:72], v[65:66]
	v_fma_f64 v[67:68], v[67:68], v[75:76], v[67:68]
	v_mul_f64 v[71:72], v[69:70], v[65:66]
	v_mul_f64 v[75:76], v[73:74], v[67:68]
	v_fma_f64 v[57:58], -v[57:58], v[71:72], v[69:70]
	v_fma_f64 v[59:60], -v[59:60], v[75:76], v[73:74]
	v_div_fmas_f64 v[57:58], v[57:58], v[65:66], v[71:72]
	s_mov_b64 vcc, s[12:13]
	v_div_fmas_f64 v[65:66], v[59:60], v[67:68], v[75:76]
	v_div_fixup_f64 v[59:60], v[57:58], v[61:62], v[41:42]
	v_div_fixup_f64 v[57:58], v[65:66], v[63:64], v[43:44]
.LBB128_26:                             ;   in Loop: Header=BB128_4 Depth=1
	s_or_b64 exec, exec, s[30:31]
.LBB128_27:                             ;   in Loop: Header=BB128_4 Depth=1
	s_andn2_saveexec_b64 s[12:13], s[14:15]
	s_cbranch_execz .LBB128_29
; %bb.28:                               ;   in Loop: Header=BB128_4 Depth=1
	v_div_scale_f64 v[57:58], s[14:15], v[47:48], v[47:48], v[45:46]
	v_rcp_f64_e32 v[59:60], v[57:58]
	v_fma_f64 v[65:66], -v[57:58], v[59:60], 1.0
	v_fma_f64 v[59:60], v[59:60], v[65:66], v[59:60]
	v_div_scale_f64 v[65:66], vcc, v[45:46], v[47:48], v[45:46]
	v_fma_f64 v[67:68], -v[57:58], v[59:60], 1.0
	v_fma_f64 v[59:60], v[59:60], v[67:68], v[59:60]
	v_mul_f64 v[67:68], v[65:66], v[59:60]
	v_fma_f64 v[57:58], -v[57:58], v[67:68], v[65:66]
	v_div_fmas_f64 v[57:58], v[57:58], v[59:60], v[67:68]
	v_div_fixup_f64 v[57:58], v[57:58], v[47:48], v[45:46]
	v_fma_f64 v[59:60], v[45:46], v[57:58], v[47:48]
	v_div_scale_f64 v[65:66], s[14:15], v[59:60], v[59:60], 1.0
	v_rcp_f64_e32 v[67:68], v[65:66]
	v_fma_f64 v[69:70], -v[65:66], v[67:68], 1.0
	v_fma_f64 v[67:68], v[67:68], v[69:70], v[67:68]
	v_div_scale_f64 v[69:70], vcc, 1.0, v[59:60], 1.0
	v_fma_f64 v[71:72], -v[65:66], v[67:68], 1.0
	v_fma_f64 v[67:68], v[67:68], v[71:72], v[67:68]
	v_mul_f64 v[71:72], v[69:70], v[67:68]
	v_fma_f64 v[65:66], -v[65:66], v[71:72], v[69:70]
	v_div_fmas_f64 v[65:66], v[65:66], v[67:68], v[71:72]
	v_fma_f64 v[67:68], v[41:42], v[57:58], v[43:44]
	v_fma_f64 v[57:58], v[43:44], v[57:58], -v[41:42]
	v_div_fixup_f64 v[65:66], v[65:66], v[59:60], 1.0
	v_mul_f64 v[59:60], v[67:68], v[65:66]
	v_mul_f64 v[57:58], v[57:58], v[65:66]
.LBB128_29:                             ;   in Loop: Header=BB128_4 Depth=1
	s_or_b64 exec, exec, s[12:13]
	v_mul_f64 v[65:66], s[18:19], v[57:58]
	v_mul_f64 v[67:68], s[16:17], v[57:58]
	s_mov_b64 s[12:13], 0
	v_fma_f64 v[57:58], s[16:17], v[59:60], -v[65:66]
	v_fma_f64 v[59:60], s[18:19], v[59:60], v[67:68]
.LBB128_30:                             ;   in Loop: Header=BB128_4 Depth=1
	s_and_b64 vcc, exec, s[12:13]
	s_cbranch_vccz .LBB128_40
; %bb.31:                               ;   in Loop: Header=BB128_4 Depth=1
                                        ; implicit-def: $vgpr59_vgpr60
                                        ; implicit-def: $vgpr57_vgpr58
	s_and_saveexec_b64 s[12:13], s[10:11]
	s_xor_b64 s[12:13], exec, s[12:13]
	s_cbranch_execz .LBB128_37
; %bb.32:                               ;   in Loop: Header=BB128_4 Depth=1
	v_cmp_neq_f64_e32 vcc, 0, v[45:46]
	v_cmp_neq_f64_e64 s[10:11], 0, v[47:48]
                                        ; implicit-def: $vgpr59_vgpr60
                                        ; implicit-def: $vgpr57_vgpr58
	s_or_b64 s[10:11], s[10:11], vcc
	s_and_saveexec_b64 s[14:15], s[10:11]
	s_xor_b64 s[10:11], exec, s[14:15]
	s_cbranch_execz .LBB128_34
; %bb.33:                               ;   in Loop: Header=BB128_4 Depth=1
	v_div_scale_f64 v[57:58], s[14:15], v[45:46], v[45:46], v[47:48]
	v_rcp_f64_e32 v[59:60], v[57:58]
	v_fma_f64 v[61:62], -v[57:58], v[59:60], 1.0
	v_fma_f64 v[59:60], v[59:60], v[61:62], v[59:60]
	v_div_scale_f64 v[61:62], vcc, v[47:48], v[45:46], v[47:48]
	v_fma_f64 v[63:64], -v[57:58], v[59:60], 1.0
	v_fma_f64 v[59:60], v[59:60], v[63:64], v[59:60]
	v_mul_f64 v[63:64], v[61:62], v[59:60]
	v_fma_f64 v[57:58], -v[57:58], v[63:64], v[61:62]
	v_div_fmas_f64 v[57:58], v[57:58], v[59:60], v[63:64]
	v_div_fixup_f64 v[57:58], v[57:58], v[45:46], v[47:48]
	v_fma_f64 v[45:46], v[47:48], v[57:58], v[45:46]
	v_div_scale_f64 v[47:48], s[14:15], v[45:46], v[45:46], 1.0
	v_rcp_f64_e32 v[59:60], v[47:48]
	v_fma_f64 v[61:62], -v[47:48], v[59:60], 1.0
	v_fma_f64 v[59:60], v[59:60], v[61:62], v[59:60]
	v_div_scale_f64 v[61:62], vcc, 1.0, v[45:46], 1.0
	v_fma_f64 v[63:64], -v[47:48], v[59:60], 1.0
	v_fma_f64 v[59:60], v[59:60], v[63:64], v[59:60]
	v_mul_f64 v[63:64], v[61:62], v[59:60]
	v_fma_f64 v[47:48], -v[47:48], v[63:64], v[61:62]
                                        ; implicit-def: $vgpr61_vgpr62
	v_div_fmas_f64 v[47:48], v[47:48], v[59:60], v[63:64]
	v_fma_f64 v[59:60], v[43:44], v[57:58], v[41:42]
	v_fma_f64 v[41:42], -v[41:42], v[57:58], v[43:44]
                                        ; implicit-def: $vgpr63_vgpr64
	v_div_fixup_f64 v[45:46], v[47:48], v[45:46], 1.0
	v_mul_f64 v[57:58], v[59:60], v[45:46]
	v_mul_f64 v[59:60], v[41:42], v[45:46]
                                        ; implicit-def: $vgpr41_vgpr42
.LBB128_34:                             ;   in Loop: Header=BB128_4 Depth=1
	s_andn2_saveexec_b64 s[14:15], s[10:11]
	s_cbranch_execz .LBB128_36
; %bb.35:                               ;   in Loop: Header=BB128_4 Depth=1
	v_div_scale_f64 v[45:46], s[10:11], v[61:62], v[61:62], v[41:42]
	v_div_scale_f64 v[47:48], s[10:11], v[63:64], v[63:64], v[43:44]
	v_div_scale_f64 v[69:70], s[10:11], v[43:44], v[63:64], v[43:44]
	v_rcp_f64_e32 v[57:58], v[45:46]
	v_rcp_f64_e32 v[59:60], v[47:48]
	v_fma_f64 v[65:66], -v[45:46], v[57:58], 1.0
	v_fma_f64 v[67:68], -v[47:48], v[59:60], 1.0
	v_fma_f64 v[57:58], v[57:58], v[65:66], v[57:58]
	v_div_scale_f64 v[65:66], vcc, v[41:42], v[61:62], v[41:42]
	v_fma_f64 v[59:60], v[59:60], v[67:68], v[59:60]
	v_fma_f64 v[67:68], -v[45:46], v[57:58], 1.0
	v_fma_f64 v[71:72], -v[47:48], v[59:60], 1.0
	v_fma_f64 v[57:58], v[57:58], v[67:68], v[57:58]
	v_fma_f64 v[59:60], v[59:60], v[71:72], v[59:60]
	v_mul_f64 v[67:68], v[65:66], v[57:58]
	v_mul_f64 v[71:72], v[69:70], v[59:60]
	v_fma_f64 v[45:46], -v[45:46], v[67:68], v[65:66]
	v_fma_f64 v[47:48], -v[47:48], v[71:72], v[69:70]
	v_div_fmas_f64 v[45:46], v[45:46], v[57:58], v[67:68]
	s_mov_b64 vcc, s[10:11]
	v_div_fmas_f64 v[47:48], v[47:48], v[59:60], v[71:72]
	v_div_fixup_f64 v[57:58], v[45:46], v[61:62], v[41:42]
	v_div_fixup_f64 v[59:60], v[47:48], v[63:64], v[43:44]
.LBB128_36:                             ;   in Loop: Header=BB128_4 Depth=1
	s_or_b64 exec, exec, s[14:15]
                                        ; implicit-def: $vgpr47_vgpr48
                                        ; implicit-def: $vgpr41_vgpr42
.LBB128_37:                             ;   in Loop: Header=BB128_4 Depth=1
	s_andn2_saveexec_b64 s[10:11], s[12:13]
	s_cbranch_execz .LBB128_39
; %bb.38:                               ;   in Loop: Header=BB128_4 Depth=1
	v_div_scale_f64 v[57:58], s[12:13], v[47:48], v[47:48], v[45:46]
	v_rcp_f64_e32 v[59:60], v[57:58]
	v_fma_f64 v[61:62], -v[57:58], v[59:60], 1.0
	v_fma_f64 v[59:60], v[59:60], v[61:62], v[59:60]
	v_div_scale_f64 v[61:62], vcc, v[45:46], v[47:48], v[45:46]
	v_fma_f64 v[63:64], -v[57:58], v[59:60], 1.0
	v_fma_f64 v[59:60], v[59:60], v[63:64], v[59:60]
	v_mul_f64 v[63:64], v[61:62], v[59:60]
	v_fma_f64 v[57:58], -v[57:58], v[63:64], v[61:62]
	v_div_fmas_f64 v[57:58], v[57:58], v[59:60], v[63:64]
	v_div_fixup_f64 v[57:58], v[57:58], v[47:48], v[45:46]
	v_fma_f64 v[45:46], v[45:46], v[57:58], v[47:48]
	v_div_scale_f64 v[47:48], s[12:13], v[45:46], v[45:46], 1.0
	v_rcp_f64_e32 v[59:60], v[47:48]
	v_fma_f64 v[61:62], -v[47:48], v[59:60], 1.0
	v_fma_f64 v[59:60], v[59:60], v[61:62], v[59:60]
	v_div_scale_f64 v[61:62], vcc, 1.0, v[45:46], 1.0
	v_fma_f64 v[63:64], -v[47:48], v[59:60], 1.0
	v_fma_f64 v[59:60], v[59:60], v[63:64], v[59:60]
	v_mul_f64 v[63:64], v[61:62], v[59:60]
	v_fma_f64 v[47:48], -v[47:48], v[63:64], v[61:62]
	v_div_fmas_f64 v[47:48], v[47:48], v[59:60], v[63:64]
	v_fma_f64 v[59:60], v[41:42], v[57:58], v[43:44]
	v_fma_f64 v[41:42], v[43:44], v[57:58], -v[41:42]
	v_div_fixup_f64 v[45:46], v[47:48], v[45:46], 1.0
	v_mul_f64 v[57:58], v[59:60], v[45:46]
	v_mul_f64 v[59:60], v[41:42], v[45:46]
.LBB128_39:                             ;   in Loop: Header=BB128_4 Depth=1
	s_or_b64 exec, exec, s[10:11]
.LBB128_40:                             ;   in Loop: Header=BB128_4 Depth=1
	v_cmp_gt_f64_e32 vcc, 0, v[37:38]
	v_xor_b32_e32 v41, 0x80000000, v38
	v_mov_b32_e32 v45, v37
	v_mov_b32_e32 v47, v39
	s_mov_b64 s[14:15], -1
                                        ; implicit-def: $vgpr43_vgpr44
	v_cndmask_b32_e32 v46, v38, v41, vcc
	v_cmp_gt_f64_e32 vcc, 0, v[39:40]
	v_xor_b32_e32 v41, 0x80000000, v40
	v_cndmask_b32_e32 v48, v40, v41, vcc
	v_cmp_ge_f64_e64 s[12:13], v[45:46], v[47:48]
	v_cndmask_b32_e64 v41, 0, 1, s[28:29]
	v_cmp_ne_u32_e64 s[10:11], 1, v41
	s_andn2_b64 vcc, exec, s[28:29]
                                        ; implicit-def: $vgpr41_vgpr42
	s_cbranch_vccnz .LBB128_50
; %bb.41:                               ;   in Loop: Header=BB128_4 Depth=1
                                        ; implicit-def: $vgpr41_vgpr42
                                        ; implicit-def: $vgpr43_vgpr44
	s_and_saveexec_b64 s[14:15], s[12:13]
	s_xor_b64 s[30:31], exec, s[14:15]
	s_cbranch_execz .LBB128_47
; %bb.42:                               ;   in Loop: Header=BB128_4 Depth=1
	v_cmp_neq_f64_e32 vcc, 0, v[37:38]
	v_cmp_neq_f64_e64 s[14:15], 0, v[39:40]
                                        ; implicit-def: $vgpr41_vgpr42
                                        ; implicit-def: $vgpr43_vgpr44
	s_or_b64 s[14:15], s[14:15], vcc
	s_and_saveexec_b64 s[34:35], s[14:15]
	s_xor_b64 s[14:15], exec, s[34:35]
	s_cbranch_execz .LBB128_44
; %bb.43:                               ;   in Loop: Header=BB128_4 Depth=1
	v_div_scale_f64 v[41:42], s[34:35], v[37:38], v[37:38], v[39:40]
	v_rcp_f64_e32 v[43:44], v[41:42]
	v_fma_f64 v[61:62], -v[41:42], v[43:44], 1.0
	v_fma_f64 v[43:44], v[43:44], v[61:62], v[43:44]
	v_div_scale_f64 v[61:62], vcc, v[39:40], v[37:38], v[39:40]
	v_fma_f64 v[63:64], -v[41:42], v[43:44], 1.0
	v_fma_f64 v[43:44], v[43:44], v[63:64], v[43:44]
	v_mul_f64 v[63:64], v[61:62], v[43:44]
	v_fma_f64 v[41:42], -v[41:42], v[63:64], v[61:62]
	v_div_fmas_f64 v[41:42], v[41:42], v[43:44], v[63:64]
	v_div_fixup_f64 v[41:42], v[41:42], v[37:38], v[39:40]
	v_fma_f64 v[43:44], v[39:40], v[41:42], v[37:38]
	v_div_scale_f64 v[61:62], s[34:35], v[43:44], v[43:44], 1.0
	v_rcp_f64_e32 v[63:64], v[61:62]
	v_fma_f64 v[65:66], -v[61:62], v[63:64], 1.0
	v_fma_f64 v[63:64], v[63:64], v[65:66], v[63:64]
	v_div_scale_f64 v[65:66], vcc, 1.0, v[43:44], 1.0
	v_fma_f64 v[67:68], -v[61:62], v[63:64], 1.0
	v_fma_f64 v[63:64], v[63:64], v[67:68], v[63:64]
	v_mul_f64 v[67:68], v[65:66], v[63:64]
	v_fma_f64 v[61:62], -v[61:62], v[67:68], v[65:66]
	v_div_fmas_f64 v[61:62], v[61:62], v[63:64], v[67:68]
	v_fma_f64 v[63:64], v[35:36], v[41:42], v[33:34]
	v_fma_f64 v[41:42], -v[33:34], v[41:42], v[35:36]
	v_div_fixup_f64 v[61:62], v[61:62], v[43:44], 1.0
	v_mul_f64 v[43:44], v[63:64], v[61:62]
	v_mul_f64 v[41:42], v[41:42], v[61:62]
.LBB128_44:                             ;   in Loop: Header=BB128_4 Depth=1
	s_andn2_saveexec_b64 s[34:35], s[14:15]
	s_cbranch_execz .LBB128_46
; %bb.45:                               ;   in Loop: Header=BB128_4 Depth=1
	v_div_scale_f64 v[41:42], s[14:15], v[45:46], v[45:46], v[33:34]
	v_div_scale_f64 v[43:44], s[14:15], v[47:48], v[47:48], v[35:36]
	;; [unrolled: 1-line block ×3, first 2 shown]
	v_rcp_f64_e32 v[61:62], v[41:42]
	v_rcp_f64_e32 v[63:64], v[43:44]
	v_fma_f64 v[65:66], -v[41:42], v[61:62], 1.0
	v_fma_f64 v[67:68], -v[43:44], v[63:64], 1.0
	v_fma_f64 v[61:62], v[61:62], v[65:66], v[61:62]
	v_div_scale_f64 v[65:66], vcc, v[33:34], v[45:46], v[33:34]
	v_fma_f64 v[63:64], v[63:64], v[67:68], v[63:64]
	v_fma_f64 v[67:68], -v[41:42], v[61:62], 1.0
	v_fma_f64 v[71:72], -v[43:44], v[63:64], 1.0
	v_fma_f64 v[61:62], v[61:62], v[67:68], v[61:62]
	v_fma_f64 v[63:64], v[63:64], v[71:72], v[63:64]
	v_mul_f64 v[67:68], v[65:66], v[61:62]
	v_mul_f64 v[71:72], v[69:70], v[63:64]
	v_fma_f64 v[41:42], -v[41:42], v[67:68], v[65:66]
	v_fma_f64 v[43:44], -v[43:44], v[71:72], v[69:70]
	v_div_fmas_f64 v[41:42], v[41:42], v[61:62], v[67:68]
	s_mov_b64 vcc, s[14:15]
	v_div_fmas_f64 v[61:62], v[43:44], v[63:64], v[71:72]
	v_div_fixup_f64 v[43:44], v[41:42], v[45:46], v[33:34]
	v_div_fixup_f64 v[41:42], v[61:62], v[47:48], v[35:36]
.LBB128_46:                             ;   in Loop: Header=BB128_4 Depth=1
	s_or_b64 exec, exec, s[34:35]
.LBB128_47:                             ;   in Loop: Header=BB128_4 Depth=1
	s_andn2_saveexec_b64 s[14:15], s[30:31]
	s_cbranch_execz .LBB128_49
; %bb.48:                               ;   in Loop: Header=BB128_4 Depth=1
	v_div_scale_f64 v[41:42], s[30:31], v[39:40], v[39:40], v[37:38]
	v_rcp_f64_e32 v[43:44], v[41:42]
	v_fma_f64 v[61:62], -v[41:42], v[43:44], 1.0
	v_fma_f64 v[43:44], v[43:44], v[61:62], v[43:44]
	v_div_scale_f64 v[61:62], vcc, v[37:38], v[39:40], v[37:38]
	v_fma_f64 v[63:64], -v[41:42], v[43:44], 1.0
	v_fma_f64 v[43:44], v[43:44], v[63:64], v[43:44]
	v_mul_f64 v[63:64], v[61:62], v[43:44]
	v_fma_f64 v[41:42], -v[41:42], v[63:64], v[61:62]
	v_div_fmas_f64 v[41:42], v[41:42], v[43:44], v[63:64]
	v_div_fixup_f64 v[41:42], v[41:42], v[39:40], v[37:38]
	v_fma_f64 v[43:44], v[37:38], v[41:42], v[39:40]
	v_div_scale_f64 v[61:62], s[30:31], v[43:44], v[43:44], 1.0
	v_rcp_f64_e32 v[63:64], v[61:62]
	v_fma_f64 v[65:66], -v[61:62], v[63:64], 1.0
	v_fma_f64 v[63:64], v[63:64], v[65:66], v[63:64]
	v_div_scale_f64 v[65:66], vcc, 1.0, v[43:44], 1.0
	v_fma_f64 v[67:68], -v[61:62], v[63:64], 1.0
	v_fma_f64 v[63:64], v[63:64], v[67:68], v[63:64]
	v_mul_f64 v[67:68], v[65:66], v[63:64]
	v_fma_f64 v[61:62], -v[61:62], v[67:68], v[65:66]
	v_div_fmas_f64 v[61:62], v[61:62], v[63:64], v[67:68]
	v_fma_f64 v[63:64], v[33:34], v[41:42], v[35:36]
	v_fma_f64 v[41:42], v[35:36], v[41:42], -v[33:34]
	v_div_fixup_f64 v[61:62], v[61:62], v[43:44], 1.0
	v_mul_f64 v[43:44], v[63:64], v[61:62]
	v_mul_f64 v[41:42], v[41:42], v[61:62]
.LBB128_49:                             ;   in Loop: Header=BB128_4 Depth=1
	s_or_b64 exec, exec, s[14:15]
	v_mul_f64 v[61:62], s[18:19], v[41:42]
	v_mul_f64 v[63:64], s[16:17], v[41:42]
	s_mov_b64 s[14:15], 0
	v_fma_f64 v[41:42], s[16:17], v[43:44], -v[61:62]
	v_fma_f64 v[43:44], s[18:19], v[43:44], v[63:64]
.LBB128_50:                             ;   in Loop: Header=BB128_4 Depth=1
	s_and_b64 vcc, exec, s[14:15]
	s_cbranch_vccz .LBB128_60
; %bb.51:                               ;   in Loop: Header=BB128_4 Depth=1
                                        ; implicit-def: $vgpr43_vgpr44
                                        ; implicit-def: $vgpr41_vgpr42
	s_and_saveexec_b64 s[14:15], s[12:13]
	s_xor_b64 s[14:15], exec, s[14:15]
	s_cbranch_execz .LBB128_57
; %bb.52:                               ;   in Loop: Header=BB128_4 Depth=1
	v_cmp_neq_f64_e32 vcc, 0, v[37:38]
	v_cmp_neq_f64_e64 s[12:13], 0, v[39:40]
                                        ; implicit-def: $vgpr43_vgpr44
                                        ; implicit-def: $vgpr41_vgpr42
	s_or_b64 s[12:13], s[12:13], vcc
	s_and_saveexec_b64 s[30:31], s[12:13]
	s_xor_b64 s[12:13], exec, s[30:31]
	s_cbranch_execz .LBB128_54
; %bb.53:                               ;   in Loop: Header=BB128_4 Depth=1
	v_div_scale_f64 v[41:42], s[30:31], v[37:38], v[37:38], v[39:40]
	v_rcp_f64_e32 v[43:44], v[41:42]
	v_fma_f64 v[45:46], -v[41:42], v[43:44], 1.0
	v_fma_f64 v[43:44], v[43:44], v[45:46], v[43:44]
	v_div_scale_f64 v[45:46], vcc, v[39:40], v[37:38], v[39:40]
	v_fma_f64 v[47:48], -v[41:42], v[43:44], 1.0
	v_fma_f64 v[43:44], v[43:44], v[47:48], v[43:44]
	v_mul_f64 v[47:48], v[45:46], v[43:44]
	v_fma_f64 v[41:42], -v[41:42], v[47:48], v[45:46]
	v_div_fmas_f64 v[41:42], v[41:42], v[43:44], v[47:48]
	v_div_fixup_f64 v[41:42], v[41:42], v[37:38], v[39:40]
	v_fma_f64 v[37:38], v[39:40], v[41:42], v[37:38]
	v_div_scale_f64 v[39:40], s[30:31], v[37:38], v[37:38], 1.0
	v_rcp_f64_e32 v[43:44], v[39:40]
	v_fma_f64 v[45:46], -v[39:40], v[43:44], 1.0
	v_fma_f64 v[43:44], v[43:44], v[45:46], v[43:44]
	v_div_scale_f64 v[45:46], vcc, 1.0, v[37:38], 1.0
	v_fma_f64 v[47:48], -v[39:40], v[43:44], 1.0
	v_fma_f64 v[43:44], v[43:44], v[47:48], v[43:44]
	v_mul_f64 v[47:48], v[45:46], v[43:44]
	v_fma_f64 v[39:40], -v[39:40], v[47:48], v[45:46]
                                        ; implicit-def: $vgpr45_vgpr46
	v_div_fmas_f64 v[39:40], v[39:40], v[43:44], v[47:48]
	v_fma_f64 v[43:44], v[35:36], v[41:42], v[33:34]
	v_fma_f64 v[33:34], -v[33:34], v[41:42], v[35:36]
                                        ; implicit-def: $vgpr47_vgpr48
	v_div_fixup_f64 v[37:38], v[39:40], v[37:38], 1.0
	v_mul_f64 v[41:42], v[43:44], v[37:38]
	v_mul_f64 v[43:44], v[33:34], v[37:38]
                                        ; implicit-def: $vgpr33_vgpr34
.LBB128_54:                             ;   in Loop: Header=BB128_4 Depth=1
	s_andn2_saveexec_b64 s[30:31], s[12:13]
	s_cbranch_execz .LBB128_56
; %bb.55:                               ;   in Loop: Header=BB128_4 Depth=1
	v_div_scale_f64 v[37:38], s[12:13], v[45:46], v[45:46], v[33:34]
	v_div_scale_f64 v[39:40], s[12:13], v[47:48], v[47:48], v[35:36]
	;; [unrolled: 1-line block ×3, first 2 shown]
	v_rcp_f64_e32 v[41:42], v[37:38]
	v_rcp_f64_e32 v[43:44], v[39:40]
	v_fma_f64 v[61:62], -v[37:38], v[41:42], 1.0
	v_fma_f64 v[63:64], -v[39:40], v[43:44], 1.0
	v_fma_f64 v[41:42], v[41:42], v[61:62], v[41:42]
	v_div_scale_f64 v[61:62], vcc, v[33:34], v[45:46], v[33:34]
	v_fma_f64 v[43:44], v[43:44], v[63:64], v[43:44]
	v_fma_f64 v[63:64], -v[37:38], v[41:42], 1.0
	v_fma_f64 v[67:68], -v[39:40], v[43:44], 1.0
	v_fma_f64 v[41:42], v[41:42], v[63:64], v[41:42]
	v_fma_f64 v[43:44], v[43:44], v[67:68], v[43:44]
	v_mul_f64 v[63:64], v[61:62], v[41:42]
	v_mul_f64 v[67:68], v[65:66], v[43:44]
	v_fma_f64 v[37:38], -v[37:38], v[63:64], v[61:62]
	v_fma_f64 v[39:40], -v[39:40], v[67:68], v[65:66]
	v_div_fmas_f64 v[37:38], v[37:38], v[41:42], v[63:64]
	s_mov_b64 vcc, s[12:13]
	v_div_fmas_f64 v[39:40], v[39:40], v[43:44], v[67:68]
	v_div_fixup_f64 v[41:42], v[37:38], v[45:46], v[33:34]
	v_div_fixup_f64 v[43:44], v[39:40], v[47:48], v[35:36]
.LBB128_56:                             ;   in Loop: Header=BB128_4 Depth=1
	s_or_b64 exec, exec, s[30:31]
                                        ; implicit-def: $vgpr39_vgpr40
                                        ; implicit-def: $vgpr33_vgpr34
.LBB128_57:                             ;   in Loop: Header=BB128_4 Depth=1
	s_andn2_saveexec_b64 s[12:13], s[14:15]
	s_cbranch_execz .LBB128_59
; %bb.58:                               ;   in Loop: Header=BB128_4 Depth=1
	v_div_scale_f64 v[41:42], s[14:15], v[39:40], v[39:40], v[37:38]
	v_rcp_f64_e32 v[43:44], v[41:42]
	v_fma_f64 v[45:46], -v[41:42], v[43:44], 1.0
	v_fma_f64 v[43:44], v[43:44], v[45:46], v[43:44]
	v_div_scale_f64 v[45:46], vcc, v[37:38], v[39:40], v[37:38]
	v_fma_f64 v[47:48], -v[41:42], v[43:44], 1.0
	v_fma_f64 v[43:44], v[43:44], v[47:48], v[43:44]
	v_mul_f64 v[47:48], v[45:46], v[43:44]
	v_fma_f64 v[41:42], -v[41:42], v[47:48], v[45:46]
	v_div_fmas_f64 v[41:42], v[41:42], v[43:44], v[47:48]
	v_div_fixup_f64 v[41:42], v[41:42], v[39:40], v[37:38]
	v_fma_f64 v[37:38], v[37:38], v[41:42], v[39:40]
	v_div_scale_f64 v[39:40], s[14:15], v[37:38], v[37:38], 1.0
	v_rcp_f64_e32 v[43:44], v[39:40]
	v_fma_f64 v[45:46], -v[39:40], v[43:44], 1.0
	v_fma_f64 v[43:44], v[43:44], v[45:46], v[43:44]
	v_div_scale_f64 v[45:46], vcc, 1.0, v[37:38], 1.0
	v_fma_f64 v[47:48], -v[39:40], v[43:44], 1.0
	v_fma_f64 v[43:44], v[43:44], v[47:48], v[43:44]
	v_mul_f64 v[47:48], v[45:46], v[43:44]
	v_fma_f64 v[39:40], -v[39:40], v[47:48], v[45:46]
	v_div_fmas_f64 v[39:40], v[39:40], v[43:44], v[47:48]
	v_fma_f64 v[43:44], v[33:34], v[41:42], v[35:36]
	v_fma_f64 v[33:34], v[35:36], v[41:42], -v[33:34]
	v_div_fixup_f64 v[37:38], v[39:40], v[37:38], 1.0
	v_mul_f64 v[41:42], v[43:44], v[37:38]
	v_mul_f64 v[43:44], v[33:34], v[37:38]
.LBB128_59:                             ;   in Loop: Header=BB128_4 Depth=1
	s_or_b64 exec, exec, s[12:13]
.LBB128_60:                             ;   in Loop: Header=BB128_4 Depth=1
	v_cmp_gt_f64_e32 vcc, 0, v[29:30]
	v_xor_b32_e32 v33, 0x80000000, v30
	v_mov_b32_e32 v37, v29
	v_mov_b32_e32 v39, v31
	s_mov_b64 s[14:15], -1
                                        ; implicit-def: $vgpr35_vgpr36
	v_cndmask_b32_e32 v38, v30, v33, vcc
	v_cmp_gt_f64_e32 vcc, 0, v[31:32]
	v_xor_b32_e32 v33, 0x80000000, v32
	v_cndmask_b32_e32 v40, v32, v33, vcc
	v_cmp_ge_f64_e64 s[12:13], v[37:38], v[39:40]
	s_and_b64 vcc, exec, s[10:11]
                                        ; implicit-def: $vgpr33_vgpr34
	s_cbranch_vccnz .LBB128_70
; %bb.61:                               ;   in Loop: Header=BB128_4 Depth=1
                                        ; implicit-def: $vgpr33_vgpr34
                                        ; implicit-def: $vgpr35_vgpr36
	s_and_saveexec_b64 s[14:15], s[12:13]
	s_xor_b64 s[30:31], exec, s[14:15]
	s_cbranch_execz .LBB128_67
; %bb.62:                               ;   in Loop: Header=BB128_4 Depth=1
	v_cmp_neq_f64_e32 vcc, 0, v[29:30]
	v_cmp_neq_f64_e64 s[14:15], 0, v[31:32]
                                        ; implicit-def: $vgpr33_vgpr34
                                        ; implicit-def: $vgpr35_vgpr36
	s_or_b64 s[14:15], s[14:15], vcc
	s_and_saveexec_b64 s[34:35], s[14:15]
	s_xor_b64 s[14:15], exec, s[34:35]
	s_cbranch_execz .LBB128_64
; %bb.63:                               ;   in Loop: Header=BB128_4 Depth=1
	v_div_scale_f64 v[33:34], s[34:35], v[29:30], v[29:30], v[31:32]
	v_rcp_f64_e32 v[35:36], v[33:34]
	v_fma_f64 v[45:46], -v[33:34], v[35:36], 1.0
	v_fma_f64 v[35:36], v[35:36], v[45:46], v[35:36]
	v_div_scale_f64 v[45:46], vcc, v[31:32], v[29:30], v[31:32]
	v_fma_f64 v[47:48], -v[33:34], v[35:36], 1.0
	v_fma_f64 v[35:36], v[35:36], v[47:48], v[35:36]
	v_mul_f64 v[47:48], v[45:46], v[35:36]
	v_fma_f64 v[33:34], -v[33:34], v[47:48], v[45:46]
	v_div_fmas_f64 v[33:34], v[33:34], v[35:36], v[47:48]
	v_div_fixup_f64 v[33:34], v[33:34], v[29:30], v[31:32]
	v_fma_f64 v[35:36], v[31:32], v[33:34], v[29:30]
	v_div_scale_f64 v[45:46], s[34:35], v[35:36], v[35:36], 1.0
	v_rcp_f64_e32 v[47:48], v[45:46]
	v_fma_f64 v[61:62], -v[45:46], v[47:48], 1.0
	v_fma_f64 v[47:48], v[47:48], v[61:62], v[47:48]
	v_div_scale_f64 v[61:62], vcc, 1.0, v[35:36], 1.0
	v_fma_f64 v[63:64], -v[45:46], v[47:48], 1.0
	v_fma_f64 v[47:48], v[47:48], v[63:64], v[47:48]
	v_mul_f64 v[63:64], v[61:62], v[47:48]
	v_fma_f64 v[45:46], -v[45:46], v[63:64], v[61:62]
	v_div_fmas_f64 v[45:46], v[45:46], v[47:48], v[63:64]
	v_fma_f64 v[47:48], v[27:28], v[33:34], v[25:26]
	v_fma_f64 v[33:34], -v[25:26], v[33:34], v[27:28]
	v_div_fixup_f64 v[45:46], v[45:46], v[35:36], 1.0
	v_mul_f64 v[35:36], v[47:48], v[45:46]
	v_mul_f64 v[33:34], v[33:34], v[45:46]
.LBB128_64:                             ;   in Loop: Header=BB128_4 Depth=1
	s_andn2_saveexec_b64 s[34:35], s[14:15]
	s_cbranch_execz .LBB128_66
; %bb.65:                               ;   in Loop: Header=BB128_4 Depth=1
	v_div_scale_f64 v[33:34], s[14:15], v[37:38], v[37:38], v[25:26]
	v_div_scale_f64 v[35:36], s[14:15], v[39:40], v[39:40], v[27:28]
	;; [unrolled: 1-line block ×3, first 2 shown]
	v_rcp_f64_e32 v[45:46], v[33:34]
	v_rcp_f64_e32 v[47:48], v[35:36]
	v_fma_f64 v[61:62], -v[33:34], v[45:46], 1.0
	v_fma_f64 v[63:64], -v[35:36], v[47:48], 1.0
	v_fma_f64 v[45:46], v[45:46], v[61:62], v[45:46]
	v_div_scale_f64 v[61:62], vcc, v[25:26], v[37:38], v[25:26]
	v_fma_f64 v[47:48], v[47:48], v[63:64], v[47:48]
	v_fma_f64 v[63:64], -v[33:34], v[45:46], 1.0
	v_fma_f64 v[67:68], -v[35:36], v[47:48], 1.0
	v_fma_f64 v[45:46], v[45:46], v[63:64], v[45:46]
	v_fma_f64 v[47:48], v[47:48], v[67:68], v[47:48]
	v_mul_f64 v[63:64], v[61:62], v[45:46]
	v_mul_f64 v[67:68], v[65:66], v[47:48]
	v_fma_f64 v[33:34], -v[33:34], v[63:64], v[61:62]
	v_fma_f64 v[35:36], -v[35:36], v[67:68], v[65:66]
	v_div_fmas_f64 v[33:34], v[33:34], v[45:46], v[63:64]
	s_mov_b64 vcc, s[14:15]
	v_div_fmas_f64 v[45:46], v[35:36], v[47:48], v[67:68]
	v_div_fixup_f64 v[35:36], v[33:34], v[37:38], v[25:26]
	v_div_fixup_f64 v[33:34], v[45:46], v[39:40], v[27:28]
.LBB128_66:                             ;   in Loop: Header=BB128_4 Depth=1
	s_or_b64 exec, exec, s[34:35]
.LBB128_67:                             ;   in Loop: Header=BB128_4 Depth=1
	s_andn2_saveexec_b64 s[14:15], s[30:31]
	s_cbranch_execz .LBB128_69
; %bb.68:                               ;   in Loop: Header=BB128_4 Depth=1
	v_div_scale_f64 v[33:34], s[30:31], v[31:32], v[31:32], v[29:30]
	v_rcp_f64_e32 v[35:36], v[33:34]
	v_fma_f64 v[45:46], -v[33:34], v[35:36], 1.0
	v_fma_f64 v[35:36], v[35:36], v[45:46], v[35:36]
	v_div_scale_f64 v[45:46], vcc, v[29:30], v[31:32], v[29:30]
	v_fma_f64 v[47:48], -v[33:34], v[35:36], 1.0
	v_fma_f64 v[35:36], v[35:36], v[47:48], v[35:36]
	v_mul_f64 v[47:48], v[45:46], v[35:36]
	v_fma_f64 v[33:34], -v[33:34], v[47:48], v[45:46]
	v_div_fmas_f64 v[33:34], v[33:34], v[35:36], v[47:48]
	v_div_fixup_f64 v[33:34], v[33:34], v[31:32], v[29:30]
	v_fma_f64 v[35:36], v[29:30], v[33:34], v[31:32]
	v_div_scale_f64 v[45:46], s[30:31], v[35:36], v[35:36], 1.0
	v_rcp_f64_e32 v[47:48], v[45:46]
	v_fma_f64 v[61:62], -v[45:46], v[47:48], 1.0
	v_fma_f64 v[47:48], v[47:48], v[61:62], v[47:48]
	v_div_scale_f64 v[61:62], vcc, 1.0, v[35:36], 1.0
	v_fma_f64 v[63:64], -v[45:46], v[47:48], 1.0
	v_fma_f64 v[47:48], v[47:48], v[63:64], v[47:48]
	v_mul_f64 v[63:64], v[61:62], v[47:48]
	v_fma_f64 v[45:46], -v[45:46], v[63:64], v[61:62]
	v_div_fmas_f64 v[45:46], v[45:46], v[47:48], v[63:64]
	v_fma_f64 v[47:48], v[25:26], v[33:34], v[27:28]
	v_fma_f64 v[33:34], v[27:28], v[33:34], -v[25:26]
	v_div_fixup_f64 v[45:46], v[45:46], v[35:36], 1.0
	v_mul_f64 v[35:36], v[47:48], v[45:46]
	v_mul_f64 v[33:34], v[33:34], v[45:46]
.LBB128_69:                             ;   in Loop: Header=BB128_4 Depth=1
	s_or_b64 exec, exec, s[14:15]
	v_mul_f64 v[45:46], s[18:19], v[33:34]
	v_mul_f64 v[47:48], s[16:17], v[33:34]
	s_mov_b64 s[14:15], 0
	v_fma_f64 v[33:34], s[16:17], v[35:36], -v[45:46]
	v_fma_f64 v[35:36], s[18:19], v[35:36], v[47:48]
.LBB128_70:                             ;   in Loop: Header=BB128_4 Depth=1
	s_and_b64 vcc, exec, s[14:15]
	s_cbranch_vccz .LBB128_80
; %bb.71:                               ;   in Loop: Header=BB128_4 Depth=1
                                        ; implicit-def: $vgpr35_vgpr36
                                        ; implicit-def: $vgpr33_vgpr34
	s_and_saveexec_b64 s[14:15], s[12:13]
	s_xor_b64 s[14:15], exec, s[14:15]
	s_cbranch_execz .LBB128_77
; %bb.72:                               ;   in Loop: Header=BB128_4 Depth=1
	v_cmp_neq_f64_e32 vcc, 0, v[29:30]
	v_cmp_neq_f64_e64 s[12:13], 0, v[31:32]
                                        ; implicit-def: $vgpr35_vgpr36
                                        ; implicit-def: $vgpr33_vgpr34
	s_or_b64 s[12:13], s[12:13], vcc
	s_and_saveexec_b64 s[30:31], s[12:13]
	s_xor_b64 s[12:13], exec, s[30:31]
	s_cbranch_execz .LBB128_74
; %bb.73:                               ;   in Loop: Header=BB128_4 Depth=1
	v_div_scale_f64 v[33:34], s[30:31], v[29:30], v[29:30], v[31:32]
	v_rcp_f64_e32 v[35:36], v[33:34]
	v_fma_f64 v[37:38], -v[33:34], v[35:36], 1.0
	v_fma_f64 v[35:36], v[35:36], v[37:38], v[35:36]
	v_div_scale_f64 v[37:38], vcc, v[31:32], v[29:30], v[31:32]
	v_fma_f64 v[39:40], -v[33:34], v[35:36], 1.0
	v_fma_f64 v[35:36], v[35:36], v[39:40], v[35:36]
	v_mul_f64 v[39:40], v[37:38], v[35:36]
	v_fma_f64 v[33:34], -v[33:34], v[39:40], v[37:38]
	v_div_fmas_f64 v[33:34], v[33:34], v[35:36], v[39:40]
	v_div_fixup_f64 v[33:34], v[33:34], v[29:30], v[31:32]
	v_fma_f64 v[29:30], v[31:32], v[33:34], v[29:30]
	v_div_scale_f64 v[31:32], s[30:31], v[29:30], v[29:30], 1.0
	v_rcp_f64_e32 v[35:36], v[31:32]
	v_fma_f64 v[37:38], -v[31:32], v[35:36], 1.0
	v_fma_f64 v[35:36], v[35:36], v[37:38], v[35:36]
	v_div_scale_f64 v[37:38], vcc, 1.0, v[29:30], 1.0
	v_fma_f64 v[39:40], -v[31:32], v[35:36], 1.0
	v_fma_f64 v[35:36], v[35:36], v[39:40], v[35:36]
	v_mul_f64 v[39:40], v[37:38], v[35:36]
	v_fma_f64 v[31:32], -v[31:32], v[39:40], v[37:38]
                                        ; implicit-def: $vgpr37_vgpr38
	v_div_fmas_f64 v[31:32], v[31:32], v[35:36], v[39:40]
	v_fma_f64 v[35:36], v[27:28], v[33:34], v[25:26]
	v_fma_f64 v[25:26], -v[25:26], v[33:34], v[27:28]
                                        ; implicit-def: $vgpr39_vgpr40
	v_div_fixup_f64 v[29:30], v[31:32], v[29:30], 1.0
	v_mul_f64 v[33:34], v[35:36], v[29:30]
	v_mul_f64 v[35:36], v[25:26], v[29:30]
                                        ; implicit-def: $vgpr25_vgpr26
.LBB128_74:                             ;   in Loop: Header=BB128_4 Depth=1
	s_andn2_saveexec_b64 s[30:31], s[12:13]
	s_cbranch_execz .LBB128_76
; %bb.75:                               ;   in Loop: Header=BB128_4 Depth=1
	v_div_scale_f64 v[29:30], s[12:13], v[37:38], v[37:38], v[25:26]
	v_div_scale_f64 v[31:32], s[12:13], v[39:40], v[39:40], v[27:28]
	;; [unrolled: 1-line block ×3, first 2 shown]
	v_rcp_f64_e32 v[33:34], v[29:30]
	v_rcp_f64_e32 v[35:36], v[31:32]
	v_fma_f64 v[45:46], -v[29:30], v[33:34], 1.0
	v_fma_f64 v[47:48], -v[31:32], v[35:36], 1.0
	v_fma_f64 v[33:34], v[33:34], v[45:46], v[33:34]
	v_div_scale_f64 v[45:46], vcc, v[25:26], v[37:38], v[25:26]
	v_fma_f64 v[35:36], v[35:36], v[47:48], v[35:36]
	v_fma_f64 v[47:48], -v[29:30], v[33:34], 1.0
	v_fma_f64 v[63:64], -v[31:32], v[35:36], 1.0
	v_fma_f64 v[33:34], v[33:34], v[47:48], v[33:34]
	v_fma_f64 v[35:36], v[35:36], v[63:64], v[35:36]
	v_mul_f64 v[47:48], v[45:46], v[33:34]
	v_mul_f64 v[63:64], v[61:62], v[35:36]
	v_fma_f64 v[29:30], -v[29:30], v[47:48], v[45:46]
	v_fma_f64 v[31:32], -v[31:32], v[63:64], v[61:62]
	v_div_fmas_f64 v[29:30], v[29:30], v[33:34], v[47:48]
	s_mov_b64 vcc, s[12:13]
	v_div_fmas_f64 v[31:32], v[31:32], v[35:36], v[63:64]
	v_div_fixup_f64 v[33:34], v[29:30], v[37:38], v[25:26]
	v_div_fixup_f64 v[35:36], v[31:32], v[39:40], v[27:28]
.LBB128_76:                             ;   in Loop: Header=BB128_4 Depth=1
	s_or_b64 exec, exec, s[30:31]
                                        ; implicit-def: $vgpr31_vgpr32
                                        ; implicit-def: $vgpr25_vgpr26
.LBB128_77:                             ;   in Loop: Header=BB128_4 Depth=1
	s_andn2_saveexec_b64 s[12:13], s[14:15]
	s_cbranch_execz .LBB128_79
; %bb.78:                               ;   in Loop: Header=BB128_4 Depth=1
	v_div_scale_f64 v[33:34], s[14:15], v[31:32], v[31:32], v[29:30]
	v_rcp_f64_e32 v[35:36], v[33:34]
	v_fma_f64 v[37:38], -v[33:34], v[35:36], 1.0
	v_fma_f64 v[35:36], v[35:36], v[37:38], v[35:36]
	v_div_scale_f64 v[37:38], vcc, v[29:30], v[31:32], v[29:30]
	v_fma_f64 v[39:40], -v[33:34], v[35:36], 1.0
	v_fma_f64 v[35:36], v[35:36], v[39:40], v[35:36]
	v_mul_f64 v[39:40], v[37:38], v[35:36]
	v_fma_f64 v[33:34], -v[33:34], v[39:40], v[37:38]
	v_div_fmas_f64 v[33:34], v[33:34], v[35:36], v[39:40]
	v_div_fixup_f64 v[33:34], v[33:34], v[31:32], v[29:30]
	v_fma_f64 v[29:30], v[29:30], v[33:34], v[31:32]
	v_div_scale_f64 v[31:32], s[14:15], v[29:30], v[29:30], 1.0
	v_rcp_f64_e32 v[35:36], v[31:32]
	v_fma_f64 v[37:38], -v[31:32], v[35:36], 1.0
	v_fma_f64 v[35:36], v[35:36], v[37:38], v[35:36]
	v_div_scale_f64 v[37:38], vcc, 1.0, v[29:30], 1.0
	v_fma_f64 v[39:40], -v[31:32], v[35:36], 1.0
	v_fma_f64 v[35:36], v[35:36], v[39:40], v[35:36]
	v_mul_f64 v[39:40], v[37:38], v[35:36]
	v_fma_f64 v[31:32], -v[31:32], v[39:40], v[37:38]
	v_div_fmas_f64 v[31:32], v[31:32], v[35:36], v[39:40]
	v_fma_f64 v[35:36], v[25:26], v[33:34], v[27:28]
	v_fma_f64 v[25:26], v[27:28], v[33:34], -v[25:26]
	v_div_fixup_f64 v[29:30], v[31:32], v[29:30], 1.0
	v_mul_f64 v[33:34], v[35:36], v[29:30]
	v_mul_f64 v[35:36], v[25:26], v[29:30]
.LBB128_79:                             ;   in Loop: Header=BB128_4 Depth=1
	s_or_b64 exec, exec, s[12:13]
.LBB128_80:                             ;   in Loop: Header=BB128_4 Depth=1
	v_cmp_gt_f64_e32 vcc, 0, v[21:22]
	v_xor_b32_e32 v25, 0x80000000, v22
	v_xor_b32_e32 v27, 0x80000000, v24
                                        ; implicit-def: $vgpr31_vgpr32
                                        ; implicit-def: $vgpr29_vgpr30
	v_cndmask_b32_e32 v26, v22, v25, vcc
	v_cmp_gt_f64_e32 vcc, 0, v[23:24]
	v_mov_b32_e32 v25, v21
	v_cndmask_b32_e32 v28, v24, v27, vcc
	v_mov_b32_e32 v27, v23
	v_cmp_ge_f64_e64 s[12:13], v[25:26], v[27:28]
	s_and_b64 vcc, exec, s[10:11]
	s_mov_b64 s[10:11], -1
	s_cbranch_vccz .LBB128_86
; %bb.81:                               ;   in Loop: Header=BB128_4 Depth=1
	s_and_b64 vcc, exec, s[10:11]
	s_cbranch_vccnz .LBB128_95
.LBB128_82:                             ;   in Loop: Header=BB128_4 Depth=1
	s_and_saveexec_b64 s[10:11], s[0:1]
	s_xor_b64 s[0:1], exec, s[10:11]
	s_cbranch_execnz .LBB128_104
.LBB128_83:                             ;   in Loop: Header=BB128_4 Depth=1
	s_or_b64 exec, exec, s[0:1]
	s_and_saveexec_b64 s[0:1], s[2:3]
	s_cbranch_execnz .LBB128_105
.LBB128_84:                             ;   in Loop: Header=BB128_4 Depth=1
	s_or_b64 exec, exec, s[0:1]
	s_and_saveexec_b64 s[0:1], s[6:7]
	s_cbranch_execnz .LBB128_106
.LBB128_85:                             ;   in Loop: Header=BB128_4 Depth=1
	s_or_b64 exec, exec, s[0:1]
	s_and_saveexec_b64 s[0:1], s[8:9]
	s_cbranch_execz .LBB128_3
	s_branch .LBB128_107
.LBB128_86:                             ;   in Loop: Header=BB128_4 Depth=1
                                        ; implicit-def: $vgpr29_vgpr30
                                        ; implicit-def: $vgpr31_vgpr32
	s_and_saveexec_b64 s[10:11], s[12:13]
	s_xor_b64 s[14:15], exec, s[10:11]
	s_cbranch_execz .LBB128_92
; %bb.87:                               ;   in Loop: Header=BB128_4 Depth=1
	v_cmp_neq_f64_e32 vcc, 0, v[21:22]
	v_cmp_neq_f64_e64 s[10:11], 0, v[23:24]
                                        ; implicit-def: $vgpr29_vgpr30
                                        ; implicit-def: $vgpr31_vgpr32
	s_or_b64 s[10:11], s[10:11], vcc
	s_and_saveexec_b64 s[30:31], s[10:11]
	s_xor_b64 s[10:11], exec, s[30:31]
	s_cbranch_execz .LBB128_89
; %bb.88:                               ;   in Loop: Header=BB128_4 Depth=1
	v_div_scale_f64 v[29:30], s[30:31], v[21:22], v[21:22], v[23:24]
	v_rcp_f64_e32 v[31:32], v[29:30]
	v_fma_f64 v[37:38], -v[29:30], v[31:32], 1.0
	v_fma_f64 v[31:32], v[31:32], v[37:38], v[31:32]
	v_div_scale_f64 v[37:38], vcc, v[23:24], v[21:22], v[23:24]
	v_fma_f64 v[39:40], -v[29:30], v[31:32], 1.0
	v_fma_f64 v[31:32], v[31:32], v[39:40], v[31:32]
	v_mul_f64 v[39:40], v[37:38], v[31:32]
	v_fma_f64 v[29:30], -v[29:30], v[39:40], v[37:38]
	v_div_fmas_f64 v[29:30], v[29:30], v[31:32], v[39:40]
	v_div_fixup_f64 v[29:30], v[29:30], v[21:22], v[23:24]
	v_fma_f64 v[31:32], v[23:24], v[29:30], v[21:22]
	v_div_scale_f64 v[37:38], s[30:31], v[31:32], v[31:32], 1.0
	v_rcp_f64_e32 v[39:40], v[37:38]
	v_fma_f64 v[45:46], -v[37:38], v[39:40], 1.0
	v_fma_f64 v[39:40], v[39:40], v[45:46], v[39:40]
	v_div_scale_f64 v[45:46], vcc, 1.0, v[31:32], 1.0
	v_fma_f64 v[47:48], -v[37:38], v[39:40], 1.0
	v_fma_f64 v[39:40], v[39:40], v[47:48], v[39:40]
	v_mul_f64 v[47:48], v[45:46], v[39:40]
	v_fma_f64 v[37:38], -v[37:38], v[47:48], v[45:46]
	v_div_fmas_f64 v[37:38], v[37:38], v[39:40], v[47:48]
	v_fma_f64 v[39:40], v[19:20], v[29:30], v[17:18]
	v_fma_f64 v[29:30], -v[17:18], v[29:30], v[19:20]
	v_div_fixup_f64 v[37:38], v[37:38], v[31:32], 1.0
	v_mul_f64 v[31:32], v[39:40], v[37:38]
	v_mul_f64 v[29:30], v[29:30], v[37:38]
.LBB128_89:                             ;   in Loop: Header=BB128_4 Depth=1
	s_andn2_saveexec_b64 s[30:31], s[10:11]
	s_cbranch_execz .LBB128_91
; %bb.90:                               ;   in Loop: Header=BB128_4 Depth=1
	v_div_scale_f64 v[29:30], s[10:11], v[25:26], v[25:26], v[17:18]
	v_div_scale_f64 v[31:32], s[10:11], v[27:28], v[27:28], v[19:20]
	;; [unrolled: 1-line block ×3, first 2 shown]
	v_rcp_f64_e32 v[37:38], v[29:30]
	v_rcp_f64_e32 v[39:40], v[31:32]
	v_fma_f64 v[45:46], -v[29:30], v[37:38], 1.0
	v_fma_f64 v[47:48], -v[31:32], v[39:40], 1.0
	v_fma_f64 v[37:38], v[37:38], v[45:46], v[37:38]
	v_div_scale_f64 v[45:46], vcc, v[17:18], v[25:26], v[17:18]
	v_fma_f64 v[39:40], v[39:40], v[47:48], v[39:40]
	v_fma_f64 v[47:48], -v[29:30], v[37:38], 1.0
	v_fma_f64 v[63:64], -v[31:32], v[39:40], 1.0
	v_fma_f64 v[37:38], v[37:38], v[47:48], v[37:38]
	v_fma_f64 v[39:40], v[39:40], v[63:64], v[39:40]
	v_mul_f64 v[47:48], v[45:46], v[37:38]
	v_mul_f64 v[63:64], v[61:62], v[39:40]
	v_fma_f64 v[29:30], -v[29:30], v[47:48], v[45:46]
	v_fma_f64 v[31:32], -v[31:32], v[63:64], v[61:62]
	v_div_fmas_f64 v[29:30], v[29:30], v[37:38], v[47:48]
	s_mov_b64 vcc, s[10:11]
	v_div_fmas_f64 v[37:38], v[31:32], v[39:40], v[63:64]
	v_div_fixup_f64 v[31:32], v[29:30], v[25:26], v[17:18]
	v_div_fixup_f64 v[29:30], v[37:38], v[27:28], v[19:20]
.LBB128_91:                             ;   in Loop: Header=BB128_4 Depth=1
	s_or_b64 exec, exec, s[30:31]
.LBB128_92:                             ;   in Loop: Header=BB128_4 Depth=1
	s_andn2_saveexec_b64 s[10:11], s[14:15]
	s_cbranch_execz .LBB128_94
; %bb.93:                               ;   in Loop: Header=BB128_4 Depth=1
	v_div_scale_f64 v[29:30], s[14:15], v[23:24], v[23:24], v[21:22]
	v_rcp_f64_e32 v[31:32], v[29:30]
	v_fma_f64 v[37:38], -v[29:30], v[31:32], 1.0
	v_fma_f64 v[31:32], v[31:32], v[37:38], v[31:32]
	v_div_scale_f64 v[37:38], vcc, v[21:22], v[23:24], v[21:22]
	v_fma_f64 v[39:40], -v[29:30], v[31:32], 1.0
	v_fma_f64 v[31:32], v[31:32], v[39:40], v[31:32]
	v_mul_f64 v[39:40], v[37:38], v[31:32]
	v_fma_f64 v[29:30], -v[29:30], v[39:40], v[37:38]
	v_div_fmas_f64 v[29:30], v[29:30], v[31:32], v[39:40]
	v_div_fixup_f64 v[29:30], v[29:30], v[23:24], v[21:22]
	v_fma_f64 v[31:32], v[21:22], v[29:30], v[23:24]
	v_div_scale_f64 v[37:38], s[14:15], v[31:32], v[31:32], 1.0
	v_rcp_f64_e32 v[39:40], v[37:38]
	v_fma_f64 v[45:46], -v[37:38], v[39:40], 1.0
	v_fma_f64 v[39:40], v[39:40], v[45:46], v[39:40]
	v_div_scale_f64 v[45:46], vcc, 1.0, v[31:32], 1.0
	v_fma_f64 v[47:48], -v[37:38], v[39:40], 1.0
	v_fma_f64 v[39:40], v[39:40], v[47:48], v[39:40]
	v_mul_f64 v[47:48], v[45:46], v[39:40]
	v_fma_f64 v[37:38], -v[37:38], v[47:48], v[45:46]
	v_div_fmas_f64 v[37:38], v[37:38], v[39:40], v[47:48]
	v_fma_f64 v[39:40], v[17:18], v[29:30], v[19:20]
	v_fma_f64 v[29:30], v[19:20], v[29:30], -v[17:18]
	v_div_fixup_f64 v[37:38], v[37:38], v[31:32], 1.0
	v_mul_f64 v[31:32], v[39:40], v[37:38]
	v_mul_f64 v[29:30], v[29:30], v[37:38]
.LBB128_94:                             ;   in Loop: Header=BB128_4 Depth=1
	s_or_b64 exec, exec, s[10:11]
	v_mul_f64 v[37:38], s[18:19], v[29:30]
	v_mul_f64 v[39:40], s[16:17], v[29:30]
	v_fma_f64 v[29:30], s[16:17], v[31:32], -v[37:38]
	v_fma_f64 v[31:32], s[18:19], v[31:32], v[39:40]
	s_branch .LBB128_82
.LBB128_95:                             ;   in Loop: Header=BB128_4 Depth=1
                                        ; implicit-def: $vgpr31_vgpr32
                                        ; implicit-def: $vgpr29_vgpr30
	s_and_saveexec_b64 s[10:11], s[12:13]
	s_xor_b64 s[12:13], exec, s[10:11]
	s_cbranch_execz .LBB128_101
; %bb.96:                               ;   in Loop: Header=BB128_4 Depth=1
	v_cmp_neq_f64_e32 vcc, 0, v[21:22]
	v_cmp_neq_f64_e64 s[10:11], 0, v[23:24]
                                        ; implicit-def: $vgpr31_vgpr32
                                        ; implicit-def: $vgpr29_vgpr30
	s_or_b64 s[10:11], s[10:11], vcc
	s_and_saveexec_b64 s[14:15], s[10:11]
	s_xor_b64 s[10:11], exec, s[14:15]
	s_cbranch_execz .LBB128_98
; %bb.97:                               ;   in Loop: Header=BB128_4 Depth=1
	v_div_scale_f64 v[25:26], s[14:15], v[21:22], v[21:22], v[23:24]
	v_rcp_f64_e32 v[27:28], v[25:26]
	v_fma_f64 v[29:30], -v[25:26], v[27:28], 1.0
	v_fma_f64 v[27:28], v[27:28], v[29:30], v[27:28]
	v_div_scale_f64 v[29:30], vcc, v[23:24], v[21:22], v[23:24]
	v_fma_f64 v[31:32], -v[25:26], v[27:28], 1.0
	v_fma_f64 v[27:28], v[27:28], v[31:32], v[27:28]
	v_mul_f64 v[31:32], v[29:30], v[27:28]
	v_fma_f64 v[25:26], -v[25:26], v[31:32], v[29:30]
	v_div_fmas_f64 v[25:26], v[25:26], v[27:28], v[31:32]
	v_div_fixup_f64 v[25:26], v[25:26], v[21:22], v[23:24]
	v_fma_f64 v[21:22], v[23:24], v[25:26], v[21:22]
	v_div_scale_f64 v[23:24], s[14:15], v[21:22], v[21:22], 1.0
	v_rcp_f64_e32 v[27:28], v[23:24]
	v_fma_f64 v[29:30], -v[23:24], v[27:28], 1.0
	v_fma_f64 v[27:28], v[27:28], v[29:30], v[27:28]
	v_div_scale_f64 v[29:30], vcc, 1.0, v[21:22], 1.0
	v_fma_f64 v[31:32], -v[23:24], v[27:28], 1.0
	v_fma_f64 v[27:28], v[27:28], v[31:32], v[27:28]
	v_mul_f64 v[31:32], v[29:30], v[27:28]
	v_fma_f64 v[23:24], -v[23:24], v[31:32], v[29:30]
	v_div_fmas_f64 v[23:24], v[23:24], v[27:28], v[31:32]
	v_fma_f64 v[27:28], v[19:20], v[25:26], v[17:18]
	v_fma_f64 v[17:18], -v[17:18], v[25:26], v[19:20]
                                        ; implicit-def: $vgpr25_vgpr26
	v_div_fixup_f64 v[21:22], v[23:24], v[21:22], 1.0
	v_mul_f64 v[29:30], v[27:28], v[21:22]
	v_mul_f64 v[31:32], v[17:18], v[21:22]
                                        ; implicit-def: $vgpr17_vgpr18
                                        ; implicit-def: $vgpr27_vgpr28
.LBB128_98:                             ;   in Loop: Header=BB128_4 Depth=1
	s_andn2_saveexec_b64 s[14:15], s[10:11]
	s_cbranch_execz .LBB128_100
; %bb.99:                               ;   in Loop: Header=BB128_4 Depth=1
	v_div_scale_f64 v[21:22], s[10:11], v[25:26], v[25:26], v[17:18]
	v_div_scale_f64 v[23:24], s[10:11], v[27:28], v[27:28], v[19:20]
	;; [unrolled: 1-line block ×3, first 2 shown]
	v_rcp_f64_e32 v[29:30], v[21:22]
	v_rcp_f64_e32 v[31:32], v[23:24]
	v_fma_f64 v[37:38], -v[21:22], v[29:30], 1.0
	v_fma_f64 v[39:40], -v[23:24], v[31:32], 1.0
	v_fma_f64 v[29:30], v[29:30], v[37:38], v[29:30]
	v_div_scale_f64 v[37:38], vcc, v[17:18], v[25:26], v[17:18]
	v_fma_f64 v[31:32], v[31:32], v[39:40], v[31:32]
	v_fma_f64 v[39:40], -v[21:22], v[29:30], 1.0
	v_fma_f64 v[47:48], -v[23:24], v[31:32], 1.0
	v_fma_f64 v[29:30], v[29:30], v[39:40], v[29:30]
	v_fma_f64 v[31:32], v[31:32], v[47:48], v[31:32]
	v_mul_f64 v[39:40], v[37:38], v[29:30]
	v_mul_f64 v[47:48], v[45:46], v[31:32]
	v_fma_f64 v[21:22], -v[21:22], v[39:40], v[37:38]
	v_fma_f64 v[23:24], -v[23:24], v[47:48], v[45:46]
	v_div_fmas_f64 v[21:22], v[21:22], v[29:30], v[39:40]
	s_mov_b64 vcc, s[10:11]
	v_div_fmas_f64 v[23:24], v[23:24], v[31:32], v[47:48]
	v_div_fixup_f64 v[29:30], v[21:22], v[25:26], v[17:18]
	v_div_fixup_f64 v[31:32], v[23:24], v[27:28], v[19:20]
.LBB128_100:                            ;   in Loop: Header=BB128_4 Depth=1
	s_or_b64 exec, exec, s[14:15]
                                        ; implicit-def: $vgpr23_vgpr24
                                        ; implicit-def: $vgpr17_vgpr18
.LBB128_101:                            ;   in Loop: Header=BB128_4 Depth=1
	s_andn2_saveexec_b64 s[10:11], s[12:13]
	s_cbranch_execz .LBB128_103
; %bb.102:                              ;   in Loop: Header=BB128_4 Depth=1
	v_div_scale_f64 v[25:26], s[12:13], v[23:24], v[23:24], v[21:22]
	v_rcp_f64_e32 v[27:28], v[25:26]
	v_fma_f64 v[29:30], -v[25:26], v[27:28], 1.0
	v_fma_f64 v[27:28], v[27:28], v[29:30], v[27:28]
	v_div_scale_f64 v[29:30], vcc, v[21:22], v[23:24], v[21:22]
	v_fma_f64 v[31:32], -v[25:26], v[27:28], 1.0
	v_fma_f64 v[27:28], v[27:28], v[31:32], v[27:28]
	v_mul_f64 v[31:32], v[29:30], v[27:28]
	v_fma_f64 v[25:26], -v[25:26], v[31:32], v[29:30]
	v_div_fmas_f64 v[25:26], v[25:26], v[27:28], v[31:32]
	v_div_fixup_f64 v[25:26], v[25:26], v[23:24], v[21:22]
	v_fma_f64 v[21:22], v[21:22], v[25:26], v[23:24]
	v_div_scale_f64 v[23:24], s[12:13], v[21:22], v[21:22], 1.0
	v_rcp_f64_e32 v[27:28], v[23:24]
	v_fma_f64 v[29:30], -v[23:24], v[27:28], 1.0
	v_fma_f64 v[27:28], v[27:28], v[29:30], v[27:28]
	v_div_scale_f64 v[29:30], vcc, 1.0, v[21:22], 1.0
	v_fma_f64 v[31:32], -v[23:24], v[27:28], 1.0
	v_fma_f64 v[27:28], v[27:28], v[31:32], v[27:28]
	v_mul_f64 v[31:32], v[29:30], v[27:28]
	v_fma_f64 v[23:24], -v[23:24], v[31:32], v[29:30]
	v_div_fmas_f64 v[23:24], v[23:24], v[27:28], v[31:32]
	v_fma_f64 v[27:28], v[17:18], v[25:26], v[19:20]
	v_fma_f64 v[17:18], v[19:20], v[25:26], -v[17:18]
	v_div_fixup_f64 v[21:22], v[23:24], v[21:22], 1.0
	v_mul_f64 v[29:30], v[27:28], v[21:22]
	v_mul_f64 v[31:32], v[17:18], v[21:22]
.LBB128_103:                            ;   in Loop: Header=BB128_4 Depth=1
	s_or_b64 exec, exec, s[10:11]
	s_and_saveexec_b64 s[10:11], s[0:1]
	s_xor_b64 s[0:1], exec, s[10:11]
	s_cbranch_execz .LBB128_83
.LBB128_104:                            ;   in Loop: Header=BB128_4 Depth=1
	v_add_f64 v[3:4], v[3:4], v[59:60]
	v_add_f64 v[1:2], v[1:2], v[57:58]
	v_lshlrev_b64 v[17:18], 4, v[49:50]
	v_mov_b32_e32 v19, s36
	v_add_co_u32_e32 v17, vcc, s33, v17
	v_addc_co_u32_e32 v18, vcc, v19, v18, vcc
	global_store_dwordx4 v[17:18], v[1:4], off
	s_or_b64 exec, exec, s[0:1]
	s_and_saveexec_b64 s[0:1], s[2:3]
	s_cbranch_execz .LBB128_84
.LBB128_105:                            ;   in Loop: Header=BB128_4 Depth=1
	v_add_f64 v[3:4], v[7:8], v[43:44]
	v_add_f64 v[1:2], v[5:6], v[41:42]
	v_lshlrev_b64 v[5:6], 4, v[51:52]
	v_mov_b32_e32 v7, s36
	v_add_co_u32_e32 v5, vcc, s33, v5
	v_addc_co_u32_e32 v6, vcc, v7, v6, vcc
	global_store_dwordx4 v[5:6], v[1:4], off
	s_or_b64 exec, exec, s[0:1]
	s_and_saveexec_b64 s[0:1], s[6:7]
	s_cbranch_execz .LBB128_85
.LBB128_106:                            ;   in Loop: Header=BB128_4 Depth=1
	v_add_f64 v[3:4], v[11:12], v[35:36]
	v_add_f64 v[1:2], v[9:10], v[33:34]
	v_lshlrev_b64 v[5:6], 4, v[53:54]
	v_mov_b32_e32 v7, s36
	v_add_co_u32_e32 v5, vcc, s33, v5
	v_addc_co_u32_e32 v6, vcc, v7, v6, vcc
	global_store_dwordx4 v[5:6], v[1:4], off
	s_or_b64 exec, exec, s[0:1]
	s_and_saveexec_b64 s[0:1], s[8:9]
	s_cbranch_execz .LBB128_3
.LBB128_107:                            ;   in Loop: Header=BB128_4 Depth=1
	v_add_f64 v[3:4], v[15:16], v[31:32]
	v_add_f64 v[1:2], v[13:14], v[29:30]
	v_lshlrev_b64 v[5:6], 4, v[55:56]
	v_mov_b32_e32 v7, s36
	v_add_co_u32_e32 v5, vcc, s33, v5
	v_addc_co_u32_e32 v6, vcc, v7, v6, vcc
	global_store_dwordx4 v[5:6], v[1:4], off
	s_branch .LBB128_3
.LBB128_108:
	s_mov_b64 s[0:1], 0
.LBB128_109:
	s_andn2_b64 vcc, exec, s[0:1]
	s_cbranch_vccnz .LBB128_193
; %bb.110:
	v_mov_b32_e32 v1, 0x10000
	v_mov_b32_e32 v2, 0
	v_cmp_lt_i64_e32 vcc, s[20:21], v[1:2]
	v_mov_b32_e32 v2, 0
	s_and_b64 s[0:1], vcc, exec
	s_cselect_b32 s7, s21, 0
	s_cselect_b32 s6, s20, 0x10000
	v_lshlrev_b32_e32 v1, 2, v0
	v_cmp_gt_i64_e32 vcc, s[6:7], v[1:2]
	s_and_saveexec_b64 s[0:1], vcc
	s_cbranch_execz .LBB128_193
; %bb.111:
	s_waitcnt lgkmcnt(0)
	v_cmp_neq_f64_e64 s[0:1], s[16:17], 1.0
	v_cmp_neq_f64_e64 s[2:3], s[18:19], 0
	s_load_dword s4, s[4:5], 0xf54
	v_mov_b32_e32 v1, v2
	s_mov_b64 s[8:9], 0
	v_lshlrev_b32_e32 v60, 6, v0
	s_waitcnt lgkmcnt(0)
	s_and_b32 s20, s4, 0xffff
	s_lshl_b32 s21, s20, 6
	s_or_b64 s[10:11], s[0:1], s[2:3]
	s_branch .LBB128_114
.LBB128_112:                            ;   in Loop: Header=BB128_114 Depth=1
	s_or_b64 exec, exec, s[0:1]
.LBB128_113:                            ;   in Loop: Header=BB128_114 Depth=1
	s_waitcnt vmcnt(0)
	v_add_f64 v[16:17], v[16:17], v[54:55]
	v_add_f64 v[14:15], v[14:15], v[52:53]
	;; [unrolled: 1-line block ×8, first 2 shown]
	v_add_co_u32_e32 v0, vcc, s20, v0
	s_add_u32 s39, s39, s21
	v_addc_co_u32_e32 v1, vcc, 0, v1, vcc
	s_addc_u32 s40, s40, 0
	global_store_dwordx4 v[50:51], v[14:17], off
	global_store_dwordx4 v[50:51], v[10:13], off offset:16
	global_store_dwordx4 v[50:51], v[6:9], off offset:32
	s_add_u32 s33, s33, s21
	v_lshlrev_b64 v[6:7], 2, v[0:1]
	s_addc_u32 s36, s36, 0
	s_add_u32 s37, s37, s21
	v_cmp_le_i64_e32 vcc, s[6:7], v[6:7]
	s_addc_u32 s38, s38, 0
	s_or_b64 s[8:9], vcc, s[8:9]
	global_store_dwordx4 v[50:51], v[2:5], off offset:48
	s_andn2_b64 exec, exec, s[8:9]
	s_cbranch_execz .LBB128_193
.LBB128_114:                            ; =>This Inner Loop Header: Depth=1
	v_mov_b32_e32 v2, s40
	v_add_co_u32_e32 v52, vcc, s39, v60
	v_addc_co_u32_e32 v53, vcc, 0, v2, vcc
	global_load_dwordx4 v[46:49], v[52:53], off
	v_mov_b32_e32 v2, s36
	v_add_co_u32_e32 v50, vcc, s33, v60
	v_addc_co_u32_e32 v51, vcc, 0, v2, vcc
	v_mov_b32_e32 v3, s38
	v_add_co_u32_e32 v54, vcc, s37, v60
	v_addc_co_u32_e32 v55, vcc, 0, v3, vcc
	global_load_dwordx4 v[18:21], v[54:55], off offset:48
	global_load_dwordx4 v[26:29], v[54:55], off offset:32
	;; [unrolled: 1-line block ×3, first 2 shown]
	global_load_dwordx4 v[42:45], v[54:55], off
	global_load_dwordx4 v[38:41], v[52:53], off offset:16
	global_load_dwordx4 v[22:25], v[52:53], off offset:48
	;; [unrolled: 1-line block ×6, first 2 shown]
	global_load_dwordx4 v[14:17], v[50:51], off
	s_mov_b64 s[2:3], -1
                                        ; implicit-def: $vgpr54_vgpr55
	s_waitcnt vmcnt(11)
	v_cmp_gt_f64_e32 vcc, 0, v[46:47]
	v_xor_b32_e32 v52, 0x80000000, v47
	v_xor_b32_e32 v53, 0x80000000, v49
	v_mov_b32_e32 v58, v46
	v_mov_b32_e32 v56, v48
	v_cndmask_b32_e32 v59, v47, v52, vcc
	v_cmp_gt_f64_e32 vcc, 0, v[48:49]
	v_cndmask_b32_e32 v57, v49, v53, vcc
	v_cmp_ge_f64_e64 s[0:1], v[58:59], v[56:57]
	s_and_b64 vcc, exec, s[10:11]
                                        ; implicit-def: $vgpr52_vgpr53
	s_cbranch_vccz .LBB128_124
; %bb.115:                              ;   in Loop: Header=BB128_114 Depth=1
                                        ; implicit-def: $vgpr52_vgpr53
                                        ; implicit-def: $vgpr54_vgpr55
	s_and_saveexec_b64 s[2:3], s[0:1]
	s_xor_b64 s[4:5], exec, s[2:3]
	s_cbranch_execz .LBB128_121
; %bb.116:                              ;   in Loop: Header=BB128_114 Depth=1
	v_cmp_neq_f64_e32 vcc, 0, v[46:47]
	v_cmp_neq_f64_e64 s[2:3], 0, v[48:49]
                                        ; implicit-def: $vgpr52_vgpr53
                                        ; implicit-def: $vgpr54_vgpr55
	s_or_b64 s[2:3], vcc, s[2:3]
	s_and_saveexec_b64 s[12:13], s[2:3]
	s_xor_b64 s[2:3], exec, s[12:13]
	s_cbranch_execz .LBB128_118
; %bb.117:                              ;   in Loop: Header=BB128_114 Depth=1
	v_div_scale_f64 v[52:53], s[12:13], v[46:47], v[46:47], v[48:49]
	v_rcp_f64_e32 v[54:55], v[52:53]
	v_fma_f64 v[61:62], -v[52:53], v[54:55], 1.0
	v_fma_f64 v[54:55], v[54:55], v[61:62], v[54:55]
	v_div_scale_f64 v[61:62], vcc, v[48:49], v[46:47], v[48:49]
	v_fma_f64 v[63:64], -v[52:53], v[54:55], 1.0
	v_fma_f64 v[54:55], v[54:55], v[63:64], v[54:55]
	v_mul_f64 v[63:64], v[61:62], v[54:55]
	v_fma_f64 v[52:53], -v[52:53], v[63:64], v[61:62]
	v_div_fmas_f64 v[52:53], v[52:53], v[54:55], v[63:64]
	v_div_fixup_f64 v[52:53], v[52:53], v[46:47], v[48:49]
	v_fma_f64 v[54:55], v[48:49], v[52:53], v[46:47]
	v_div_scale_f64 v[61:62], s[12:13], v[54:55], v[54:55], 1.0
	v_rcp_f64_e32 v[63:64], v[61:62]
	v_fma_f64 v[65:66], -v[61:62], v[63:64], 1.0
	v_fma_f64 v[63:64], v[63:64], v[65:66], v[63:64]
	v_div_scale_f64 v[65:66], vcc, 1.0, v[54:55], 1.0
	v_fma_f64 v[67:68], -v[61:62], v[63:64], 1.0
	v_fma_f64 v[63:64], v[63:64], v[67:68], v[63:64]
	v_mul_f64 v[67:68], v[65:66], v[63:64]
	v_fma_f64 v[61:62], -v[61:62], v[67:68], v[65:66]
	v_div_fmas_f64 v[61:62], v[61:62], v[63:64], v[67:68]
	s_waitcnt vmcnt(7)
	v_fma_f64 v[63:64], v[44:45], v[52:53], v[42:43]
	v_fma_f64 v[52:53], -v[42:43], v[52:53], v[44:45]
	v_div_fixup_f64 v[61:62], v[61:62], v[54:55], 1.0
	v_mul_f64 v[54:55], v[63:64], v[61:62]
	v_mul_f64 v[52:53], v[52:53], v[61:62]
.LBB128_118:                            ;   in Loop: Header=BB128_114 Depth=1
	s_andn2_saveexec_b64 s[12:13], s[2:3]
	s_cbranch_execz .LBB128_120
; %bb.119:                              ;   in Loop: Header=BB128_114 Depth=1
	s_waitcnt vmcnt(7)
	v_div_scale_f64 v[52:53], s[2:3], v[58:59], v[58:59], v[42:43]
	v_div_scale_f64 v[54:55], s[2:3], v[56:57], v[56:57], v[44:45]
	;; [unrolled: 1-line block ×3, first 2 shown]
	v_rcp_f64_e32 v[61:62], v[52:53]
	v_rcp_f64_e32 v[63:64], v[54:55]
	v_fma_f64 v[65:66], -v[52:53], v[61:62], 1.0
	v_fma_f64 v[67:68], -v[54:55], v[63:64], 1.0
	v_fma_f64 v[61:62], v[61:62], v[65:66], v[61:62]
	v_div_scale_f64 v[65:66], vcc, v[42:43], v[58:59], v[42:43]
	v_fma_f64 v[63:64], v[63:64], v[67:68], v[63:64]
	v_fma_f64 v[67:68], -v[52:53], v[61:62], 1.0
	v_fma_f64 v[71:72], -v[54:55], v[63:64], 1.0
	v_fma_f64 v[61:62], v[61:62], v[67:68], v[61:62]
	v_fma_f64 v[63:64], v[63:64], v[71:72], v[63:64]
	v_mul_f64 v[67:68], v[65:66], v[61:62]
	v_mul_f64 v[71:72], v[69:70], v[63:64]
	v_fma_f64 v[52:53], -v[52:53], v[67:68], v[65:66]
	v_fma_f64 v[54:55], -v[54:55], v[71:72], v[69:70]
	v_div_fmas_f64 v[52:53], v[52:53], v[61:62], v[67:68]
	s_mov_b64 vcc, s[2:3]
	v_div_fmas_f64 v[61:62], v[54:55], v[63:64], v[71:72]
	v_div_fixup_f64 v[54:55], v[52:53], v[58:59], v[42:43]
	v_div_fixup_f64 v[52:53], v[61:62], v[56:57], v[44:45]
.LBB128_120:                            ;   in Loop: Header=BB128_114 Depth=1
	s_or_b64 exec, exec, s[12:13]
.LBB128_121:                            ;   in Loop: Header=BB128_114 Depth=1
	s_andn2_saveexec_b64 s[2:3], s[4:5]
	s_cbranch_execz .LBB128_123
; %bb.122:                              ;   in Loop: Header=BB128_114 Depth=1
	v_div_scale_f64 v[52:53], s[4:5], v[48:49], v[48:49], v[46:47]
	v_rcp_f64_e32 v[54:55], v[52:53]
	v_fma_f64 v[61:62], -v[52:53], v[54:55], 1.0
	v_fma_f64 v[54:55], v[54:55], v[61:62], v[54:55]
	v_div_scale_f64 v[61:62], vcc, v[46:47], v[48:49], v[46:47]
	v_fma_f64 v[63:64], -v[52:53], v[54:55], 1.0
	v_fma_f64 v[54:55], v[54:55], v[63:64], v[54:55]
	v_mul_f64 v[63:64], v[61:62], v[54:55]
	v_fma_f64 v[52:53], -v[52:53], v[63:64], v[61:62]
	v_div_fmas_f64 v[52:53], v[52:53], v[54:55], v[63:64]
	v_div_fixup_f64 v[52:53], v[52:53], v[48:49], v[46:47]
	v_fma_f64 v[54:55], v[46:47], v[52:53], v[48:49]
	v_div_scale_f64 v[61:62], s[4:5], v[54:55], v[54:55], 1.0
	v_rcp_f64_e32 v[63:64], v[61:62]
	v_fma_f64 v[65:66], -v[61:62], v[63:64], 1.0
	v_fma_f64 v[63:64], v[63:64], v[65:66], v[63:64]
	v_div_scale_f64 v[65:66], vcc, 1.0, v[54:55], 1.0
	v_fma_f64 v[67:68], -v[61:62], v[63:64], 1.0
	v_fma_f64 v[63:64], v[63:64], v[67:68], v[63:64]
	v_mul_f64 v[67:68], v[65:66], v[63:64]
	v_fma_f64 v[61:62], -v[61:62], v[67:68], v[65:66]
	v_div_fmas_f64 v[61:62], v[61:62], v[63:64], v[67:68]
	s_waitcnt vmcnt(7)
	v_fma_f64 v[63:64], v[42:43], v[52:53], v[44:45]
	v_fma_f64 v[52:53], v[44:45], v[52:53], -v[42:43]
	v_div_fixup_f64 v[61:62], v[61:62], v[54:55], 1.0
	v_mul_f64 v[54:55], v[63:64], v[61:62]
	v_mul_f64 v[52:53], v[52:53], v[61:62]
.LBB128_123:                            ;   in Loop: Header=BB128_114 Depth=1
	s_or_b64 exec, exec, s[2:3]
	v_mul_f64 v[61:62], s[18:19], v[52:53]
	v_mul_f64 v[63:64], s[16:17], v[52:53]
	s_mov_b64 s[2:3], 0
	v_fma_f64 v[52:53], s[16:17], v[54:55], -v[61:62]
	v_fma_f64 v[54:55], s[18:19], v[54:55], v[63:64]
.LBB128_124:                            ;   in Loop: Header=BB128_114 Depth=1
	s_and_b64 vcc, exec, s[2:3]
	s_cbranch_vccz .LBB128_134
; %bb.125:                              ;   in Loop: Header=BB128_114 Depth=1
                                        ; implicit-def: $vgpr54_vgpr55
                                        ; implicit-def: $vgpr52_vgpr53
	s_and_saveexec_b64 s[2:3], s[0:1]
	s_xor_b64 s[2:3], exec, s[2:3]
	s_cbranch_execz .LBB128_131
; %bb.126:                              ;   in Loop: Header=BB128_114 Depth=1
	v_cmp_neq_f64_e32 vcc, 0, v[46:47]
	v_cmp_neq_f64_e64 s[0:1], 0, v[48:49]
                                        ; implicit-def: $vgpr54_vgpr55
                                        ; implicit-def: $vgpr52_vgpr53
	s_or_b64 s[0:1], vcc, s[0:1]
	s_and_saveexec_b64 s[4:5], s[0:1]
	s_xor_b64 s[0:1], exec, s[4:5]
	s_cbranch_execz .LBB128_128
; %bb.127:                              ;   in Loop: Header=BB128_114 Depth=1
	v_div_scale_f64 v[52:53], s[4:5], v[46:47], v[46:47], v[48:49]
	v_rcp_f64_e32 v[54:55], v[52:53]
	v_fma_f64 v[56:57], -v[52:53], v[54:55], 1.0
	v_fma_f64 v[54:55], v[54:55], v[56:57], v[54:55]
	v_div_scale_f64 v[56:57], vcc, v[48:49], v[46:47], v[48:49]
	v_fma_f64 v[58:59], -v[52:53], v[54:55], 1.0
	v_fma_f64 v[54:55], v[54:55], v[58:59], v[54:55]
	v_mul_f64 v[58:59], v[56:57], v[54:55]
	v_fma_f64 v[52:53], -v[52:53], v[58:59], v[56:57]
	v_div_fmas_f64 v[52:53], v[52:53], v[54:55], v[58:59]
	v_div_fixup_f64 v[52:53], v[52:53], v[46:47], v[48:49]
	v_fma_f64 v[46:47], v[48:49], v[52:53], v[46:47]
	v_div_scale_f64 v[48:49], s[4:5], v[46:47], v[46:47], 1.0
	v_rcp_f64_e32 v[54:55], v[48:49]
	v_fma_f64 v[56:57], -v[48:49], v[54:55], 1.0
	v_fma_f64 v[54:55], v[54:55], v[56:57], v[54:55]
	v_div_scale_f64 v[56:57], vcc, 1.0, v[46:47], 1.0
	v_fma_f64 v[58:59], -v[48:49], v[54:55], 1.0
	v_fma_f64 v[54:55], v[54:55], v[58:59], v[54:55]
	v_mul_f64 v[58:59], v[56:57], v[54:55]
	v_fma_f64 v[48:49], -v[48:49], v[58:59], v[56:57]
                                        ; implicit-def: $vgpr56_vgpr57
	v_div_fmas_f64 v[48:49], v[48:49], v[54:55], v[58:59]
	s_waitcnt vmcnt(7)
	v_fma_f64 v[54:55], v[44:45], v[52:53], v[42:43]
	v_fma_f64 v[42:43], -v[42:43], v[52:53], v[44:45]
                                        ; implicit-def: $vgpr58_vgpr59
	v_div_fixup_f64 v[46:47], v[48:49], v[46:47], 1.0
	v_mul_f64 v[52:53], v[54:55], v[46:47]
	v_mul_f64 v[54:55], v[42:43], v[46:47]
                                        ; implicit-def: $vgpr42_vgpr43
.LBB128_128:                            ;   in Loop: Header=BB128_114 Depth=1
	s_andn2_saveexec_b64 s[0:1], s[0:1]
	s_cbranch_execz .LBB128_130
; %bb.129:                              ;   in Loop: Header=BB128_114 Depth=1
	s_waitcnt vmcnt(7)
	v_div_scale_f64 v[46:47], s[4:5], v[58:59], v[58:59], v[42:43]
	v_rcp_f64_e32 v[48:49], v[46:47]
	v_fma_f64 v[52:53], -v[46:47], v[48:49], 1.0
	v_fma_f64 v[48:49], v[48:49], v[52:53], v[48:49]
	v_fma_f64 v[52:53], -v[46:47], v[48:49], 1.0
	v_fma_f64 v[48:49], v[48:49], v[52:53], v[48:49]
	v_div_scale_f64 v[52:53], vcc, v[42:43], v[58:59], v[42:43]
	v_mul_f64 v[54:55], v[52:53], v[48:49]
	v_fma_f64 v[46:47], -v[46:47], v[54:55], v[52:53]
	s_nop 1
	v_div_fmas_f64 v[46:47], v[46:47], v[48:49], v[54:55]
	v_div_fixup_f64 v[52:53], v[46:47], v[58:59], v[42:43]
	v_div_scale_f64 v[42:43], s[4:5], v[56:57], v[56:57], v[44:45]
	v_rcp_f64_e32 v[46:47], v[42:43]
	v_fma_f64 v[48:49], -v[42:43], v[46:47], 1.0
	v_fma_f64 v[46:47], v[46:47], v[48:49], v[46:47]
	v_fma_f64 v[48:49], -v[42:43], v[46:47], 1.0
	v_fma_f64 v[46:47], v[46:47], v[48:49], v[46:47]
	v_div_scale_f64 v[48:49], vcc, v[44:45], v[56:57], v[44:45]
	v_mul_f64 v[54:55], v[48:49], v[46:47]
	v_fma_f64 v[42:43], -v[42:43], v[54:55], v[48:49]
	s_nop 1
	v_div_fmas_f64 v[42:43], v[42:43], v[46:47], v[54:55]
	v_div_fixup_f64 v[54:55], v[42:43], v[56:57], v[44:45]
.LBB128_130:                            ;   in Loop: Header=BB128_114 Depth=1
	s_or_b64 exec, exec, s[0:1]
                                        ; implicit-def: $vgpr48_vgpr49
                                        ; implicit-def: $vgpr42_vgpr43
.LBB128_131:                            ;   in Loop: Header=BB128_114 Depth=1
	s_andn2_saveexec_b64 s[0:1], s[2:3]
	s_cbranch_execz .LBB128_133
; %bb.132:                              ;   in Loop: Header=BB128_114 Depth=1
	v_div_scale_f64 v[52:53], s[2:3], v[48:49], v[48:49], v[46:47]
	v_rcp_f64_e32 v[54:55], v[52:53]
	v_fma_f64 v[56:57], -v[52:53], v[54:55], 1.0
	v_fma_f64 v[54:55], v[54:55], v[56:57], v[54:55]
	v_div_scale_f64 v[56:57], vcc, v[46:47], v[48:49], v[46:47]
	v_fma_f64 v[58:59], -v[52:53], v[54:55], 1.0
	v_fma_f64 v[54:55], v[54:55], v[58:59], v[54:55]
	v_mul_f64 v[58:59], v[56:57], v[54:55]
	v_fma_f64 v[52:53], -v[52:53], v[58:59], v[56:57]
	v_div_fmas_f64 v[52:53], v[52:53], v[54:55], v[58:59]
	v_div_fixup_f64 v[52:53], v[52:53], v[48:49], v[46:47]
	v_fma_f64 v[46:47], v[46:47], v[52:53], v[48:49]
	v_div_scale_f64 v[48:49], s[2:3], v[46:47], v[46:47], 1.0
	v_rcp_f64_e32 v[54:55], v[48:49]
	v_fma_f64 v[56:57], -v[48:49], v[54:55], 1.0
	v_fma_f64 v[54:55], v[54:55], v[56:57], v[54:55]
	v_div_scale_f64 v[56:57], vcc, 1.0, v[46:47], 1.0
	v_fma_f64 v[58:59], -v[48:49], v[54:55], 1.0
	v_fma_f64 v[54:55], v[54:55], v[58:59], v[54:55]
	v_mul_f64 v[58:59], v[56:57], v[54:55]
	v_fma_f64 v[48:49], -v[48:49], v[58:59], v[56:57]
	v_div_fmas_f64 v[48:49], v[48:49], v[54:55], v[58:59]
	s_waitcnt vmcnt(7)
	v_fma_f64 v[54:55], v[42:43], v[52:53], v[44:45]
	v_fma_f64 v[42:43], v[44:45], v[52:53], -v[42:43]
	v_div_fixup_f64 v[46:47], v[48:49], v[46:47], 1.0
	v_mul_f64 v[52:53], v[54:55], v[46:47]
	v_mul_f64 v[54:55], v[42:43], v[46:47]
.LBB128_133:                            ;   in Loop: Header=BB128_114 Depth=1
	s_or_b64 exec, exec, s[0:1]
.LBB128_134:                            ;   in Loop: Header=BB128_114 Depth=1
	s_waitcnt vmcnt(6)
	v_cmp_gt_f64_e32 vcc, 0, v[38:39]
	v_xor_b32_e32 v42, 0x80000000, v39
	v_mov_b32_e32 v46, v38
	v_mov_b32_e32 v48, v40
	s_mov_b64 s[4:5], -1
                                        ; implicit-def: $vgpr44_vgpr45
	v_cndmask_b32_e32 v47, v39, v42, vcc
	v_cmp_gt_f64_e32 vcc, 0, v[40:41]
	v_xor_b32_e32 v42, 0x80000000, v41
	v_cndmask_b32_e32 v49, v41, v42, vcc
	v_cmp_ge_f64_e64 s[2:3], v[46:47], v[48:49]
	v_cndmask_b32_e64 v42, 0, 1, s[10:11]
	v_cmp_ne_u32_e64 s[0:1], 1, v42
	s_andn2_b64 vcc, exec, s[10:11]
                                        ; implicit-def: $vgpr42_vgpr43
	s_cbranch_vccnz .LBB128_144
; %bb.135:                              ;   in Loop: Header=BB128_114 Depth=1
                                        ; implicit-def: $vgpr42_vgpr43
                                        ; implicit-def: $vgpr44_vgpr45
	s_and_saveexec_b64 s[4:5], s[2:3]
	s_xor_b64 s[12:13], exec, s[4:5]
	s_cbranch_execz .LBB128_141
; %bb.136:                              ;   in Loop: Header=BB128_114 Depth=1
	v_cmp_neq_f64_e32 vcc, 0, v[38:39]
	v_cmp_neq_f64_e64 s[4:5], 0, v[40:41]
                                        ; implicit-def: $vgpr42_vgpr43
                                        ; implicit-def: $vgpr44_vgpr45
	s_or_b64 s[4:5], vcc, s[4:5]
	s_and_saveexec_b64 s[14:15], s[4:5]
	s_xor_b64 s[4:5], exec, s[14:15]
	s_cbranch_execz .LBB128_138
; %bb.137:                              ;   in Loop: Header=BB128_114 Depth=1
	v_div_scale_f64 v[42:43], s[14:15], v[38:39], v[38:39], v[40:41]
	v_rcp_f64_e32 v[44:45], v[42:43]
	v_fma_f64 v[56:57], -v[42:43], v[44:45], 1.0
	v_fma_f64 v[44:45], v[44:45], v[56:57], v[44:45]
	v_div_scale_f64 v[56:57], vcc, v[40:41], v[38:39], v[40:41]
	v_fma_f64 v[58:59], -v[42:43], v[44:45], 1.0
	v_fma_f64 v[44:45], v[44:45], v[58:59], v[44:45]
	v_mul_f64 v[58:59], v[56:57], v[44:45]
	v_fma_f64 v[42:43], -v[42:43], v[58:59], v[56:57]
	v_div_fmas_f64 v[42:43], v[42:43], v[44:45], v[58:59]
	v_div_fixup_f64 v[42:43], v[42:43], v[38:39], v[40:41]
	v_fma_f64 v[44:45], v[40:41], v[42:43], v[38:39]
	v_div_scale_f64 v[56:57], s[14:15], v[44:45], v[44:45], 1.0
	v_rcp_f64_e32 v[58:59], v[56:57]
	v_fma_f64 v[61:62], -v[56:57], v[58:59], 1.0
	v_fma_f64 v[58:59], v[58:59], v[61:62], v[58:59]
	v_div_scale_f64 v[61:62], vcc, 1.0, v[44:45], 1.0
	v_fma_f64 v[63:64], -v[56:57], v[58:59], 1.0
	v_fma_f64 v[58:59], v[58:59], v[63:64], v[58:59]
	v_mul_f64 v[63:64], v[61:62], v[58:59]
	v_fma_f64 v[56:57], -v[56:57], v[63:64], v[61:62]
	v_div_fmas_f64 v[56:57], v[56:57], v[58:59], v[63:64]
	v_fma_f64 v[58:59], v[36:37], v[42:43], v[34:35]
	v_fma_f64 v[42:43], -v[34:35], v[42:43], v[36:37]
	v_div_fixup_f64 v[56:57], v[56:57], v[44:45], 1.0
	v_mul_f64 v[44:45], v[58:59], v[56:57]
	v_mul_f64 v[42:43], v[42:43], v[56:57]
.LBB128_138:                            ;   in Loop: Header=BB128_114 Depth=1
	s_andn2_saveexec_b64 s[14:15], s[4:5]
	s_cbranch_execz .LBB128_140
; %bb.139:                              ;   in Loop: Header=BB128_114 Depth=1
	v_div_scale_f64 v[42:43], s[4:5], v[46:47], v[46:47], v[34:35]
	v_div_scale_f64 v[44:45], s[4:5], v[48:49], v[48:49], v[36:37]
	;; [unrolled: 1-line block ×3, first 2 shown]
	v_rcp_f64_e32 v[56:57], v[42:43]
	v_rcp_f64_e32 v[58:59], v[44:45]
	v_fma_f64 v[61:62], -v[42:43], v[56:57], 1.0
	v_fma_f64 v[63:64], -v[44:45], v[58:59], 1.0
	v_fma_f64 v[56:57], v[56:57], v[61:62], v[56:57]
	v_div_scale_f64 v[61:62], vcc, v[34:35], v[46:47], v[34:35]
	v_fma_f64 v[58:59], v[58:59], v[63:64], v[58:59]
	v_fma_f64 v[63:64], -v[42:43], v[56:57], 1.0
	v_fma_f64 v[67:68], -v[44:45], v[58:59], 1.0
	v_fma_f64 v[56:57], v[56:57], v[63:64], v[56:57]
	v_fma_f64 v[58:59], v[58:59], v[67:68], v[58:59]
	v_mul_f64 v[63:64], v[61:62], v[56:57]
	v_mul_f64 v[67:68], v[65:66], v[58:59]
	v_fma_f64 v[42:43], -v[42:43], v[63:64], v[61:62]
	v_fma_f64 v[44:45], -v[44:45], v[67:68], v[65:66]
	v_div_fmas_f64 v[42:43], v[42:43], v[56:57], v[63:64]
	s_mov_b64 vcc, s[4:5]
	v_div_fmas_f64 v[56:57], v[44:45], v[58:59], v[67:68]
	v_div_fixup_f64 v[44:45], v[42:43], v[46:47], v[34:35]
	v_div_fixup_f64 v[42:43], v[56:57], v[48:49], v[36:37]
.LBB128_140:                            ;   in Loop: Header=BB128_114 Depth=1
	s_or_b64 exec, exec, s[14:15]
.LBB128_141:                            ;   in Loop: Header=BB128_114 Depth=1
	s_andn2_saveexec_b64 s[4:5], s[12:13]
	s_cbranch_execz .LBB128_143
; %bb.142:                              ;   in Loop: Header=BB128_114 Depth=1
	v_div_scale_f64 v[42:43], s[12:13], v[40:41], v[40:41], v[38:39]
	v_rcp_f64_e32 v[44:45], v[42:43]
	v_fma_f64 v[56:57], -v[42:43], v[44:45], 1.0
	v_fma_f64 v[44:45], v[44:45], v[56:57], v[44:45]
	v_div_scale_f64 v[56:57], vcc, v[38:39], v[40:41], v[38:39]
	v_fma_f64 v[58:59], -v[42:43], v[44:45], 1.0
	v_fma_f64 v[44:45], v[44:45], v[58:59], v[44:45]
	v_mul_f64 v[58:59], v[56:57], v[44:45]
	v_fma_f64 v[42:43], -v[42:43], v[58:59], v[56:57]
	v_div_fmas_f64 v[42:43], v[42:43], v[44:45], v[58:59]
	v_div_fixup_f64 v[42:43], v[42:43], v[40:41], v[38:39]
	v_fma_f64 v[44:45], v[38:39], v[42:43], v[40:41]
	v_div_scale_f64 v[56:57], s[12:13], v[44:45], v[44:45], 1.0
	v_rcp_f64_e32 v[58:59], v[56:57]
	v_fma_f64 v[61:62], -v[56:57], v[58:59], 1.0
	v_fma_f64 v[58:59], v[58:59], v[61:62], v[58:59]
	v_div_scale_f64 v[61:62], vcc, 1.0, v[44:45], 1.0
	v_fma_f64 v[63:64], -v[56:57], v[58:59], 1.0
	v_fma_f64 v[58:59], v[58:59], v[63:64], v[58:59]
	v_mul_f64 v[63:64], v[61:62], v[58:59]
	v_fma_f64 v[56:57], -v[56:57], v[63:64], v[61:62]
	v_div_fmas_f64 v[56:57], v[56:57], v[58:59], v[63:64]
	v_fma_f64 v[58:59], v[34:35], v[42:43], v[36:37]
	v_fma_f64 v[42:43], v[36:37], v[42:43], -v[34:35]
	v_div_fixup_f64 v[56:57], v[56:57], v[44:45], 1.0
	v_mul_f64 v[44:45], v[58:59], v[56:57]
	v_mul_f64 v[42:43], v[42:43], v[56:57]
.LBB128_143:                            ;   in Loop: Header=BB128_114 Depth=1
	s_or_b64 exec, exec, s[4:5]
	v_mul_f64 v[56:57], s[18:19], v[42:43]
	v_mul_f64 v[58:59], s[16:17], v[42:43]
	s_mov_b64 s[4:5], 0
	v_fma_f64 v[42:43], s[16:17], v[44:45], -v[56:57]
	v_fma_f64 v[44:45], s[18:19], v[44:45], v[58:59]
.LBB128_144:                            ;   in Loop: Header=BB128_114 Depth=1
	s_and_b64 vcc, exec, s[4:5]
	s_cbranch_vccz .LBB128_154
; %bb.145:                              ;   in Loop: Header=BB128_114 Depth=1
                                        ; implicit-def: $vgpr44_vgpr45
                                        ; implicit-def: $vgpr42_vgpr43
	s_and_saveexec_b64 s[4:5], s[2:3]
	s_xor_b64 s[4:5], exec, s[4:5]
	s_cbranch_execz .LBB128_151
; %bb.146:                              ;   in Loop: Header=BB128_114 Depth=1
	v_cmp_neq_f64_e32 vcc, 0, v[38:39]
	v_cmp_neq_f64_e64 s[2:3], 0, v[40:41]
                                        ; implicit-def: $vgpr44_vgpr45
                                        ; implicit-def: $vgpr42_vgpr43
	s_or_b64 s[2:3], vcc, s[2:3]
	s_and_saveexec_b64 s[12:13], s[2:3]
	s_xor_b64 s[2:3], exec, s[12:13]
	s_cbranch_execz .LBB128_148
; %bb.147:                              ;   in Loop: Header=BB128_114 Depth=1
	v_div_scale_f64 v[42:43], s[12:13], v[38:39], v[38:39], v[40:41]
	v_rcp_f64_e32 v[44:45], v[42:43]
	v_fma_f64 v[46:47], -v[42:43], v[44:45], 1.0
	v_fma_f64 v[44:45], v[44:45], v[46:47], v[44:45]
	v_div_scale_f64 v[46:47], vcc, v[40:41], v[38:39], v[40:41]
	v_fma_f64 v[48:49], -v[42:43], v[44:45], 1.0
	v_fma_f64 v[44:45], v[44:45], v[48:49], v[44:45]
	v_mul_f64 v[48:49], v[46:47], v[44:45]
	v_fma_f64 v[42:43], -v[42:43], v[48:49], v[46:47]
	v_div_fmas_f64 v[42:43], v[42:43], v[44:45], v[48:49]
	v_div_fixup_f64 v[42:43], v[42:43], v[38:39], v[40:41]
	v_fma_f64 v[38:39], v[40:41], v[42:43], v[38:39]
	v_div_scale_f64 v[40:41], s[12:13], v[38:39], v[38:39], 1.0
	v_rcp_f64_e32 v[44:45], v[40:41]
	v_fma_f64 v[46:47], -v[40:41], v[44:45], 1.0
	v_fma_f64 v[44:45], v[44:45], v[46:47], v[44:45]
	v_div_scale_f64 v[46:47], vcc, 1.0, v[38:39], 1.0
	v_fma_f64 v[48:49], -v[40:41], v[44:45], 1.0
	v_fma_f64 v[44:45], v[44:45], v[48:49], v[44:45]
	v_mul_f64 v[48:49], v[46:47], v[44:45]
	v_fma_f64 v[40:41], -v[40:41], v[48:49], v[46:47]
                                        ; implicit-def: $vgpr46_vgpr47
	v_div_fmas_f64 v[40:41], v[40:41], v[44:45], v[48:49]
	v_fma_f64 v[44:45], v[36:37], v[42:43], v[34:35]
	v_fma_f64 v[34:35], -v[34:35], v[42:43], v[36:37]
                                        ; implicit-def: $vgpr48_vgpr49
	v_div_fixup_f64 v[38:39], v[40:41], v[38:39], 1.0
	v_mul_f64 v[42:43], v[44:45], v[38:39]
	v_mul_f64 v[44:45], v[34:35], v[38:39]
                                        ; implicit-def: $vgpr34_vgpr35
.LBB128_148:                            ;   in Loop: Header=BB128_114 Depth=1
	s_andn2_saveexec_b64 s[12:13], s[2:3]
	s_cbranch_execz .LBB128_150
; %bb.149:                              ;   in Loop: Header=BB128_114 Depth=1
	v_div_scale_f64 v[38:39], s[2:3], v[46:47], v[46:47], v[34:35]
	v_div_scale_f64 v[40:41], s[2:3], v[48:49], v[48:49], v[36:37]
	;; [unrolled: 1-line block ×3, first 2 shown]
	v_rcp_f64_e32 v[42:43], v[38:39]
	v_rcp_f64_e32 v[44:45], v[40:41]
	v_fma_f64 v[56:57], -v[38:39], v[42:43], 1.0
	v_fma_f64 v[58:59], -v[40:41], v[44:45], 1.0
	v_fma_f64 v[42:43], v[42:43], v[56:57], v[42:43]
	v_div_scale_f64 v[56:57], vcc, v[34:35], v[46:47], v[34:35]
	v_fma_f64 v[44:45], v[44:45], v[58:59], v[44:45]
	v_fma_f64 v[58:59], -v[38:39], v[42:43], 1.0
	v_fma_f64 v[63:64], -v[40:41], v[44:45], 1.0
	v_fma_f64 v[42:43], v[42:43], v[58:59], v[42:43]
	v_fma_f64 v[44:45], v[44:45], v[63:64], v[44:45]
	v_mul_f64 v[58:59], v[56:57], v[42:43]
	v_mul_f64 v[63:64], v[61:62], v[44:45]
	v_fma_f64 v[38:39], -v[38:39], v[58:59], v[56:57]
	v_fma_f64 v[40:41], -v[40:41], v[63:64], v[61:62]
	v_div_fmas_f64 v[38:39], v[38:39], v[42:43], v[58:59]
	s_mov_b64 vcc, s[2:3]
	v_div_fmas_f64 v[40:41], v[40:41], v[44:45], v[63:64]
	v_div_fixup_f64 v[42:43], v[38:39], v[46:47], v[34:35]
	v_div_fixup_f64 v[44:45], v[40:41], v[48:49], v[36:37]
.LBB128_150:                            ;   in Loop: Header=BB128_114 Depth=1
	s_or_b64 exec, exec, s[12:13]
                                        ; implicit-def: $vgpr40_vgpr41
                                        ; implicit-def: $vgpr34_vgpr35
.LBB128_151:                            ;   in Loop: Header=BB128_114 Depth=1
	s_andn2_saveexec_b64 s[2:3], s[4:5]
	s_cbranch_execz .LBB128_153
; %bb.152:                              ;   in Loop: Header=BB128_114 Depth=1
	v_div_scale_f64 v[42:43], s[4:5], v[40:41], v[40:41], v[38:39]
	v_rcp_f64_e32 v[44:45], v[42:43]
	v_fma_f64 v[46:47], -v[42:43], v[44:45], 1.0
	v_fma_f64 v[44:45], v[44:45], v[46:47], v[44:45]
	v_div_scale_f64 v[46:47], vcc, v[38:39], v[40:41], v[38:39]
	v_fma_f64 v[48:49], -v[42:43], v[44:45], 1.0
	v_fma_f64 v[44:45], v[44:45], v[48:49], v[44:45]
	v_mul_f64 v[48:49], v[46:47], v[44:45]
	v_fma_f64 v[42:43], -v[42:43], v[48:49], v[46:47]
	v_div_fmas_f64 v[42:43], v[42:43], v[44:45], v[48:49]
	v_div_fixup_f64 v[42:43], v[42:43], v[40:41], v[38:39]
	v_fma_f64 v[38:39], v[38:39], v[42:43], v[40:41]
	v_div_scale_f64 v[40:41], s[4:5], v[38:39], v[38:39], 1.0
	v_rcp_f64_e32 v[44:45], v[40:41]
	v_fma_f64 v[46:47], -v[40:41], v[44:45], 1.0
	v_fma_f64 v[44:45], v[44:45], v[46:47], v[44:45]
	v_div_scale_f64 v[46:47], vcc, 1.0, v[38:39], 1.0
	v_fma_f64 v[48:49], -v[40:41], v[44:45], 1.0
	v_fma_f64 v[44:45], v[44:45], v[48:49], v[44:45]
	v_mul_f64 v[48:49], v[46:47], v[44:45]
	v_fma_f64 v[40:41], -v[40:41], v[48:49], v[46:47]
	v_div_fmas_f64 v[40:41], v[40:41], v[44:45], v[48:49]
	v_fma_f64 v[44:45], v[34:35], v[42:43], v[36:37]
	v_fma_f64 v[34:35], v[36:37], v[42:43], -v[34:35]
	v_div_fixup_f64 v[38:39], v[40:41], v[38:39], 1.0
	v_mul_f64 v[42:43], v[44:45], v[38:39]
	v_mul_f64 v[44:45], v[34:35], v[38:39]
.LBB128_153:                            ;   in Loop: Header=BB128_114 Depth=1
	s_or_b64 exec, exec, s[2:3]
.LBB128_154:                            ;   in Loop: Header=BB128_114 Depth=1
	s_waitcnt vmcnt(4)
	v_cmp_gt_f64_e32 vcc, 0, v[30:31]
	v_xor_b32_e32 v34, 0x80000000, v31
	v_mov_b32_e32 v38, v30
	v_mov_b32_e32 v40, v32
	s_mov_b64 s[4:5], -1
                                        ; implicit-def: $vgpr36_vgpr37
	v_cndmask_b32_e32 v39, v31, v34, vcc
	v_cmp_gt_f64_e32 vcc, 0, v[32:33]
	v_xor_b32_e32 v34, 0x80000000, v33
	v_cndmask_b32_e32 v41, v33, v34, vcc
	v_cmp_ge_f64_e64 s[2:3], v[38:39], v[40:41]
	s_and_b64 vcc, exec, s[0:1]
                                        ; implicit-def: $vgpr34_vgpr35
	s_cbranch_vccnz .LBB128_164
; %bb.155:                              ;   in Loop: Header=BB128_114 Depth=1
                                        ; implicit-def: $vgpr34_vgpr35
                                        ; implicit-def: $vgpr36_vgpr37
	s_and_saveexec_b64 s[4:5], s[2:3]
	s_xor_b64 s[12:13], exec, s[4:5]
	s_cbranch_execz .LBB128_161
; %bb.156:                              ;   in Loop: Header=BB128_114 Depth=1
	v_cmp_neq_f64_e32 vcc, 0, v[30:31]
	v_cmp_neq_f64_e64 s[4:5], 0, v[32:33]
                                        ; implicit-def: $vgpr34_vgpr35
                                        ; implicit-def: $vgpr36_vgpr37
	s_or_b64 s[4:5], vcc, s[4:5]
	s_and_saveexec_b64 s[14:15], s[4:5]
	s_xor_b64 s[4:5], exec, s[14:15]
	s_cbranch_execz .LBB128_158
; %bb.157:                              ;   in Loop: Header=BB128_114 Depth=1
	v_div_scale_f64 v[34:35], s[14:15], v[30:31], v[30:31], v[32:33]
	v_rcp_f64_e32 v[36:37], v[34:35]
	v_fma_f64 v[46:47], -v[34:35], v[36:37], 1.0
	v_fma_f64 v[36:37], v[36:37], v[46:47], v[36:37]
	v_div_scale_f64 v[46:47], vcc, v[32:33], v[30:31], v[32:33]
	v_fma_f64 v[48:49], -v[34:35], v[36:37], 1.0
	v_fma_f64 v[36:37], v[36:37], v[48:49], v[36:37]
	v_mul_f64 v[48:49], v[46:47], v[36:37]
	v_fma_f64 v[34:35], -v[34:35], v[48:49], v[46:47]
	v_div_fmas_f64 v[34:35], v[34:35], v[36:37], v[48:49]
	v_div_fixup_f64 v[34:35], v[34:35], v[30:31], v[32:33]
	v_fma_f64 v[36:37], v[32:33], v[34:35], v[30:31]
	v_div_scale_f64 v[46:47], s[14:15], v[36:37], v[36:37], 1.0
	v_rcp_f64_e32 v[48:49], v[46:47]
	v_fma_f64 v[56:57], -v[46:47], v[48:49], 1.0
	v_fma_f64 v[48:49], v[48:49], v[56:57], v[48:49]
	v_div_scale_f64 v[56:57], vcc, 1.0, v[36:37], 1.0
	v_fma_f64 v[58:59], -v[46:47], v[48:49], 1.0
	v_fma_f64 v[48:49], v[48:49], v[58:59], v[48:49]
	v_mul_f64 v[58:59], v[56:57], v[48:49]
	v_fma_f64 v[46:47], -v[46:47], v[58:59], v[56:57]
	v_div_fmas_f64 v[46:47], v[46:47], v[48:49], v[58:59]
	v_fma_f64 v[48:49], v[28:29], v[34:35], v[26:27]
	v_fma_f64 v[34:35], -v[26:27], v[34:35], v[28:29]
	v_div_fixup_f64 v[46:47], v[46:47], v[36:37], 1.0
	v_mul_f64 v[36:37], v[48:49], v[46:47]
	v_mul_f64 v[34:35], v[34:35], v[46:47]
.LBB128_158:                            ;   in Loop: Header=BB128_114 Depth=1
	s_andn2_saveexec_b64 s[14:15], s[4:5]
	s_cbranch_execz .LBB128_160
; %bb.159:                              ;   in Loop: Header=BB128_114 Depth=1
	v_div_scale_f64 v[34:35], s[4:5], v[38:39], v[38:39], v[26:27]
	v_div_scale_f64 v[36:37], s[4:5], v[40:41], v[40:41], v[28:29]
	v_div_scale_f64 v[61:62], s[4:5], v[28:29], v[40:41], v[28:29]
	v_rcp_f64_e32 v[46:47], v[34:35]
	v_rcp_f64_e32 v[48:49], v[36:37]
	v_fma_f64 v[56:57], -v[34:35], v[46:47], 1.0
	v_fma_f64 v[58:59], -v[36:37], v[48:49], 1.0
	v_fma_f64 v[46:47], v[46:47], v[56:57], v[46:47]
	v_div_scale_f64 v[56:57], vcc, v[26:27], v[38:39], v[26:27]
	v_fma_f64 v[48:49], v[48:49], v[58:59], v[48:49]
	v_fma_f64 v[58:59], -v[34:35], v[46:47], 1.0
	v_fma_f64 v[63:64], -v[36:37], v[48:49], 1.0
	v_fma_f64 v[46:47], v[46:47], v[58:59], v[46:47]
	v_fma_f64 v[48:49], v[48:49], v[63:64], v[48:49]
	v_mul_f64 v[58:59], v[56:57], v[46:47]
	v_mul_f64 v[63:64], v[61:62], v[48:49]
	v_fma_f64 v[34:35], -v[34:35], v[58:59], v[56:57]
	v_fma_f64 v[36:37], -v[36:37], v[63:64], v[61:62]
	v_div_fmas_f64 v[34:35], v[34:35], v[46:47], v[58:59]
	s_mov_b64 vcc, s[4:5]
	v_div_fmas_f64 v[46:47], v[36:37], v[48:49], v[63:64]
	v_div_fixup_f64 v[36:37], v[34:35], v[38:39], v[26:27]
	v_div_fixup_f64 v[34:35], v[46:47], v[40:41], v[28:29]
.LBB128_160:                            ;   in Loop: Header=BB128_114 Depth=1
	s_or_b64 exec, exec, s[14:15]
.LBB128_161:                            ;   in Loop: Header=BB128_114 Depth=1
	s_andn2_saveexec_b64 s[4:5], s[12:13]
	s_cbranch_execz .LBB128_163
; %bb.162:                              ;   in Loop: Header=BB128_114 Depth=1
	v_div_scale_f64 v[34:35], s[12:13], v[32:33], v[32:33], v[30:31]
	v_rcp_f64_e32 v[36:37], v[34:35]
	v_fma_f64 v[46:47], -v[34:35], v[36:37], 1.0
	v_fma_f64 v[36:37], v[36:37], v[46:47], v[36:37]
	v_div_scale_f64 v[46:47], vcc, v[30:31], v[32:33], v[30:31]
	v_fma_f64 v[48:49], -v[34:35], v[36:37], 1.0
	v_fma_f64 v[36:37], v[36:37], v[48:49], v[36:37]
	v_mul_f64 v[48:49], v[46:47], v[36:37]
	v_fma_f64 v[34:35], -v[34:35], v[48:49], v[46:47]
	v_div_fmas_f64 v[34:35], v[34:35], v[36:37], v[48:49]
	v_div_fixup_f64 v[34:35], v[34:35], v[32:33], v[30:31]
	v_fma_f64 v[36:37], v[30:31], v[34:35], v[32:33]
	v_div_scale_f64 v[46:47], s[12:13], v[36:37], v[36:37], 1.0
	v_rcp_f64_e32 v[48:49], v[46:47]
	v_fma_f64 v[56:57], -v[46:47], v[48:49], 1.0
	v_fma_f64 v[48:49], v[48:49], v[56:57], v[48:49]
	v_div_scale_f64 v[56:57], vcc, 1.0, v[36:37], 1.0
	v_fma_f64 v[58:59], -v[46:47], v[48:49], 1.0
	v_fma_f64 v[48:49], v[48:49], v[58:59], v[48:49]
	v_mul_f64 v[58:59], v[56:57], v[48:49]
	v_fma_f64 v[46:47], -v[46:47], v[58:59], v[56:57]
	v_div_fmas_f64 v[46:47], v[46:47], v[48:49], v[58:59]
	v_fma_f64 v[48:49], v[26:27], v[34:35], v[28:29]
	v_fma_f64 v[34:35], v[28:29], v[34:35], -v[26:27]
	v_div_fixup_f64 v[46:47], v[46:47], v[36:37], 1.0
	v_mul_f64 v[36:37], v[48:49], v[46:47]
	v_mul_f64 v[34:35], v[34:35], v[46:47]
.LBB128_163:                            ;   in Loop: Header=BB128_114 Depth=1
	s_or_b64 exec, exec, s[4:5]
	v_mul_f64 v[46:47], s[18:19], v[34:35]
	v_mul_f64 v[48:49], s[16:17], v[34:35]
	s_mov_b64 s[4:5], 0
	v_fma_f64 v[34:35], s[16:17], v[36:37], -v[46:47]
	v_fma_f64 v[36:37], s[18:19], v[36:37], v[48:49]
.LBB128_164:                            ;   in Loop: Header=BB128_114 Depth=1
	s_and_b64 vcc, exec, s[4:5]
	s_cbranch_vccz .LBB128_174
; %bb.165:                              ;   in Loop: Header=BB128_114 Depth=1
                                        ; implicit-def: $vgpr36_vgpr37
                                        ; implicit-def: $vgpr34_vgpr35
	s_and_saveexec_b64 s[4:5], s[2:3]
	s_xor_b64 s[4:5], exec, s[4:5]
	s_cbranch_execz .LBB128_171
; %bb.166:                              ;   in Loop: Header=BB128_114 Depth=1
	v_cmp_neq_f64_e32 vcc, 0, v[30:31]
	v_cmp_neq_f64_e64 s[2:3], 0, v[32:33]
                                        ; implicit-def: $vgpr36_vgpr37
                                        ; implicit-def: $vgpr34_vgpr35
	s_or_b64 s[2:3], vcc, s[2:3]
	s_and_saveexec_b64 s[12:13], s[2:3]
	s_xor_b64 s[2:3], exec, s[12:13]
	s_cbranch_execz .LBB128_168
; %bb.167:                              ;   in Loop: Header=BB128_114 Depth=1
	v_div_scale_f64 v[34:35], s[12:13], v[30:31], v[30:31], v[32:33]
	v_rcp_f64_e32 v[36:37], v[34:35]
	v_fma_f64 v[38:39], -v[34:35], v[36:37], 1.0
	v_fma_f64 v[36:37], v[36:37], v[38:39], v[36:37]
	v_div_scale_f64 v[38:39], vcc, v[32:33], v[30:31], v[32:33]
	v_fma_f64 v[40:41], -v[34:35], v[36:37], 1.0
	v_fma_f64 v[36:37], v[36:37], v[40:41], v[36:37]
	v_mul_f64 v[40:41], v[38:39], v[36:37]
	v_fma_f64 v[34:35], -v[34:35], v[40:41], v[38:39]
	v_div_fmas_f64 v[34:35], v[34:35], v[36:37], v[40:41]
	v_div_fixup_f64 v[34:35], v[34:35], v[30:31], v[32:33]
	v_fma_f64 v[30:31], v[32:33], v[34:35], v[30:31]
	v_div_scale_f64 v[32:33], s[12:13], v[30:31], v[30:31], 1.0
	v_rcp_f64_e32 v[36:37], v[32:33]
	v_fma_f64 v[38:39], -v[32:33], v[36:37], 1.0
	v_fma_f64 v[36:37], v[36:37], v[38:39], v[36:37]
	v_div_scale_f64 v[38:39], vcc, 1.0, v[30:31], 1.0
	v_fma_f64 v[40:41], -v[32:33], v[36:37], 1.0
	v_fma_f64 v[36:37], v[36:37], v[40:41], v[36:37]
	v_mul_f64 v[40:41], v[38:39], v[36:37]
	v_fma_f64 v[32:33], -v[32:33], v[40:41], v[38:39]
                                        ; implicit-def: $vgpr38_vgpr39
	v_div_fmas_f64 v[32:33], v[32:33], v[36:37], v[40:41]
	v_fma_f64 v[36:37], v[28:29], v[34:35], v[26:27]
	v_fma_f64 v[26:27], -v[26:27], v[34:35], v[28:29]
                                        ; implicit-def: $vgpr40_vgpr41
	v_div_fixup_f64 v[30:31], v[32:33], v[30:31], 1.0
	v_mul_f64 v[34:35], v[36:37], v[30:31]
	v_mul_f64 v[36:37], v[26:27], v[30:31]
                                        ; implicit-def: $vgpr26_vgpr27
.LBB128_168:                            ;   in Loop: Header=BB128_114 Depth=1
	s_andn2_saveexec_b64 s[12:13], s[2:3]
	s_cbranch_execz .LBB128_170
; %bb.169:                              ;   in Loop: Header=BB128_114 Depth=1
	v_div_scale_f64 v[30:31], s[2:3], v[38:39], v[38:39], v[26:27]
	v_div_scale_f64 v[32:33], s[2:3], v[40:41], v[40:41], v[28:29]
	;; [unrolled: 1-line block ×3, first 2 shown]
	v_rcp_f64_e32 v[34:35], v[30:31]
	v_rcp_f64_e32 v[36:37], v[32:33]
	v_fma_f64 v[46:47], -v[30:31], v[34:35], 1.0
	v_fma_f64 v[48:49], -v[32:33], v[36:37], 1.0
	v_fma_f64 v[34:35], v[34:35], v[46:47], v[34:35]
	v_div_scale_f64 v[46:47], vcc, v[26:27], v[38:39], v[26:27]
	v_fma_f64 v[36:37], v[36:37], v[48:49], v[36:37]
	v_fma_f64 v[48:49], -v[30:31], v[34:35], 1.0
	v_fma_f64 v[58:59], -v[32:33], v[36:37], 1.0
	v_fma_f64 v[34:35], v[34:35], v[48:49], v[34:35]
	v_fma_f64 v[36:37], v[36:37], v[58:59], v[36:37]
	v_mul_f64 v[48:49], v[46:47], v[34:35]
	v_mul_f64 v[58:59], v[56:57], v[36:37]
	v_fma_f64 v[30:31], -v[30:31], v[48:49], v[46:47]
	v_fma_f64 v[32:33], -v[32:33], v[58:59], v[56:57]
	v_div_fmas_f64 v[30:31], v[30:31], v[34:35], v[48:49]
	s_mov_b64 vcc, s[2:3]
	v_div_fmas_f64 v[32:33], v[32:33], v[36:37], v[58:59]
	v_div_fixup_f64 v[34:35], v[30:31], v[38:39], v[26:27]
	v_div_fixup_f64 v[36:37], v[32:33], v[40:41], v[28:29]
.LBB128_170:                            ;   in Loop: Header=BB128_114 Depth=1
	s_or_b64 exec, exec, s[12:13]
                                        ; implicit-def: $vgpr32_vgpr33
                                        ; implicit-def: $vgpr26_vgpr27
.LBB128_171:                            ;   in Loop: Header=BB128_114 Depth=1
	s_andn2_saveexec_b64 s[2:3], s[4:5]
	s_cbranch_execz .LBB128_173
; %bb.172:                              ;   in Loop: Header=BB128_114 Depth=1
	v_div_scale_f64 v[34:35], s[4:5], v[32:33], v[32:33], v[30:31]
	v_rcp_f64_e32 v[36:37], v[34:35]
	v_fma_f64 v[38:39], -v[34:35], v[36:37], 1.0
	v_fma_f64 v[36:37], v[36:37], v[38:39], v[36:37]
	v_div_scale_f64 v[38:39], vcc, v[30:31], v[32:33], v[30:31]
	v_fma_f64 v[40:41], -v[34:35], v[36:37], 1.0
	v_fma_f64 v[36:37], v[36:37], v[40:41], v[36:37]
	v_mul_f64 v[40:41], v[38:39], v[36:37]
	v_fma_f64 v[34:35], -v[34:35], v[40:41], v[38:39]
	v_div_fmas_f64 v[34:35], v[34:35], v[36:37], v[40:41]
	v_div_fixup_f64 v[34:35], v[34:35], v[32:33], v[30:31]
	v_fma_f64 v[30:31], v[30:31], v[34:35], v[32:33]
	v_div_scale_f64 v[32:33], s[4:5], v[30:31], v[30:31], 1.0
	v_rcp_f64_e32 v[36:37], v[32:33]
	v_fma_f64 v[38:39], -v[32:33], v[36:37], 1.0
	v_fma_f64 v[36:37], v[36:37], v[38:39], v[36:37]
	v_div_scale_f64 v[38:39], vcc, 1.0, v[30:31], 1.0
	v_fma_f64 v[40:41], -v[32:33], v[36:37], 1.0
	v_fma_f64 v[36:37], v[36:37], v[40:41], v[36:37]
	v_mul_f64 v[40:41], v[38:39], v[36:37]
	v_fma_f64 v[32:33], -v[32:33], v[40:41], v[38:39]
	v_div_fmas_f64 v[32:33], v[32:33], v[36:37], v[40:41]
	v_fma_f64 v[36:37], v[26:27], v[34:35], v[28:29]
	v_fma_f64 v[26:27], v[28:29], v[34:35], -v[26:27]
	v_div_fixup_f64 v[30:31], v[32:33], v[30:31], 1.0
	v_mul_f64 v[34:35], v[36:37], v[30:31]
	v_mul_f64 v[36:37], v[26:27], v[30:31]
.LBB128_173:                            ;   in Loop: Header=BB128_114 Depth=1
	s_or_b64 exec, exec, s[2:3]
.LBB128_174:                            ;   in Loop: Header=BB128_114 Depth=1
	v_cmp_gt_f64_e32 vcc, 0, v[22:23]
	v_xor_b32_e32 v26, 0x80000000, v23
	v_xor_b32_e32 v28, 0x80000000, v25
                                        ; implicit-def: $vgpr32_vgpr33
                                        ; implicit-def: $vgpr30_vgpr31
	v_cndmask_b32_e32 v27, v23, v26, vcc
	v_cmp_gt_f64_e32 vcc, 0, v[24:25]
	v_mov_b32_e32 v26, v22
	v_cndmask_b32_e32 v29, v25, v28, vcc
	v_mov_b32_e32 v28, v24
	v_cmp_ge_f64_e64 s[2:3], v[26:27], v[28:29]
	s_and_b64 vcc, exec, s[0:1]
	s_mov_b64 s[0:1], -1
	s_cbranch_vccnz .LBB128_184
; %bb.175:                              ;   in Loop: Header=BB128_114 Depth=1
                                        ; implicit-def: $vgpr30_vgpr31
                                        ; implicit-def: $vgpr32_vgpr33
	s_and_saveexec_b64 s[0:1], s[2:3]
	s_xor_b64 s[4:5], exec, s[0:1]
	s_cbranch_execz .LBB128_181
; %bb.176:                              ;   in Loop: Header=BB128_114 Depth=1
	v_cmp_neq_f64_e32 vcc, 0, v[22:23]
	v_cmp_neq_f64_e64 s[0:1], 0, v[24:25]
                                        ; implicit-def: $vgpr30_vgpr31
                                        ; implicit-def: $vgpr32_vgpr33
	s_or_b64 s[0:1], vcc, s[0:1]
	s_and_saveexec_b64 s[12:13], s[0:1]
	s_xor_b64 s[0:1], exec, s[12:13]
	s_cbranch_execz .LBB128_178
; %bb.177:                              ;   in Loop: Header=BB128_114 Depth=1
	v_div_scale_f64 v[30:31], s[12:13], v[22:23], v[22:23], v[24:25]
	v_rcp_f64_e32 v[32:33], v[30:31]
	v_fma_f64 v[38:39], -v[30:31], v[32:33], 1.0
	v_fma_f64 v[32:33], v[32:33], v[38:39], v[32:33]
	v_div_scale_f64 v[38:39], vcc, v[24:25], v[22:23], v[24:25]
	v_fma_f64 v[40:41], -v[30:31], v[32:33], 1.0
	v_fma_f64 v[32:33], v[32:33], v[40:41], v[32:33]
	v_mul_f64 v[40:41], v[38:39], v[32:33]
	v_fma_f64 v[30:31], -v[30:31], v[40:41], v[38:39]
	v_div_fmas_f64 v[30:31], v[30:31], v[32:33], v[40:41]
	v_div_fixup_f64 v[30:31], v[30:31], v[22:23], v[24:25]
	v_fma_f64 v[32:33], v[24:25], v[30:31], v[22:23]
	v_div_scale_f64 v[38:39], s[12:13], v[32:33], v[32:33], 1.0
	v_rcp_f64_e32 v[40:41], v[38:39]
	v_fma_f64 v[46:47], -v[38:39], v[40:41], 1.0
	v_fma_f64 v[40:41], v[40:41], v[46:47], v[40:41]
	v_div_scale_f64 v[46:47], vcc, 1.0, v[32:33], 1.0
	v_fma_f64 v[48:49], -v[38:39], v[40:41], 1.0
	v_fma_f64 v[40:41], v[40:41], v[48:49], v[40:41]
	v_mul_f64 v[48:49], v[46:47], v[40:41]
	v_fma_f64 v[38:39], -v[38:39], v[48:49], v[46:47]
	v_div_fmas_f64 v[38:39], v[38:39], v[40:41], v[48:49]
	v_fma_f64 v[40:41], v[20:21], v[30:31], v[18:19]
	v_fma_f64 v[30:31], -v[18:19], v[30:31], v[20:21]
	v_div_fixup_f64 v[38:39], v[38:39], v[32:33], 1.0
	v_mul_f64 v[32:33], v[40:41], v[38:39]
	v_mul_f64 v[30:31], v[30:31], v[38:39]
.LBB128_178:                            ;   in Loop: Header=BB128_114 Depth=1
	s_andn2_saveexec_b64 s[12:13], s[0:1]
	s_cbranch_execz .LBB128_180
; %bb.179:                              ;   in Loop: Header=BB128_114 Depth=1
	v_div_scale_f64 v[30:31], s[0:1], v[26:27], v[26:27], v[18:19]
	v_div_scale_f64 v[32:33], s[0:1], v[28:29], v[28:29], v[20:21]
	;; [unrolled: 1-line block ×3, first 2 shown]
	v_rcp_f64_e32 v[38:39], v[30:31]
	v_rcp_f64_e32 v[40:41], v[32:33]
	v_fma_f64 v[46:47], -v[30:31], v[38:39], 1.0
	v_fma_f64 v[48:49], -v[32:33], v[40:41], 1.0
	v_fma_f64 v[38:39], v[38:39], v[46:47], v[38:39]
	v_div_scale_f64 v[46:47], vcc, v[18:19], v[26:27], v[18:19]
	v_fma_f64 v[40:41], v[40:41], v[48:49], v[40:41]
	v_fma_f64 v[48:49], -v[30:31], v[38:39], 1.0
	v_fma_f64 v[58:59], -v[32:33], v[40:41], 1.0
	v_fma_f64 v[38:39], v[38:39], v[48:49], v[38:39]
	v_fma_f64 v[40:41], v[40:41], v[58:59], v[40:41]
	v_mul_f64 v[48:49], v[46:47], v[38:39]
	v_mul_f64 v[58:59], v[56:57], v[40:41]
	v_fma_f64 v[30:31], -v[30:31], v[48:49], v[46:47]
	v_fma_f64 v[32:33], -v[32:33], v[58:59], v[56:57]
	v_div_fmas_f64 v[30:31], v[30:31], v[38:39], v[48:49]
	s_mov_b64 vcc, s[0:1]
	v_div_fmas_f64 v[38:39], v[32:33], v[40:41], v[58:59]
	v_div_fixup_f64 v[32:33], v[30:31], v[26:27], v[18:19]
	v_div_fixup_f64 v[30:31], v[38:39], v[28:29], v[20:21]
.LBB128_180:                            ;   in Loop: Header=BB128_114 Depth=1
	s_or_b64 exec, exec, s[12:13]
.LBB128_181:                            ;   in Loop: Header=BB128_114 Depth=1
	s_andn2_saveexec_b64 s[0:1], s[4:5]
	s_cbranch_execz .LBB128_183
; %bb.182:                              ;   in Loop: Header=BB128_114 Depth=1
	v_div_scale_f64 v[30:31], s[4:5], v[24:25], v[24:25], v[22:23]
	v_rcp_f64_e32 v[32:33], v[30:31]
	v_fma_f64 v[38:39], -v[30:31], v[32:33], 1.0
	v_fma_f64 v[32:33], v[32:33], v[38:39], v[32:33]
	v_div_scale_f64 v[38:39], vcc, v[22:23], v[24:25], v[22:23]
	v_fma_f64 v[40:41], -v[30:31], v[32:33], 1.0
	v_fma_f64 v[32:33], v[32:33], v[40:41], v[32:33]
	v_mul_f64 v[40:41], v[38:39], v[32:33]
	v_fma_f64 v[30:31], -v[30:31], v[40:41], v[38:39]
	v_div_fmas_f64 v[30:31], v[30:31], v[32:33], v[40:41]
	v_div_fixup_f64 v[30:31], v[30:31], v[24:25], v[22:23]
	v_fma_f64 v[32:33], v[22:23], v[30:31], v[24:25]
	v_div_scale_f64 v[38:39], s[4:5], v[32:33], v[32:33], 1.0
	v_rcp_f64_e32 v[40:41], v[38:39]
	v_fma_f64 v[46:47], -v[38:39], v[40:41], 1.0
	v_fma_f64 v[40:41], v[40:41], v[46:47], v[40:41]
	v_div_scale_f64 v[46:47], vcc, 1.0, v[32:33], 1.0
	v_fma_f64 v[48:49], -v[38:39], v[40:41], 1.0
	v_fma_f64 v[40:41], v[40:41], v[48:49], v[40:41]
	v_mul_f64 v[48:49], v[46:47], v[40:41]
	v_fma_f64 v[38:39], -v[38:39], v[48:49], v[46:47]
	v_div_fmas_f64 v[38:39], v[38:39], v[40:41], v[48:49]
	v_fma_f64 v[40:41], v[18:19], v[30:31], v[20:21]
	v_fma_f64 v[30:31], v[20:21], v[30:31], -v[18:19]
	v_div_fixup_f64 v[38:39], v[38:39], v[32:33], 1.0
	v_mul_f64 v[32:33], v[40:41], v[38:39]
	v_mul_f64 v[30:31], v[30:31], v[38:39]
.LBB128_183:                            ;   in Loop: Header=BB128_114 Depth=1
	s_or_b64 exec, exec, s[0:1]
	v_mul_f64 v[38:39], s[18:19], v[30:31]
	v_mul_f64 v[40:41], s[16:17], v[30:31]
	s_mov_b64 s[0:1], 0
	v_fma_f64 v[30:31], s[16:17], v[32:33], -v[38:39]
	v_fma_f64 v[32:33], s[18:19], v[32:33], v[40:41]
.LBB128_184:                            ;   in Loop: Header=BB128_114 Depth=1
	s_and_b64 vcc, exec, s[0:1]
	s_cbranch_vccz .LBB128_113
; %bb.185:                              ;   in Loop: Header=BB128_114 Depth=1
                                        ; implicit-def: $vgpr32_vgpr33
                                        ; implicit-def: $vgpr30_vgpr31
	s_and_saveexec_b64 s[0:1], s[2:3]
	s_xor_b64 s[2:3], exec, s[0:1]
	s_cbranch_execz .LBB128_191
; %bb.186:                              ;   in Loop: Header=BB128_114 Depth=1
	v_cmp_neq_f64_e32 vcc, 0, v[22:23]
	v_cmp_neq_f64_e64 s[0:1], 0, v[24:25]
                                        ; implicit-def: $vgpr32_vgpr33
                                        ; implicit-def: $vgpr30_vgpr31
	s_or_b64 s[0:1], vcc, s[0:1]
	s_and_saveexec_b64 s[4:5], s[0:1]
	s_xor_b64 s[0:1], exec, s[4:5]
	s_cbranch_execz .LBB128_188
; %bb.187:                              ;   in Loop: Header=BB128_114 Depth=1
	v_div_scale_f64 v[26:27], s[4:5], v[22:23], v[22:23], v[24:25]
	v_rcp_f64_e32 v[28:29], v[26:27]
	v_fma_f64 v[30:31], -v[26:27], v[28:29], 1.0
	v_fma_f64 v[28:29], v[28:29], v[30:31], v[28:29]
	v_div_scale_f64 v[30:31], vcc, v[24:25], v[22:23], v[24:25]
	v_fma_f64 v[32:33], -v[26:27], v[28:29], 1.0
	v_fma_f64 v[28:29], v[28:29], v[32:33], v[28:29]
	v_mul_f64 v[32:33], v[30:31], v[28:29]
	v_fma_f64 v[26:27], -v[26:27], v[32:33], v[30:31]
	v_div_fmas_f64 v[26:27], v[26:27], v[28:29], v[32:33]
	v_div_fixup_f64 v[26:27], v[26:27], v[22:23], v[24:25]
	v_fma_f64 v[22:23], v[24:25], v[26:27], v[22:23]
	v_div_scale_f64 v[24:25], s[4:5], v[22:23], v[22:23], 1.0
	v_rcp_f64_e32 v[28:29], v[24:25]
	v_fma_f64 v[30:31], -v[24:25], v[28:29], 1.0
	v_fma_f64 v[28:29], v[28:29], v[30:31], v[28:29]
	v_div_scale_f64 v[30:31], vcc, 1.0, v[22:23], 1.0
	v_fma_f64 v[32:33], -v[24:25], v[28:29], 1.0
	v_fma_f64 v[28:29], v[28:29], v[32:33], v[28:29]
	v_mul_f64 v[32:33], v[30:31], v[28:29]
	v_fma_f64 v[24:25], -v[24:25], v[32:33], v[30:31]
	v_div_fmas_f64 v[24:25], v[24:25], v[28:29], v[32:33]
	v_fma_f64 v[28:29], v[20:21], v[26:27], v[18:19]
	v_fma_f64 v[18:19], -v[18:19], v[26:27], v[20:21]
                                        ; implicit-def: $vgpr26_vgpr27
	v_div_fixup_f64 v[22:23], v[24:25], v[22:23], 1.0
	v_mul_f64 v[30:31], v[28:29], v[22:23]
	v_mul_f64 v[32:33], v[18:19], v[22:23]
                                        ; implicit-def: $vgpr18_vgpr19
                                        ; implicit-def: $vgpr28_vgpr29
.LBB128_188:                            ;   in Loop: Header=BB128_114 Depth=1
	s_andn2_saveexec_b64 s[4:5], s[0:1]
	s_cbranch_execz .LBB128_190
; %bb.189:                              ;   in Loop: Header=BB128_114 Depth=1
	v_div_scale_f64 v[22:23], s[0:1], v[26:27], v[26:27], v[18:19]
	v_div_scale_f64 v[24:25], s[0:1], v[28:29], v[28:29], v[20:21]
	;; [unrolled: 1-line block ×3, first 2 shown]
	v_rcp_f64_e32 v[30:31], v[22:23]
	v_rcp_f64_e32 v[32:33], v[24:25]
	v_fma_f64 v[38:39], -v[22:23], v[30:31], 1.0
	v_fma_f64 v[40:41], -v[24:25], v[32:33], 1.0
	v_fma_f64 v[30:31], v[30:31], v[38:39], v[30:31]
	v_div_scale_f64 v[38:39], vcc, v[18:19], v[26:27], v[18:19]
	v_fma_f64 v[32:33], v[32:33], v[40:41], v[32:33]
	v_fma_f64 v[40:41], -v[22:23], v[30:31], 1.0
	v_fma_f64 v[48:49], -v[24:25], v[32:33], 1.0
	v_fma_f64 v[30:31], v[30:31], v[40:41], v[30:31]
	v_fma_f64 v[32:33], v[32:33], v[48:49], v[32:33]
	v_mul_f64 v[40:41], v[38:39], v[30:31]
	v_mul_f64 v[48:49], v[46:47], v[32:33]
	v_fma_f64 v[22:23], -v[22:23], v[40:41], v[38:39]
	v_fma_f64 v[24:25], -v[24:25], v[48:49], v[46:47]
	v_div_fmas_f64 v[22:23], v[22:23], v[30:31], v[40:41]
	s_mov_b64 vcc, s[0:1]
	v_div_fmas_f64 v[24:25], v[24:25], v[32:33], v[48:49]
	v_div_fixup_f64 v[30:31], v[22:23], v[26:27], v[18:19]
	v_div_fixup_f64 v[32:33], v[24:25], v[28:29], v[20:21]
.LBB128_190:                            ;   in Loop: Header=BB128_114 Depth=1
	s_or_b64 exec, exec, s[4:5]
                                        ; implicit-def: $vgpr24_vgpr25
                                        ; implicit-def: $vgpr18_vgpr19
.LBB128_191:                            ;   in Loop: Header=BB128_114 Depth=1
	s_andn2_saveexec_b64 s[0:1], s[2:3]
	s_cbranch_execz .LBB128_112
; %bb.192:                              ;   in Loop: Header=BB128_114 Depth=1
	v_div_scale_f64 v[26:27], s[2:3], v[24:25], v[24:25], v[22:23]
	v_rcp_f64_e32 v[28:29], v[26:27]
	v_fma_f64 v[30:31], -v[26:27], v[28:29], 1.0
	v_fma_f64 v[28:29], v[28:29], v[30:31], v[28:29]
	v_div_scale_f64 v[30:31], vcc, v[22:23], v[24:25], v[22:23]
	v_fma_f64 v[32:33], -v[26:27], v[28:29], 1.0
	v_fma_f64 v[28:29], v[28:29], v[32:33], v[28:29]
	v_mul_f64 v[32:33], v[30:31], v[28:29]
	v_fma_f64 v[26:27], -v[26:27], v[32:33], v[30:31]
	v_div_fmas_f64 v[26:27], v[26:27], v[28:29], v[32:33]
	v_div_fixup_f64 v[26:27], v[26:27], v[24:25], v[22:23]
	v_fma_f64 v[22:23], v[22:23], v[26:27], v[24:25]
	v_div_scale_f64 v[24:25], s[2:3], v[22:23], v[22:23], 1.0
	v_rcp_f64_e32 v[28:29], v[24:25]
	v_fma_f64 v[30:31], -v[24:25], v[28:29], 1.0
	v_fma_f64 v[28:29], v[28:29], v[30:31], v[28:29]
	v_div_scale_f64 v[30:31], vcc, 1.0, v[22:23], 1.0
	v_fma_f64 v[32:33], -v[24:25], v[28:29], 1.0
	v_fma_f64 v[28:29], v[28:29], v[32:33], v[28:29]
	v_mul_f64 v[32:33], v[30:31], v[28:29]
	v_fma_f64 v[24:25], -v[24:25], v[32:33], v[30:31]
	v_div_fmas_f64 v[24:25], v[24:25], v[28:29], v[32:33]
	v_fma_f64 v[28:29], v[18:19], v[26:27], v[20:21]
	v_fma_f64 v[18:19], v[20:21], v[26:27], -v[18:19]
	v_div_fixup_f64 v[22:23], v[24:25], v[22:23], 1.0
	v_mul_f64 v[30:31], v[28:29], v[22:23]
	v_mul_f64 v[32:33], v[18:19], v[22:23]
	s_branch .LBB128_112
.LBB128_193:
	s_endpgm
	.section	.rodata,"a",@progbits
	.p2align	6, 0x0
	.amdhsa_kernel _ZN2at6native12_GLOBAL__N_125multi_tensor_apply_kernelINS1_28TensorListScalarListMetadataIN3c107complexIdEELi3EEENS1_28PointwiseOpScalarListFunctorIS6_Li3ELi3ELi0EEEJSt7dividesIS6_EEEEvT_T0_DpT1_
		.amdhsa_group_segment_fixed_size 0
		.amdhsa_private_segment_fixed_size 0
		.amdhsa_kernarg_size 4168
		.amdhsa_user_sgpr_count 6
		.amdhsa_user_sgpr_private_segment_buffer 1
		.amdhsa_user_sgpr_dispatch_ptr 0
		.amdhsa_user_sgpr_queue_ptr 0
		.amdhsa_user_sgpr_kernarg_segment_ptr 1
		.amdhsa_user_sgpr_dispatch_id 0
		.amdhsa_user_sgpr_flat_scratch_init 0
		.amdhsa_user_sgpr_private_segment_size 0
		.amdhsa_uses_dynamic_stack 0
		.amdhsa_system_sgpr_private_segment_wavefront_offset 0
		.amdhsa_system_sgpr_workgroup_id_x 1
		.amdhsa_system_sgpr_workgroup_id_y 0
		.amdhsa_system_sgpr_workgroup_id_z 0
		.amdhsa_system_sgpr_workgroup_info 0
		.amdhsa_system_vgpr_workitem_id 0
		.amdhsa_next_free_vgpr 77
		.amdhsa_next_free_sgpr 45
		.amdhsa_reserve_vcc 1
		.amdhsa_reserve_flat_scratch 0
		.amdhsa_float_round_mode_32 0
		.amdhsa_float_round_mode_16_64 0
		.amdhsa_float_denorm_mode_32 3
		.amdhsa_float_denorm_mode_16_64 3
		.amdhsa_dx10_clamp 1
		.amdhsa_ieee_mode 1
		.amdhsa_fp16_overflow 0
		.amdhsa_exception_fp_ieee_invalid_op 0
		.amdhsa_exception_fp_denorm_src 0
		.amdhsa_exception_fp_ieee_div_zero 0
		.amdhsa_exception_fp_ieee_overflow 0
		.amdhsa_exception_fp_ieee_underflow 0
		.amdhsa_exception_fp_ieee_inexact 0
		.amdhsa_exception_int_div_zero 0
	.end_amdhsa_kernel
	.section	.text._ZN2at6native12_GLOBAL__N_125multi_tensor_apply_kernelINS1_28TensorListScalarListMetadataIN3c107complexIdEELi3EEENS1_28PointwiseOpScalarListFunctorIS6_Li3ELi3ELi0EEEJSt7dividesIS6_EEEEvT_T0_DpT1_,"axG",@progbits,_ZN2at6native12_GLOBAL__N_125multi_tensor_apply_kernelINS1_28TensorListScalarListMetadataIN3c107complexIdEELi3EEENS1_28PointwiseOpScalarListFunctorIS6_Li3ELi3ELi0EEEJSt7dividesIS6_EEEEvT_T0_DpT1_,comdat
.Lfunc_end128:
	.size	_ZN2at6native12_GLOBAL__N_125multi_tensor_apply_kernelINS1_28TensorListScalarListMetadataIN3c107complexIdEELi3EEENS1_28PointwiseOpScalarListFunctorIS6_Li3ELi3ELi0EEEJSt7dividesIS6_EEEEvT_T0_DpT1_, .Lfunc_end128-_ZN2at6native12_GLOBAL__N_125multi_tensor_apply_kernelINS1_28TensorListScalarListMetadataIN3c107complexIdEELi3EEENS1_28PointwiseOpScalarListFunctorIS6_Li3ELi3ELi0EEEJSt7dividesIS6_EEEEvT_T0_DpT1_
                                        ; -- End function
	.set _ZN2at6native12_GLOBAL__N_125multi_tensor_apply_kernelINS1_28TensorListScalarListMetadataIN3c107complexIdEELi3EEENS1_28PointwiseOpScalarListFunctorIS6_Li3ELi3ELi0EEEJSt7dividesIS6_EEEEvT_T0_DpT1_.num_vgpr, 77
	.set _ZN2at6native12_GLOBAL__N_125multi_tensor_apply_kernelINS1_28TensorListScalarListMetadataIN3c107complexIdEELi3EEENS1_28PointwiseOpScalarListFunctorIS6_Li3ELi3ELi0EEEJSt7dividesIS6_EEEEvT_T0_DpT1_.num_agpr, 0
	.set _ZN2at6native12_GLOBAL__N_125multi_tensor_apply_kernelINS1_28TensorListScalarListMetadataIN3c107complexIdEELi3EEENS1_28PointwiseOpScalarListFunctorIS6_Li3ELi3ELi0EEEJSt7dividesIS6_EEEEvT_T0_DpT1_.numbered_sgpr, 45
	.set _ZN2at6native12_GLOBAL__N_125multi_tensor_apply_kernelINS1_28TensorListScalarListMetadataIN3c107complexIdEELi3EEENS1_28PointwiseOpScalarListFunctorIS6_Li3ELi3ELi0EEEJSt7dividesIS6_EEEEvT_T0_DpT1_.num_named_barrier, 0
	.set _ZN2at6native12_GLOBAL__N_125multi_tensor_apply_kernelINS1_28TensorListScalarListMetadataIN3c107complexIdEELi3EEENS1_28PointwiseOpScalarListFunctorIS6_Li3ELi3ELi0EEEJSt7dividesIS6_EEEEvT_T0_DpT1_.private_seg_size, 0
	.set _ZN2at6native12_GLOBAL__N_125multi_tensor_apply_kernelINS1_28TensorListScalarListMetadataIN3c107complexIdEELi3EEENS1_28PointwiseOpScalarListFunctorIS6_Li3ELi3ELi0EEEJSt7dividesIS6_EEEEvT_T0_DpT1_.uses_vcc, 1
	.set _ZN2at6native12_GLOBAL__N_125multi_tensor_apply_kernelINS1_28TensorListScalarListMetadataIN3c107complexIdEELi3EEENS1_28PointwiseOpScalarListFunctorIS6_Li3ELi3ELi0EEEJSt7dividesIS6_EEEEvT_T0_DpT1_.uses_flat_scratch, 0
	.set _ZN2at6native12_GLOBAL__N_125multi_tensor_apply_kernelINS1_28TensorListScalarListMetadataIN3c107complexIdEELi3EEENS1_28PointwiseOpScalarListFunctorIS6_Li3ELi3ELi0EEEJSt7dividesIS6_EEEEvT_T0_DpT1_.has_dyn_sized_stack, 0
	.set _ZN2at6native12_GLOBAL__N_125multi_tensor_apply_kernelINS1_28TensorListScalarListMetadataIN3c107complexIdEELi3EEENS1_28PointwiseOpScalarListFunctorIS6_Li3ELi3ELi0EEEJSt7dividesIS6_EEEEvT_T0_DpT1_.has_recursion, 0
	.set _ZN2at6native12_GLOBAL__N_125multi_tensor_apply_kernelINS1_28TensorListScalarListMetadataIN3c107complexIdEELi3EEENS1_28PointwiseOpScalarListFunctorIS6_Li3ELi3ELi0EEEJSt7dividesIS6_EEEEvT_T0_DpT1_.has_indirect_call, 0
	.section	.AMDGPU.csdata,"",@progbits
; Kernel info:
; codeLenInByte = 13080
; TotalNumSgprs: 49
; NumVgprs: 77
; ScratchSize: 0
; MemoryBound: 1
; FloatMode: 240
; IeeeMode: 1
; LDSByteSize: 0 bytes/workgroup (compile time only)
; SGPRBlocks: 6
; VGPRBlocks: 19
; NumSGPRsForWavesPerEU: 49
; NumVGPRsForWavesPerEU: 77
; Occupancy: 3
; WaveLimiterHint : 0
; COMPUTE_PGM_RSRC2:SCRATCH_EN: 0
; COMPUTE_PGM_RSRC2:USER_SGPR: 6
; COMPUTE_PGM_RSRC2:TRAP_HANDLER: 0
; COMPUTE_PGM_RSRC2:TGID_X_EN: 1
; COMPUTE_PGM_RSRC2:TGID_Y_EN: 0
; COMPUTE_PGM_RSRC2:TGID_Z_EN: 0
; COMPUTE_PGM_RSRC2:TIDIG_COMP_CNT: 0
	.section	.text._ZN2at6native12_GLOBAL__N_125multi_tensor_apply_kernelINS1_28TensorListScalarListMetadataIN3c107complexIfEELi3EEENS1_28PointwiseOpScalarListFunctorIS6_Li3ELi3ELi0EEEJSt7dividesIS6_EEEEvT_T0_DpT1_,"axG",@progbits,_ZN2at6native12_GLOBAL__N_125multi_tensor_apply_kernelINS1_28TensorListScalarListMetadataIN3c107complexIfEELi3EEENS1_28PointwiseOpScalarListFunctorIS6_Li3ELi3ELi0EEEJSt7dividesIS6_EEEEvT_T0_DpT1_,comdat
	.globl	_ZN2at6native12_GLOBAL__N_125multi_tensor_apply_kernelINS1_28TensorListScalarListMetadataIN3c107complexIfEELi3EEENS1_28PointwiseOpScalarListFunctorIS6_Li3ELi3ELi0EEEJSt7dividesIS6_EEEEvT_T0_DpT1_ ; -- Begin function _ZN2at6native12_GLOBAL__N_125multi_tensor_apply_kernelINS1_28TensorListScalarListMetadataIN3c107complexIfEELi3EEENS1_28PointwiseOpScalarListFunctorIS6_Li3ELi3ELi0EEEJSt7dividesIS6_EEEEvT_T0_DpT1_
	.p2align	8
	.type	_ZN2at6native12_GLOBAL__N_125multi_tensor_apply_kernelINS1_28TensorListScalarListMetadataIN3c107complexIfEELi3EEENS1_28PointwiseOpScalarListFunctorIS6_Li3ELi3ELi0EEEJSt7dividesIS6_EEEEvT_T0_DpT1_,@function
_ZN2at6native12_GLOBAL__N_125multi_tensor_apply_kernelINS1_28TensorListScalarListMetadataIN3c107complexIfEELi3EEENS1_28PointwiseOpScalarListFunctorIS6_Li3ELi3ELi0EEEJSt7dividesIS6_EEEEvT_T0_DpT1_: ; @_ZN2at6native12_GLOBAL__N_125multi_tensor_apply_kernelINS1_28TensorListScalarListMetadataIN3c107complexIfEELi3EEENS1_28PointwiseOpScalarListFunctorIS6_Li3ELi3ELi0EEEJSt7dividesIS6_EEEEvT_T0_DpT1_
; %bb.0:
	v_mov_b32_e32 v1, s6
	global_load_ubyte v1, v1, s[4:5] offset:1920
	s_add_u32 s0, s4, s6
	s_mul_hi_u32 s1, s6, 3
	s_mul_i32 s6, s6, 3
	s_addc_u32 s2, s5, 0
	s_add_u32 s0, s0, s6
	s_addc_u32 s1, s2, s1
	s_load_dword s10, s[0:1], 0x8c0
	s_mov_b32 s9, 0
	s_mov_b32 s13, s9
	s_waitcnt lgkmcnt(0)
	s_ashr_i32 s11, s10, 31
	s_lshl_b64 s[20:21], s[10:11], 19
	s_waitcnt vmcnt(0)
	v_readfirstlane_b32 s0, v1
	s_lshl_b32 s8, s0, 3
	s_load_dwordx2 s[16:17], s[4:5], s8 offset:0x600
	s_load_dwordx2 s[6:7], s[4:5], s8 offset:0x0
	;; [unrolled: 1-line block ×5, first 2 shown]
	s_waitcnt lgkmcnt(0)
	s_add_u32 s33, s6, s20
	s_addc_u32 s36, s7, s21
	s_add_u32 s37, s2, s20
	s_addc_u32 s38, s3, s21
	;; [unrolled: 2-line block ×3, first 2 shown]
	s_or_b32 s12, s39, s37
	s_and_b32 s8, s33, 31
	s_and_b32 s12, s12, 31
	s_cmp_eq_u32 s12, 0
	s_cselect_b64 s[22:23], -1, 0
	s_lshl_b64 s[10:11], s[10:11], 16
	s_sub_u32 s18, s14, s10
	s_subb_u32 s19, s15, s11
	s_and_b32 s12, s14, 3
	s_or_b64 s[8:9], s[8:9], s[12:13]
	s_cmp_eq_u64 s[8:9], 0
	s_cselect_b64 s[8:9], -1, 0
	s_and_b64 s[10:11], s[22:23], s[8:9]
	s_mov_b64 s[8:9], -1
	s_and_b64 vcc, exec, s[10:11]
	s_cbranch_vccnz .LBB129_109
; %bb.1:
	v_cmp_lt_i64_e64 s[8:9], s[18:19], 1
	s_and_b64 vcc, exec, s[8:9]
	s_cbranch_vccnz .LBB129_108
; %bb.2:
	v_mov_b32_e32 v1, 0x10000
	s_load_dword s10, s[4:5], 0xdd4
	v_mov_b32_e32 v2, 0
	v_cmp_lt_i64_e32 vcc, s[18:19], v[1:2]
	v_mov_b32_e32 v3, 0
	s_and_b64 s[8:9], vcc, exec
	s_cselect_b32 s23, s19, 0
	s_cselect_b32 s22, s18, 0x10000
	v_cmp_lt_u64_e32 vcc, s[18:19], v[1:2]
	s_waitcnt lgkmcnt(0)
	s_and_b32 s12, s10, 0xffff
	v_lshlrev_b32_e32 v2, 3, v0
	v_mad_u64_u32 v[3:4], s[10:11], s12, 24, v[2:3]
	s_and_b64 s[8:9], vcc, exec
	v_mov_b32_e32 v7, s7
	v_add_co_u32_e32 v25, vcc, s6, v3
	v_addc_co_u32_e32 v26, vcc, v7, v4, vcc
	v_mov_b32_e32 v7, s3
	v_add_co_u32_e32 v27, vcc, s2, v3
	s_cselect_b32 s25, s19, 0
	s_cselect_b32 s24, s18, 0x10000
	s_lshl_b32 s13, s12, 1
	s_and_b32 s8, s17, 0x7fffffff
	v_addc_co_u32_e32 v28, vcc, v7, v4, vcc
	s_cmp_lg_u32 s8, 0
	v_mov_b32_e32 v7, s1
	v_add_co_u32_e32 v29, vcc, s0, v3
	s_cselect_b64 s[8:9], -1, 0
	v_addc_co_u32_e32 v30, vcc, v7, v4, vcc
	s_lshl_b32 s10, s12, 4
	v_add_co_u32_e32 v3, vcc, s10, v2
	v_addc_co_u32_e64 v4, s[10:11], 0, 0, vcc
	v_mov_b32_e32 v7, s7
	v_add_co_u32_e32 v31, vcc, s6, v3
	v_addc_co_u32_e32 v32, vcc, v7, v4, vcc
	v_mov_b32_e32 v7, s3
	v_add_co_u32_e32 v33, vcc, s2, v3
	v_addc_co_u32_e32 v34, vcc, v7, v4, vcc
	;; [unrolled: 3-line block ×6, first 2 shown]
	v_add_co_u32_e32 v43, vcc, s12, v0
	v_cmp_neq_f32_e64 s[10:11], s16, 1.0
	v_lshlrev_b32_e32 v1, 3, v43
	s_or_b64 s[26:27], s[10:11], s[8:9]
	v_addc_co_u32_e64 v44, s[8:9], 0, 0, vcc
	v_mov_b32_e32 v2, s7
	v_add_co_u32_e32 v45, vcc, s6, v1
	v_addc_co_u32_e32 v46, vcc, 0, v2, vcc
	v_mov_b32_e32 v2, s3
	v_add_co_u32_e32 v47, vcc, s2, v1
	v_addc_co_u32_e32 v48, vcc, 0, v2, vcc
	v_mov_b32_e32 v2, s1
	v_add_co_u32_e32 v49, vcc, s0, v1
	s_mul_i32 s14, s12, 3
	v_addc_co_u32_e32 v50, vcc, 0, v2, vcc
	v_add_co_u32_e32 v51, vcc, s14, v0
	v_addc_co_u32_e64 v52, s[0:1], 0, 0, vcc
	v_add_co_u32_e32 v53, vcc, s13, v0
	s_lshl_b32 s41, s12, 2
	s_lshl_b32 s42, s12, 5
	s_mov_b64 s[28:29], 0
	v_addc_co_u32_e64 v54, s[0:1], 0, 0, vcc
	s_branch .LBB129_4
.LBB129_3:                              ;   in Loop: Header=BB129_4 Depth=1
	s_or_b64 exec, exec, s[0:1]
	v_add_co_u32_e32 v37, vcc, s42, v37
	v_addc_co_u32_e32 v38, vcc, 0, v38, vcc
	v_add_co_u32_e32 v39, vcc, s42, v39
	v_addc_co_u32_e32 v40, vcc, 0, v40, vcc
	;; [unrolled: 2-line block ×10, first 2 shown]
	s_add_u32 s28, s28, s41
	v_add_co_u32_e32 v47, vcc, s42, v47
	v_mov_b32_e32 v1, s22
	s_addc_u32 s29, s29, 0
	v_addc_co_u32_e32 v48, vcc, 0, v48, vcc
	v_mov_b32_e32 v2, s23
	v_cmp_ge_i64_e32 vcc, s[28:29], v[1:2]
	v_add_co_u32_e64 v49, s[0:1], s42, v49
	v_addc_co_u32_e64 v50, s[0:1], 0, v50, s[0:1]
	s_cbranch_vccnz .LBB129_108
.LBB129_4:                              ; =>This Inner Loop Header: Depth=1
	v_mov_b32_e32 v2, s29
	v_add_co_u32_e32 v1, vcc, s28, v0
	v_addc_co_u32_e32 v2, vcc, 0, v2, vcc
	v_cmp_gt_u64_e64 s[0:1], s[24:25], v[1:2]
	v_mov_b32_e32 v22, 0
	v_mov_b32_e32 v21, 0
	;; [unrolled: 1-line block ×4, first 2 shown]
	s_and_saveexec_b64 s[2:3], s[0:1]
	s_cbranch_execz .LBB129_6
; %bb.5:                                ;   in Loop: Header=BB129_4 Depth=1
	v_mov_b32_e32 v4, s21
	v_add_co_u32_e32 v1, vcc, s20, v37
	v_addc_co_u32_e32 v2, vcc, v38, v4, vcc
	v_add_co_u32_e32 v3, vcc, s20, v39
	v_addc_co_u32_e32 v4, vcc, v40, v4, vcc
	global_load_dwordx2 v[1:2], v[1:2], off
	s_nop 0
	global_load_dwordx2 v[21:22], v[3:4], off
.LBB129_6:                              ;   in Loop: Header=BB129_4 Depth=1
	s_or_b64 exec, exec, s[2:3]
	v_mov_b32_e32 v18, 0
	v_mov_b32_e32 v24, 0
	;; [unrolled: 1-line block ×3, first 2 shown]
	s_and_saveexec_b64 s[2:3], s[0:1]
	s_cbranch_execz .LBB129_8
; %bb.7:                                ;   in Loop: Header=BB129_4 Depth=1
	v_mov_b32_e32 v4, s21
	v_add_co_u32_e32 v3, vcc, s20, v41
	v_addc_co_u32_e32 v4, vcc, v42, v4, vcc
	global_load_dwordx2 v[23:24], v[3:4], off
.LBB129_8:                              ;   in Loop: Header=BB129_4 Depth=1
	s_or_b64 exec, exec, s[2:3]
	v_mov_b32_e32 v4, s29
	v_add_co_u32_e32 v3, vcc, s28, v43
	v_addc_co_u32_e32 v4, vcc, v44, v4, vcc
	v_cmp_gt_u64_e64 s[2:3], s[24:25], v[3:4]
	v_mov_b32_e32 v17, 0
	v_mov_b32_e32 v4, 0
	;; [unrolled: 1-line block ×3, first 2 shown]
	s_and_saveexec_b64 s[6:7], s[2:3]
	s_cbranch_execz .LBB129_10
; %bb.9:                                ;   in Loop: Header=BB129_4 Depth=1
	v_mov_b32_e32 v6, s21
	v_add_co_u32_e32 v3, vcc, s20, v45
	v_addc_co_u32_e32 v4, vcc, v46, v6, vcc
	v_add_co_u32_e32 v5, vcc, s20, v47
	v_addc_co_u32_e32 v6, vcc, v48, v6, vcc
	global_load_dwordx2 v[3:4], v[3:4], off
	s_nop 0
	global_load_dwordx2 v[17:18], v[5:6], off
.LBB129_10:                             ;   in Loop: Header=BB129_4 Depth=1
	s_or_b64 exec, exec, s[6:7]
	v_mov_b32_e32 v14, 0
	v_mov_b32_e32 v20, 0
	;; [unrolled: 1-line block ×3, first 2 shown]
	s_and_saveexec_b64 s[6:7], s[2:3]
	s_cbranch_execz .LBB129_12
; %bb.11:                               ;   in Loop: Header=BB129_4 Depth=1
	v_mov_b32_e32 v6, s21
	v_add_co_u32_e32 v5, vcc, s20, v49
	v_addc_co_u32_e32 v6, vcc, v50, v6, vcc
	global_load_dwordx2 v[19:20], v[5:6], off
.LBB129_12:                             ;   in Loop: Header=BB129_4 Depth=1
	s_or_b64 exec, exec, s[6:7]
	v_mov_b32_e32 v6, s29
	v_add_co_u32_e32 v5, vcc, s28, v53
	v_addc_co_u32_e32 v6, vcc, v54, v6, vcc
	v_cmp_gt_u64_e64 s[6:7], s[24:25], v[5:6]
	v_mov_b32_e32 v13, 0
	v_mov_b32_e32 v6, 0
	;; [unrolled: 1-line block ×3, first 2 shown]
	s_and_saveexec_b64 s[8:9], s[6:7]
	s_cbranch_execz .LBB129_14
; %bb.13:                               ;   in Loop: Header=BB129_4 Depth=1
	v_mov_b32_e32 v8, s21
	v_add_co_u32_e32 v5, vcc, s20, v31
	v_addc_co_u32_e32 v6, vcc, v32, v8, vcc
	v_add_co_u32_e32 v7, vcc, s20, v33
	v_addc_co_u32_e32 v8, vcc, v34, v8, vcc
	global_load_dwordx2 v[5:6], v[5:6], off
	s_nop 0
	global_load_dwordx2 v[13:14], v[7:8], off
.LBB129_14:                             ;   in Loop: Header=BB129_4 Depth=1
	s_or_b64 exec, exec, s[8:9]
	v_mov_b32_e32 v10, 0
	v_mov_b32_e32 v16, 0
	v_mov_b32_e32 v15, 0
	s_and_saveexec_b64 s[8:9], s[6:7]
	s_cbranch_execz .LBB129_16
; %bb.15:                               ;   in Loop: Header=BB129_4 Depth=1
	v_mov_b32_e32 v8, s21
	v_add_co_u32_e32 v7, vcc, s20, v35
	v_addc_co_u32_e32 v8, vcc, v36, v8, vcc
	global_load_dwordx2 v[15:16], v[7:8], off
.LBB129_16:                             ;   in Loop: Header=BB129_4 Depth=1
	s_or_b64 exec, exec, s[8:9]
	v_mov_b32_e32 v8, s29
	v_add_co_u32_e32 v7, vcc, s28, v51
	v_addc_co_u32_e32 v8, vcc, v52, v8, vcc
	v_cmp_gt_u64_e64 s[8:9], s[24:25], v[7:8]
	v_mov_b32_e32 v9, 0
	v_mov_b32_e32 v8, 0
	;; [unrolled: 1-line block ×3, first 2 shown]
	s_and_saveexec_b64 s[10:11], s[8:9]
	s_cbranch_execz .LBB129_18
; %bb.17:                               ;   in Loop: Header=BB129_4 Depth=1
	v_mov_b32_e32 v10, s21
	v_add_co_u32_e32 v7, vcc, s20, v25
	v_addc_co_u32_e32 v8, vcc, v26, v10, vcc
	v_add_co_u32_e32 v9, vcc, s20, v27
	v_addc_co_u32_e32 v10, vcc, v28, v10, vcc
	global_load_dwordx2 v[7:8], v[7:8], off
	s_nop 0
	global_load_dwordx2 v[9:10], v[9:10], off
.LBB129_18:                             ;   in Loop: Header=BB129_4 Depth=1
	s_or_b64 exec, exec, s[10:11]
	v_mov_b32_e32 v12, 0
	v_mov_b32_e32 v11, 0
	s_and_saveexec_b64 s[10:11], s[8:9]
	s_cbranch_execz .LBB129_20
; %bb.19:                               ;   in Loop: Header=BB129_4 Depth=1
	v_mov_b32_e32 v12, s21
	v_add_co_u32_e32 v11, vcc, s20, v29
	v_addc_co_u32_e32 v12, vcc, v30, v12, vcc
	global_load_dwordx2 v[11:12], v[11:12], off
.LBB129_20:                             ;   in Loop: Header=BB129_4 Depth=1
	s_or_b64 exec, exec, s[10:11]
	s_waitcnt vmcnt(0)
	v_cmp_gt_f32_e32 vcc, 0, v23
	v_cndmask_b32_e64 v58, v23, -v23, vcc
	v_cmp_gt_f32_e32 vcc, 0, v24
	v_cndmask_b32_e64 v57, v24, -v24, vcc
	v_cmp_ge_f32_e64 s[10:11], v58, v57
	s_mov_b64 s[12:13], -1
	s_and_b64 vcc, exec, s[26:27]
                                        ; implicit-def: $vgpr56
                                        ; implicit-def: $vgpr55
	s_cbranch_vccz .LBB129_30
; %bb.21:                               ;   in Loop: Header=BB129_4 Depth=1
                                        ; implicit-def: $vgpr56
                                        ; implicit-def: $vgpr59
	s_and_saveexec_b64 s[12:13], s[10:11]
	s_xor_b64 s[14:15], exec, s[12:13]
	s_cbranch_execz .LBB129_27
; %bb.22:                               ;   in Loop: Header=BB129_4 Depth=1
	v_cmp_neq_f32_e32 vcc, 0, v23
	v_cmp_neq_f32_e64 s[12:13], 0, v24
	s_or_b64 s[12:13], s[12:13], vcc
                                        ; implicit-def: $vgpr56
                                        ; implicit-def: $vgpr59
	s_and_saveexec_b64 s[30:31], s[12:13]
	s_xor_b64 s[12:13], exec, s[30:31]
	s_cbranch_execz .LBB129_24
; %bb.23:                               ;   in Loop: Header=BB129_4 Depth=1
	v_div_scale_f32 v55, s[30:31], v23, v23, v24
	v_div_scale_f32 v56, vcc, v24, v23, v24
	v_rcp_f32_e32 v59, v55
	v_fma_f32 v60, -v55, v59, 1.0
	v_fmac_f32_e32 v59, v60, v59
	v_mul_f32_e32 v60, v56, v59
	v_fma_f32 v61, -v55, v60, v56
	v_fmac_f32_e32 v60, v61, v59
	v_fma_f32 v55, -v55, v60, v56
	v_div_fmas_f32 v55, v55, v59, v60
	v_div_fixup_f32 v55, v55, v23, v24
	v_fma_f32 v56, v24, v55, v23
	v_div_scale_f32 v59, s[30:31], v56, v56, 1.0
	v_div_scale_f32 v60, vcc, 1.0, v56, 1.0
	v_rcp_f32_e32 v61, v59
	v_fma_f32 v62, -v59, v61, 1.0
	v_fmac_f32_e32 v61, v62, v61
	v_mul_f32_e32 v62, v60, v61
	v_fma_f32 v63, -v59, v62, v60
	v_fmac_f32_e32 v62, v63, v61
	v_fma_f32 v59, -v59, v62, v60
	v_div_fmas_f32 v59, v59, v61, v62
	v_fma_f32 v60, v22, v55, v21
	v_fma_f32 v55, -v21, v55, v22
	v_div_fixup_f32 v56, v59, v56, 1.0
	v_mul_f32_e32 v59, v60, v56
	v_mul_f32_e32 v56, v55, v56
.LBB129_24:                             ;   in Loop: Header=BB129_4 Depth=1
	s_andn2_saveexec_b64 s[12:13], s[12:13]
	s_cbranch_execz .LBB129_26
; %bb.25:                               ;   in Loop: Header=BB129_4 Depth=1
	v_div_scale_f32 v55, s[30:31], v58, v58, v21
	v_rcp_f32_e32 v56, v55
	v_fma_f32 v59, -v55, v56, 1.0
	v_fmac_f32_e32 v56, v59, v56
	v_div_scale_f32 v59, vcc, v21, v58, v21
	v_mul_f32_e32 v60, v59, v56
	v_fma_f32 v61, -v55, v60, v59
	v_fmac_f32_e32 v60, v61, v56
	v_fma_f32 v55, -v55, v60, v59
	v_div_fmas_f32 v55, v55, v56, v60
	v_div_fixup_f32 v59, v55, v58, v21
	v_div_scale_f32 v55, s[30:31], v57, v57, v22
	v_rcp_f32_e32 v56, v55
	v_fma_f32 v60, -v55, v56, 1.0
	v_fmac_f32_e32 v56, v60, v56
	v_div_scale_f32 v60, vcc, v22, v57, v22
	v_mul_f32_e32 v61, v60, v56
	v_fma_f32 v62, -v55, v61, v60
	v_fmac_f32_e32 v61, v62, v56
	v_fma_f32 v55, -v55, v61, v60
	v_div_fmas_f32 v55, v55, v56, v61
	v_div_fixup_f32 v56, v55, v57, v22
.LBB129_26:                             ;   in Loop: Header=BB129_4 Depth=1
	s_or_b64 exec, exec, s[12:13]
.LBB129_27:                             ;   in Loop: Header=BB129_4 Depth=1
	s_andn2_saveexec_b64 s[12:13], s[14:15]
	s_cbranch_execz .LBB129_29
; %bb.28:                               ;   in Loop: Header=BB129_4 Depth=1
	v_div_scale_f32 v55, s[14:15], v24, v24, v23
	v_div_scale_f32 v56, vcc, v23, v24, v23
	v_rcp_f32_e32 v59, v55
	v_fma_f32 v60, -v55, v59, 1.0
	v_fmac_f32_e32 v59, v60, v59
	v_mul_f32_e32 v60, v56, v59
	v_fma_f32 v61, -v55, v60, v56
	v_fmac_f32_e32 v60, v61, v59
	v_fma_f32 v55, -v55, v60, v56
	v_div_fmas_f32 v55, v55, v59, v60
	v_div_fixup_f32 v55, v55, v24, v23
	v_fma_f32 v56, v23, v55, v24
	v_div_scale_f32 v59, s[14:15], v56, v56, 1.0
	v_div_scale_f32 v60, vcc, 1.0, v56, 1.0
	v_rcp_f32_e32 v61, v59
	v_fma_f32 v62, -v59, v61, 1.0
	v_fmac_f32_e32 v61, v62, v61
	v_mul_f32_e32 v62, v60, v61
	v_fma_f32 v63, -v59, v62, v60
	v_fmac_f32_e32 v62, v63, v61
	v_fma_f32 v59, -v59, v62, v60
	v_div_fmas_f32 v59, v59, v61, v62
	v_fma_f32 v60, v21, v55, v22
	v_fma_f32 v55, v22, v55, -v21
	v_div_fixup_f32 v56, v59, v56, 1.0
	v_mul_f32_e32 v59, v60, v56
	v_mul_f32_e32 v56, v55, v56
.LBB129_29:                             ;   in Loop: Header=BB129_4 Depth=1
	s_or_b64 exec, exec, s[12:13]
	v_mul_f32_e32 v55, s17, v56
	v_mul_f32_e32 v56, s16, v56
	v_fma_f32 v55, v59, s16, -v55
	v_fmac_f32_e32 v56, s17, v59
	s_mov_b64 s[12:13], 0
.LBB129_30:                             ;   in Loop: Header=BB129_4 Depth=1
	s_and_b64 vcc, exec, s[12:13]
	s_cbranch_vccz .LBB129_40
; %bb.31:                               ;   in Loop: Header=BB129_4 Depth=1
                                        ; implicit-def: $vgpr56
                                        ; implicit-def: $vgpr55
	s_and_saveexec_b64 s[12:13], s[10:11]
	s_xor_b64 s[12:13], exec, s[12:13]
	s_cbranch_execz .LBB129_37
; %bb.32:                               ;   in Loop: Header=BB129_4 Depth=1
	v_cmp_neq_f32_e32 vcc, 0, v23
	v_cmp_neq_f32_e64 s[10:11], 0, v24
	s_or_b64 s[10:11], s[10:11], vcc
                                        ; implicit-def: $vgpr56
                                        ; implicit-def: $vgpr55
	s_and_saveexec_b64 s[14:15], s[10:11]
	s_xor_b64 s[10:11], exec, s[14:15]
	s_cbranch_execz .LBB129_34
; %bb.33:                               ;   in Loop: Header=BB129_4 Depth=1
	v_div_scale_f32 v55, s[14:15], v23, v23, v24
	v_div_scale_f32 v56, vcc, v24, v23, v24
	v_rcp_f32_e32 v57, v55
	v_fma_f32 v58, -v55, v57, 1.0
	v_fmac_f32_e32 v57, v58, v57
	v_mul_f32_e32 v58, v56, v57
	v_fma_f32 v59, -v55, v58, v56
	v_fmac_f32_e32 v58, v59, v57
	v_fma_f32 v55, -v55, v58, v56
	v_div_fmas_f32 v55, v55, v57, v58
	v_div_fixup_f32 v55, v55, v23, v24
	v_fmac_f32_e32 v23, v24, v55
	v_div_scale_f32 v24, s[14:15], v23, v23, 1.0
	v_div_scale_f32 v56, vcc, 1.0, v23, 1.0
	v_rcp_f32_e32 v57, v24
	v_fma_f32 v58, -v24, v57, 1.0
	v_fmac_f32_e32 v57, v58, v57
	v_mul_f32_e32 v58, v56, v57
	v_fma_f32 v59, -v24, v58, v56
	v_fmac_f32_e32 v58, v59, v57
	v_fma_f32 v24, -v24, v58, v56
	v_div_fmas_f32 v24, v24, v57, v58
	v_fma_f32 v56, v22, v55, v21
	v_fma_f32 v21, -v21, v55, v22
                                        ; implicit-def: $vgpr58
                                        ; implicit-def: $vgpr57
	v_div_fixup_f32 v22, v24, v23, 1.0
	v_mul_f32_e32 v55, v56, v22
	v_mul_f32_e32 v56, v21, v22
                                        ; implicit-def: $vgpr21
.LBB129_34:                             ;   in Loop: Header=BB129_4 Depth=1
	s_andn2_saveexec_b64 s[10:11], s[10:11]
	s_cbranch_execz .LBB129_36
; %bb.35:                               ;   in Loop: Header=BB129_4 Depth=1
	v_div_scale_f32 v23, s[14:15], v58, v58, v21
	v_rcp_f32_e32 v24, v23
	v_fma_f32 v55, -v23, v24, 1.0
	v_fmac_f32_e32 v24, v55, v24
	v_div_scale_f32 v55, vcc, v21, v58, v21
	v_mul_f32_e32 v56, v55, v24
	v_fma_f32 v59, -v23, v56, v55
	v_fmac_f32_e32 v56, v59, v24
	v_fma_f32 v23, -v23, v56, v55
	v_div_fmas_f32 v23, v23, v24, v56
	v_div_fixup_f32 v55, v23, v58, v21
	v_div_scale_f32 v21, s[14:15], v57, v57, v22
	v_rcp_f32_e32 v23, v21
	v_fma_f32 v24, -v21, v23, 1.0
	v_fmac_f32_e32 v23, v24, v23
	v_div_scale_f32 v24, vcc, v22, v57, v22
	v_mul_f32_e32 v56, v24, v23
	v_fma_f32 v58, -v21, v56, v24
	v_fmac_f32_e32 v56, v58, v23
	v_fma_f32 v21, -v21, v56, v24
	v_div_fmas_f32 v21, v21, v23, v56
	v_div_fixup_f32 v56, v21, v57, v22
.LBB129_36:                             ;   in Loop: Header=BB129_4 Depth=1
	s_or_b64 exec, exec, s[10:11]
                                        ; implicit-def: $vgpr24
                                        ; implicit-def: $vgpr21
.LBB129_37:                             ;   in Loop: Header=BB129_4 Depth=1
	s_andn2_saveexec_b64 s[10:11], s[12:13]
	s_cbranch_execz .LBB129_39
; %bb.38:                               ;   in Loop: Header=BB129_4 Depth=1
	v_div_scale_f32 v55, s[12:13], v24, v24, v23
	v_div_scale_f32 v56, vcc, v23, v24, v23
	v_rcp_f32_e32 v57, v55
	v_fma_f32 v58, -v55, v57, 1.0
	v_fmac_f32_e32 v57, v58, v57
	v_mul_f32_e32 v58, v56, v57
	v_fma_f32 v59, -v55, v58, v56
	v_fmac_f32_e32 v58, v59, v57
	v_fma_f32 v55, -v55, v58, v56
	v_div_fmas_f32 v55, v55, v57, v58
	v_div_fixup_f32 v55, v55, v24, v23
	v_fmac_f32_e32 v24, v23, v55
	v_div_scale_f32 v23, s[12:13], v24, v24, 1.0
	v_div_scale_f32 v56, vcc, 1.0, v24, 1.0
	v_rcp_f32_e32 v57, v23
	v_fma_f32 v58, -v23, v57, 1.0
	v_fmac_f32_e32 v57, v58, v57
	v_mul_f32_e32 v58, v56, v57
	v_fma_f32 v59, -v23, v58, v56
	v_fmac_f32_e32 v58, v59, v57
	v_fma_f32 v23, -v23, v58, v56
	v_div_fmas_f32 v23, v23, v57, v58
	v_fma_f32 v56, v21, v55, v22
	v_fma_f32 v21, v22, v55, -v21
	v_div_fixup_f32 v22, v23, v24, 1.0
	v_mul_f32_e32 v55, v56, v22
	v_mul_f32_e32 v56, v21, v22
.LBB129_39:                             ;   in Loop: Header=BB129_4 Depth=1
	s_or_b64 exec, exec, s[10:11]
.LBB129_40:                             ;   in Loop: Header=BB129_4 Depth=1
	v_cmp_gt_f32_e32 vcc, 0, v19
	v_cndmask_b32_e64 v23, v19, -v19, vcc
	v_cmp_gt_f32_e32 vcc, 0, v20
	v_cndmask_b32_e64 v24, v20, -v20, vcc
	v_cndmask_b32_e64 v21, 0, 1, s[26:27]
	v_cmp_ge_f32_e64 s[12:13], v23, v24
	v_cmp_ne_u32_e64 s[10:11], 1, v21
	s_andn2_b64 vcc, exec, s[26:27]
	s_mov_b64 s[14:15], -1
                                        ; implicit-def: $vgpr21
                                        ; implicit-def: $vgpr22
	s_cbranch_vccnz .LBB129_50
; %bb.41:                               ;   in Loop: Header=BB129_4 Depth=1
                                        ; implicit-def: $vgpr21
                                        ; implicit-def: $vgpr57
	s_and_saveexec_b64 s[14:15], s[12:13]
	s_xor_b64 s[30:31], exec, s[14:15]
	s_cbranch_execz .LBB129_47
; %bb.42:                               ;   in Loop: Header=BB129_4 Depth=1
	v_cmp_neq_f32_e32 vcc, 0, v19
	v_cmp_neq_f32_e64 s[14:15], 0, v20
	s_or_b64 s[14:15], s[14:15], vcc
                                        ; implicit-def: $vgpr21
                                        ; implicit-def: $vgpr57
	s_and_saveexec_b64 s[34:35], s[14:15]
	s_xor_b64 s[14:15], exec, s[34:35]
	s_cbranch_execz .LBB129_44
; %bb.43:                               ;   in Loop: Header=BB129_4 Depth=1
	v_div_scale_f32 v21, s[34:35], v19, v19, v20
	v_div_scale_f32 v22, vcc, v20, v19, v20
	v_rcp_f32_e32 v57, v21
	v_fma_f32 v58, -v21, v57, 1.0
	v_fmac_f32_e32 v57, v58, v57
	v_mul_f32_e32 v58, v22, v57
	v_fma_f32 v59, -v21, v58, v22
	v_fmac_f32_e32 v58, v59, v57
	v_fma_f32 v21, -v21, v58, v22
	v_div_fmas_f32 v21, v21, v57, v58
	v_div_fixup_f32 v21, v21, v19, v20
	v_fma_f32 v22, v20, v21, v19
	v_div_scale_f32 v57, s[34:35], v22, v22, 1.0
	v_div_scale_f32 v58, vcc, 1.0, v22, 1.0
	v_rcp_f32_e32 v59, v57
	v_fma_f32 v60, -v57, v59, 1.0
	v_fmac_f32_e32 v59, v60, v59
	v_mul_f32_e32 v60, v58, v59
	v_fma_f32 v61, -v57, v60, v58
	v_fmac_f32_e32 v60, v61, v59
	v_fma_f32 v57, -v57, v60, v58
	v_div_fmas_f32 v57, v57, v59, v60
	v_fma_f32 v58, v18, v21, v17
	v_fma_f32 v21, -v17, v21, v18
	v_div_fixup_f32 v22, v57, v22, 1.0
	v_mul_f32_e32 v57, v58, v22
	v_mul_f32_e32 v21, v21, v22
.LBB129_44:                             ;   in Loop: Header=BB129_4 Depth=1
	s_andn2_saveexec_b64 s[14:15], s[14:15]
	s_cbranch_execz .LBB129_46
; %bb.45:                               ;   in Loop: Header=BB129_4 Depth=1
	v_div_scale_f32 v21, s[34:35], v23, v23, v17
	v_rcp_f32_e32 v22, v21
	v_fma_f32 v57, -v21, v22, 1.0
	v_fmac_f32_e32 v22, v57, v22
	v_div_scale_f32 v57, vcc, v17, v23, v17
	v_mul_f32_e32 v58, v57, v22
	v_fma_f32 v59, -v21, v58, v57
	v_fmac_f32_e32 v58, v59, v22
	v_fma_f32 v21, -v21, v58, v57
	v_div_fmas_f32 v21, v21, v22, v58
	v_div_fixup_f32 v57, v21, v23, v17
	v_div_scale_f32 v21, s[34:35], v24, v24, v18
	v_rcp_f32_e32 v22, v21
	v_fma_f32 v58, -v21, v22, 1.0
	v_fmac_f32_e32 v22, v58, v22
	v_div_scale_f32 v58, vcc, v18, v24, v18
	v_mul_f32_e32 v59, v58, v22
	v_fma_f32 v60, -v21, v59, v58
	v_fmac_f32_e32 v59, v60, v22
	v_fma_f32 v21, -v21, v59, v58
	v_div_fmas_f32 v21, v21, v22, v59
	v_div_fixup_f32 v21, v21, v24, v18
.LBB129_46:                             ;   in Loop: Header=BB129_4 Depth=1
	s_or_b64 exec, exec, s[14:15]
.LBB129_47:                             ;   in Loop: Header=BB129_4 Depth=1
	s_andn2_saveexec_b64 s[14:15], s[30:31]
	s_cbranch_execz .LBB129_49
; %bb.48:                               ;   in Loop: Header=BB129_4 Depth=1
	v_div_scale_f32 v21, s[30:31], v20, v20, v19
	v_div_scale_f32 v22, vcc, v19, v20, v19
	v_rcp_f32_e32 v57, v21
	v_fma_f32 v58, -v21, v57, 1.0
	v_fmac_f32_e32 v57, v58, v57
	v_mul_f32_e32 v58, v22, v57
	v_fma_f32 v59, -v21, v58, v22
	v_fmac_f32_e32 v58, v59, v57
	v_fma_f32 v21, -v21, v58, v22
	v_div_fmas_f32 v21, v21, v57, v58
	v_div_fixup_f32 v21, v21, v20, v19
	v_fma_f32 v22, v19, v21, v20
	v_div_scale_f32 v57, s[30:31], v22, v22, 1.0
	v_div_scale_f32 v58, vcc, 1.0, v22, 1.0
	v_rcp_f32_e32 v59, v57
	v_fma_f32 v60, -v57, v59, 1.0
	v_fmac_f32_e32 v59, v60, v59
	v_mul_f32_e32 v60, v58, v59
	v_fma_f32 v61, -v57, v60, v58
	v_fmac_f32_e32 v60, v61, v59
	v_fma_f32 v57, -v57, v60, v58
	v_div_fmas_f32 v57, v57, v59, v60
	v_fma_f32 v58, v17, v21, v18
	v_fma_f32 v21, v18, v21, -v17
	v_div_fixup_f32 v22, v57, v22, 1.0
	v_mul_f32_e32 v57, v58, v22
	v_mul_f32_e32 v21, v21, v22
.LBB129_49:                             ;   in Loop: Header=BB129_4 Depth=1
	s_or_b64 exec, exec, s[14:15]
	v_mul_f32_e32 v22, s17, v21
	v_mul_f32_e32 v21, s16, v21
	v_fma_f32 v22, v57, s16, -v22
	v_fmac_f32_e32 v21, s17, v57
	s_mov_b64 s[14:15], 0
.LBB129_50:                             ;   in Loop: Header=BB129_4 Depth=1
	s_and_b64 vcc, exec, s[14:15]
	s_cbranch_vccz .LBB129_60
; %bb.51:                               ;   in Loop: Header=BB129_4 Depth=1
                                        ; implicit-def: $vgpr21
                                        ; implicit-def: $vgpr22
	s_and_saveexec_b64 s[14:15], s[12:13]
	s_xor_b64 s[14:15], exec, s[14:15]
	s_cbranch_execz .LBB129_57
; %bb.52:                               ;   in Loop: Header=BB129_4 Depth=1
	v_cmp_neq_f32_e32 vcc, 0, v19
	v_cmp_neq_f32_e64 s[12:13], 0, v20
	s_or_b64 s[12:13], s[12:13], vcc
                                        ; implicit-def: $vgpr21
                                        ; implicit-def: $vgpr22
	s_and_saveexec_b64 s[30:31], s[12:13]
	s_xor_b64 s[12:13], exec, s[30:31]
	s_cbranch_execz .LBB129_54
; %bb.53:                               ;   in Loop: Header=BB129_4 Depth=1
	v_div_scale_f32 v21, s[30:31], v19, v19, v20
	v_div_scale_f32 v22, vcc, v20, v19, v20
	v_rcp_f32_e32 v23, v21
	v_fma_f32 v24, -v21, v23, 1.0
	v_fmac_f32_e32 v23, v24, v23
	v_mul_f32_e32 v24, v22, v23
	v_fma_f32 v57, -v21, v24, v22
	v_fmac_f32_e32 v24, v57, v23
	v_fma_f32 v21, -v21, v24, v22
	v_div_fmas_f32 v21, v21, v23, v24
	v_div_fixup_f32 v21, v21, v19, v20
	v_fmac_f32_e32 v19, v20, v21
	v_div_scale_f32 v20, s[30:31], v19, v19, 1.0
	v_div_scale_f32 v22, vcc, 1.0, v19, 1.0
	v_rcp_f32_e32 v23, v20
	v_fma_f32 v24, -v20, v23, 1.0
	v_fmac_f32_e32 v23, v24, v23
	v_mul_f32_e32 v24, v22, v23
	v_fma_f32 v57, -v20, v24, v22
	v_fmac_f32_e32 v24, v57, v23
	v_fma_f32 v20, -v20, v24, v22
	v_div_fmas_f32 v20, v20, v23, v24
	v_fma_f32 v22, v18, v21, v17
	v_fma_f32 v17, -v17, v21, v18
                                        ; implicit-def: $vgpr23
                                        ; implicit-def: $vgpr24
	v_div_fixup_f32 v18, v20, v19, 1.0
	v_mul_f32_e32 v22, v22, v18
	v_mul_f32_e32 v21, v17, v18
                                        ; implicit-def: $vgpr17
.LBB129_54:                             ;   in Loop: Header=BB129_4 Depth=1
	s_andn2_saveexec_b64 s[30:31], s[12:13]
	s_cbranch_execz .LBB129_56
; %bb.55:                               ;   in Loop: Header=BB129_4 Depth=1
	v_div_scale_f32 v19, s[12:13], v23, v23, v17
	v_div_scale_f32 v20, s[12:13], v24, v24, v18
	v_div_scale_f32 v21, vcc, v17, v23, v17
	v_div_scale_f32 v22, s[12:13], v18, v24, v18
	v_rcp_f32_e32 v57, v19
	v_rcp_f32_e32 v58, v20
	v_fma_f32 v59, -v19, v57, 1.0
	v_fmac_f32_e32 v57, v59, v57
	v_fma_f32 v60, -v20, v58, 1.0
	v_fmac_f32_e32 v58, v60, v58
	v_mul_f32_e32 v59, v21, v57
	v_mul_f32_e32 v60, v22, v58
	v_fma_f32 v61, -v19, v59, v21
	v_fma_f32 v62, -v20, v60, v22
	v_fmac_f32_e32 v59, v61, v57
	v_fmac_f32_e32 v60, v62, v58
	v_fma_f32 v19, -v19, v59, v21
	v_fma_f32 v20, -v20, v60, v22
	v_div_fmas_f32 v19, v19, v57, v59
	s_mov_b64 vcc, s[12:13]
	v_div_fmas_f32 v20, v20, v58, v60
	v_div_fixup_f32 v22, v19, v23, v17
	v_div_fixup_f32 v21, v20, v24, v18
.LBB129_56:                             ;   in Loop: Header=BB129_4 Depth=1
	s_or_b64 exec, exec, s[30:31]
                                        ; implicit-def: $vgpr20
                                        ; implicit-def: $vgpr17
.LBB129_57:                             ;   in Loop: Header=BB129_4 Depth=1
	s_andn2_saveexec_b64 s[12:13], s[14:15]
	s_cbranch_execz .LBB129_59
; %bb.58:                               ;   in Loop: Header=BB129_4 Depth=1
	v_div_scale_f32 v21, s[14:15], v20, v20, v19
	v_div_scale_f32 v22, vcc, v19, v20, v19
	v_rcp_f32_e32 v23, v21
	v_fma_f32 v24, -v21, v23, 1.0
	v_fmac_f32_e32 v23, v24, v23
	v_mul_f32_e32 v24, v22, v23
	v_fma_f32 v57, -v21, v24, v22
	v_fmac_f32_e32 v24, v57, v23
	v_fma_f32 v21, -v21, v24, v22
	v_div_fmas_f32 v21, v21, v23, v24
	v_div_fixup_f32 v21, v21, v20, v19
	v_fmac_f32_e32 v20, v19, v21
	v_div_scale_f32 v19, s[14:15], v20, v20, 1.0
	v_div_scale_f32 v22, vcc, 1.0, v20, 1.0
	v_rcp_f32_e32 v23, v19
	v_fma_f32 v24, -v19, v23, 1.0
	v_fmac_f32_e32 v23, v24, v23
	v_mul_f32_e32 v24, v22, v23
	v_fma_f32 v57, -v19, v24, v22
	v_fmac_f32_e32 v24, v57, v23
	v_fma_f32 v19, -v19, v24, v22
	v_div_fmas_f32 v19, v19, v23, v24
	v_fma_f32 v22, v17, v21, v18
	v_fma_f32 v17, v18, v21, -v17
	v_div_fixup_f32 v18, v19, v20, 1.0
	v_mul_f32_e32 v22, v22, v18
	v_mul_f32_e32 v21, v17, v18
.LBB129_59:                             ;   in Loop: Header=BB129_4 Depth=1
	s_or_b64 exec, exec, s[12:13]
.LBB129_60:                             ;   in Loop: Header=BB129_4 Depth=1
	v_cmp_gt_f32_e32 vcc, 0, v15
	v_cndmask_b32_e64 v19, v15, -v15, vcc
	v_cmp_gt_f32_e32 vcc, 0, v16
	v_cndmask_b32_e64 v20, v16, -v16, vcc
	v_cmp_ge_f32_e64 s[12:13], v19, v20
	s_and_b64 vcc, exec, s[10:11]
	s_mov_b64 s[14:15], -1
                                        ; implicit-def: $vgpr17
                                        ; implicit-def: $vgpr18
	s_cbranch_vccnz .LBB129_70
; %bb.61:                               ;   in Loop: Header=BB129_4 Depth=1
                                        ; implicit-def: $vgpr17
                                        ; implicit-def: $vgpr23
	s_and_saveexec_b64 s[14:15], s[12:13]
	s_xor_b64 s[30:31], exec, s[14:15]
	s_cbranch_execz .LBB129_67
; %bb.62:                               ;   in Loop: Header=BB129_4 Depth=1
	v_cmp_neq_f32_e32 vcc, 0, v15
	v_cmp_neq_f32_e64 s[14:15], 0, v16
	s_or_b64 s[14:15], s[14:15], vcc
                                        ; implicit-def: $vgpr17
                                        ; implicit-def: $vgpr23
	s_and_saveexec_b64 s[34:35], s[14:15]
	s_xor_b64 s[14:15], exec, s[34:35]
	s_cbranch_execz .LBB129_64
; %bb.63:                               ;   in Loop: Header=BB129_4 Depth=1
	v_div_scale_f32 v17, s[34:35], v15, v15, v16
	v_div_scale_f32 v18, vcc, v16, v15, v16
	v_rcp_f32_e32 v23, v17
	v_fma_f32 v24, -v17, v23, 1.0
	v_fmac_f32_e32 v23, v24, v23
	v_mul_f32_e32 v24, v18, v23
	v_fma_f32 v57, -v17, v24, v18
	v_fmac_f32_e32 v24, v57, v23
	v_fma_f32 v17, -v17, v24, v18
	v_div_fmas_f32 v17, v17, v23, v24
	v_div_fixup_f32 v17, v17, v15, v16
	v_fma_f32 v18, v16, v17, v15
	v_div_scale_f32 v23, s[34:35], v18, v18, 1.0
	v_div_scale_f32 v24, vcc, 1.0, v18, 1.0
	v_rcp_f32_e32 v57, v23
	v_fma_f32 v58, -v23, v57, 1.0
	v_fmac_f32_e32 v57, v58, v57
	v_mul_f32_e32 v58, v24, v57
	v_fma_f32 v59, -v23, v58, v24
	v_fmac_f32_e32 v58, v59, v57
	v_fma_f32 v23, -v23, v58, v24
	v_div_fmas_f32 v23, v23, v57, v58
	v_fma_f32 v24, v14, v17, v13
	v_fma_f32 v17, -v13, v17, v14
	v_div_fixup_f32 v18, v23, v18, 1.0
	v_mul_f32_e32 v23, v24, v18
	v_mul_f32_e32 v17, v17, v18
.LBB129_64:                             ;   in Loop: Header=BB129_4 Depth=1
	s_andn2_saveexec_b64 s[34:35], s[14:15]
	s_cbranch_execz .LBB129_66
; %bb.65:                               ;   in Loop: Header=BB129_4 Depth=1
	v_div_scale_f32 v17, s[14:15], v19, v19, v13
	v_div_scale_f32 v18, s[14:15], v20, v20, v14
	v_div_scale_f32 v23, vcc, v13, v19, v13
	v_div_scale_f32 v24, s[14:15], v14, v20, v14
	v_rcp_f32_e32 v57, v17
	v_rcp_f32_e32 v58, v18
	v_fma_f32 v59, -v17, v57, 1.0
	v_fmac_f32_e32 v57, v59, v57
	v_fma_f32 v60, -v18, v58, 1.0
	v_fmac_f32_e32 v58, v60, v58
	v_mul_f32_e32 v59, v23, v57
	v_mul_f32_e32 v60, v24, v58
	v_fma_f32 v61, -v17, v59, v23
	v_fma_f32 v62, -v18, v60, v24
	v_fmac_f32_e32 v59, v61, v57
	v_fmac_f32_e32 v60, v62, v58
	v_fma_f32 v17, -v17, v59, v23
	v_fma_f32 v18, -v18, v60, v24
	v_div_fmas_f32 v17, v17, v57, v59
	s_mov_b64 vcc, s[14:15]
	v_div_fmas_f32 v18, v18, v58, v60
	v_div_fixup_f32 v23, v17, v19, v13
	v_div_fixup_f32 v17, v18, v20, v14
.LBB129_66:                             ;   in Loop: Header=BB129_4 Depth=1
	s_or_b64 exec, exec, s[34:35]
.LBB129_67:                             ;   in Loop: Header=BB129_4 Depth=1
	s_andn2_saveexec_b64 s[14:15], s[30:31]
	s_cbranch_execz .LBB129_69
; %bb.68:                               ;   in Loop: Header=BB129_4 Depth=1
	v_div_scale_f32 v17, s[30:31], v16, v16, v15
	v_div_scale_f32 v18, vcc, v15, v16, v15
	v_rcp_f32_e32 v23, v17
	v_fma_f32 v24, -v17, v23, 1.0
	v_fmac_f32_e32 v23, v24, v23
	v_mul_f32_e32 v24, v18, v23
	v_fma_f32 v57, -v17, v24, v18
	v_fmac_f32_e32 v24, v57, v23
	v_fma_f32 v17, -v17, v24, v18
	v_div_fmas_f32 v17, v17, v23, v24
	v_div_fixup_f32 v17, v17, v16, v15
	v_fma_f32 v18, v15, v17, v16
	v_div_scale_f32 v23, s[30:31], v18, v18, 1.0
	v_div_scale_f32 v24, vcc, 1.0, v18, 1.0
	v_rcp_f32_e32 v57, v23
	v_fma_f32 v58, -v23, v57, 1.0
	v_fmac_f32_e32 v57, v58, v57
	v_mul_f32_e32 v58, v24, v57
	v_fma_f32 v59, -v23, v58, v24
	v_fmac_f32_e32 v58, v59, v57
	v_fma_f32 v23, -v23, v58, v24
	v_div_fmas_f32 v23, v23, v57, v58
	v_fma_f32 v24, v13, v17, v14
	v_fma_f32 v17, v14, v17, -v13
	v_div_fixup_f32 v18, v23, v18, 1.0
	v_mul_f32_e32 v23, v24, v18
	v_mul_f32_e32 v17, v17, v18
.LBB129_69:                             ;   in Loop: Header=BB129_4 Depth=1
	s_or_b64 exec, exec, s[14:15]
	v_mul_f32_e32 v18, s17, v17
	v_mul_f32_e32 v17, s16, v17
	v_fma_f32 v18, v23, s16, -v18
	v_fmac_f32_e32 v17, s17, v23
	s_mov_b64 s[14:15], 0
.LBB129_70:                             ;   in Loop: Header=BB129_4 Depth=1
	s_and_b64 vcc, exec, s[14:15]
	s_cbranch_vccz .LBB129_80
; %bb.71:                               ;   in Loop: Header=BB129_4 Depth=1
                                        ; implicit-def: $vgpr17
                                        ; implicit-def: $vgpr18
	s_and_saveexec_b64 s[14:15], s[12:13]
	s_xor_b64 s[14:15], exec, s[14:15]
	s_cbranch_execz .LBB129_77
; %bb.72:                               ;   in Loop: Header=BB129_4 Depth=1
	v_cmp_neq_f32_e32 vcc, 0, v15
	v_cmp_neq_f32_e64 s[12:13], 0, v16
	s_or_b64 s[12:13], s[12:13], vcc
                                        ; implicit-def: $vgpr17
                                        ; implicit-def: $vgpr18
	s_and_saveexec_b64 s[30:31], s[12:13]
	s_xor_b64 s[12:13], exec, s[30:31]
	s_cbranch_execz .LBB129_74
; %bb.73:                               ;   in Loop: Header=BB129_4 Depth=1
	v_div_scale_f32 v17, s[30:31], v15, v15, v16
	v_div_scale_f32 v18, vcc, v16, v15, v16
	v_rcp_f32_e32 v19, v17
	v_fma_f32 v20, -v17, v19, 1.0
	v_fmac_f32_e32 v19, v20, v19
	v_mul_f32_e32 v20, v18, v19
	v_fma_f32 v23, -v17, v20, v18
	v_fmac_f32_e32 v20, v23, v19
	v_fma_f32 v17, -v17, v20, v18
	v_div_fmas_f32 v17, v17, v19, v20
	v_div_fixup_f32 v17, v17, v15, v16
	v_fmac_f32_e32 v15, v16, v17
	v_div_scale_f32 v16, s[30:31], v15, v15, 1.0
	v_div_scale_f32 v18, vcc, 1.0, v15, 1.0
	v_rcp_f32_e32 v19, v16
	v_fma_f32 v20, -v16, v19, 1.0
	v_fmac_f32_e32 v19, v20, v19
	v_mul_f32_e32 v20, v18, v19
	v_fma_f32 v23, -v16, v20, v18
	v_fmac_f32_e32 v20, v23, v19
	v_fma_f32 v16, -v16, v20, v18
	v_div_fmas_f32 v16, v16, v19, v20
	v_fma_f32 v18, v14, v17, v13
	v_fma_f32 v13, -v13, v17, v14
                                        ; implicit-def: $vgpr19
                                        ; implicit-def: $vgpr20
	v_div_fixup_f32 v14, v16, v15, 1.0
	v_mul_f32_e32 v18, v18, v14
	v_mul_f32_e32 v17, v13, v14
                                        ; implicit-def: $vgpr13
.LBB129_74:                             ;   in Loop: Header=BB129_4 Depth=1
	s_andn2_saveexec_b64 s[30:31], s[12:13]
	s_cbranch_execz .LBB129_76
; %bb.75:                               ;   in Loop: Header=BB129_4 Depth=1
	v_div_scale_f32 v15, s[12:13], v19, v19, v13
	v_div_scale_f32 v16, s[12:13], v20, v20, v14
	v_div_scale_f32 v17, vcc, v13, v19, v13
	v_div_scale_f32 v18, s[12:13], v14, v20, v14
	v_rcp_f32_e32 v23, v15
	v_rcp_f32_e32 v24, v16
	v_fma_f32 v57, -v15, v23, 1.0
	v_fmac_f32_e32 v23, v57, v23
	v_fma_f32 v58, -v16, v24, 1.0
	v_fmac_f32_e32 v24, v58, v24
	v_mul_f32_e32 v57, v17, v23
	v_mul_f32_e32 v58, v18, v24
	v_fma_f32 v59, -v15, v57, v17
	v_fma_f32 v60, -v16, v58, v18
	v_fmac_f32_e32 v57, v59, v23
	v_fmac_f32_e32 v58, v60, v24
	v_fma_f32 v15, -v15, v57, v17
	v_fma_f32 v16, -v16, v58, v18
	v_div_fmas_f32 v15, v15, v23, v57
	s_mov_b64 vcc, s[12:13]
	v_div_fmas_f32 v16, v16, v24, v58
	v_div_fixup_f32 v18, v15, v19, v13
	v_div_fixup_f32 v17, v16, v20, v14
.LBB129_76:                             ;   in Loop: Header=BB129_4 Depth=1
	s_or_b64 exec, exec, s[30:31]
                                        ; implicit-def: $vgpr16
                                        ; implicit-def: $vgpr13
.LBB129_77:                             ;   in Loop: Header=BB129_4 Depth=1
	s_andn2_saveexec_b64 s[12:13], s[14:15]
	s_cbranch_execz .LBB129_79
; %bb.78:                               ;   in Loop: Header=BB129_4 Depth=1
	v_div_scale_f32 v17, s[14:15], v16, v16, v15
	v_div_scale_f32 v18, vcc, v15, v16, v15
	v_rcp_f32_e32 v19, v17
	v_fma_f32 v20, -v17, v19, 1.0
	v_fmac_f32_e32 v19, v20, v19
	v_mul_f32_e32 v20, v18, v19
	v_fma_f32 v23, -v17, v20, v18
	v_fmac_f32_e32 v20, v23, v19
	v_fma_f32 v17, -v17, v20, v18
	v_div_fmas_f32 v17, v17, v19, v20
	v_div_fixup_f32 v17, v17, v16, v15
	v_fmac_f32_e32 v16, v15, v17
	v_div_scale_f32 v15, s[14:15], v16, v16, 1.0
	v_div_scale_f32 v18, vcc, 1.0, v16, 1.0
	v_rcp_f32_e32 v19, v15
	v_fma_f32 v20, -v15, v19, 1.0
	v_fmac_f32_e32 v19, v20, v19
	v_mul_f32_e32 v20, v18, v19
	v_fma_f32 v23, -v15, v20, v18
	v_fmac_f32_e32 v20, v23, v19
	v_fma_f32 v15, -v15, v20, v18
	v_div_fmas_f32 v15, v15, v19, v20
	v_fma_f32 v18, v13, v17, v14
	v_fma_f32 v13, v14, v17, -v13
	v_div_fixup_f32 v14, v15, v16, 1.0
	v_mul_f32_e32 v18, v18, v14
	v_mul_f32_e32 v17, v13, v14
.LBB129_79:                             ;   in Loop: Header=BB129_4 Depth=1
	s_or_b64 exec, exec, s[12:13]
.LBB129_80:                             ;   in Loop: Header=BB129_4 Depth=1
	v_cmp_gt_f32_e32 vcc, 0, v11
	v_cndmask_b32_e64 v13, v11, -v11, vcc
	v_cmp_gt_f32_e32 vcc, 0, v12
	v_cndmask_b32_e64 v14, v12, -v12, vcc
	v_cmp_ge_f32_e64 s[12:13], v13, v14
	s_and_b64 vcc, exec, s[10:11]
	s_mov_b64 s[10:11], -1
                                        ; implicit-def: $vgpr15
                                        ; implicit-def: $vgpr16
	s_cbranch_vccz .LBB129_86
; %bb.81:                               ;   in Loop: Header=BB129_4 Depth=1
	s_and_b64 vcc, exec, s[10:11]
	s_cbranch_vccnz .LBB129_95
.LBB129_82:                             ;   in Loop: Header=BB129_4 Depth=1
	s_and_saveexec_b64 s[10:11], s[0:1]
	s_xor_b64 s[0:1], exec, s[10:11]
	s_cbranch_execnz .LBB129_104
.LBB129_83:                             ;   in Loop: Header=BB129_4 Depth=1
	s_or_b64 exec, exec, s[0:1]
	s_and_saveexec_b64 s[0:1], s[2:3]
	s_cbranch_execnz .LBB129_105
.LBB129_84:                             ;   in Loop: Header=BB129_4 Depth=1
	s_or_b64 exec, exec, s[0:1]
	s_and_saveexec_b64 s[0:1], s[6:7]
	s_cbranch_execnz .LBB129_106
.LBB129_85:                             ;   in Loop: Header=BB129_4 Depth=1
	s_or_b64 exec, exec, s[0:1]
	s_and_saveexec_b64 s[0:1], s[8:9]
	s_cbranch_execz .LBB129_3
	s_branch .LBB129_107
.LBB129_86:                             ;   in Loop: Header=BB129_4 Depth=1
                                        ; implicit-def: $vgpr15
                                        ; implicit-def: $vgpr19
	s_and_saveexec_b64 s[10:11], s[12:13]
	s_xor_b64 s[14:15], exec, s[10:11]
	s_cbranch_execz .LBB129_92
; %bb.87:                               ;   in Loop: Header=BB129_4 Depth=1
	v_cmp_neq_f32_e32 vcc, 0, v11
	v_cmp_neq_f32_e64 s[10:11], 0, v12
	s_or_b64 s[10:11], s[10:11], vcc
                                        ; implicit-def: $vgpr15
                                        ; implicit-def: $vgpr19
	s_and_saveexec_b64 s[30:31], s[10:11]
	s_xor_b64 s[10:11], exec, s[30:31]
	s_cbranch_execz .LBB129_89
; %bb.88:                               ;   in Loop: Header=BB129_4 Depth=1
	v_div_scale_f32 v15, s[30:31], v11, v11, v12
	v_div_scale_f32 v16, vcc, v12, v11, v12
	v_rcp_f32_e32 v19, v15
	v_fma_f32 v20, -v15, v19, 1.0
	v_fmac_f32_e32 v19, v20, v19
	v_mul_f32_e32 v20, v16, v19
	v_fma_f32 v23, -v15, v20, v16
	v_fmac_f32_e32 v20, v23, v19
	v_fma_f32 v15, -v15, v20, v16
	v_div_fmas_f32 v15, v15, v19, v20
	v_div_fixup_f32 v15, v15, v11, v12
	v_fma_f32 v16, v12, v15, v11
	v_div_scale_f32 v19, s[30:31], v16, v16, 1.0
	v_div_scale_f32 v20, vcc, 1.0, v16, 1.0
	v_rcp_f32_e32 v23, v19
	v_fma_f32 v24, -v19, v23, 1.0
	v_fmac_f32_e32 v23, v24, v23
	v_mul_f32_e32 v24, v20, v23
	v_fma_f32 v57, -v19, v24, v20
	v_fmac_f32_e32 v24, v57, v23
	v_fma_f32 v19, -v19, v24, v20
	v_div_fmas_f32 v19, v19, v23, v24
	v_fma_f32 v20, v10, v15, v9
	v_fma_f32 v15, -v9, v15, v10
	v_div_fixup_f32 v16, v19, v16, 1.0
	v_mul_f32_e32 v19, v20, v16
	v_mul_f32_e32 v15, v15, v16
.LBB129_89:                             ;   in Loop: Header=BB129_4 Depth=1
	s_andn2_saveexec_b64 s[30:31], s[10:11]
	s_cbranch_execz .LBB129_91
; %bb.90:                               ;   in Loop: Header=BB129_4 Depth=1
	v_div_scale_f32 v15, s[10:11], v13, v13, v9
	v_div_scale_f32 v16, s[10:11], v14, v14, v10
	v_div_scale_f32 v19, vcc, v9, v13, v9
	v_div_scale_f32 v20, s[10:11], v10, v14, v10
	v_rcp_f32_e32 v23, v15
	v_rcp_f32_e32 v24, v16
	v_fma_f32 v57, -v15, v23, 1.0
	v_fmac_f32_e32 v23, v57, v23
	v_fma_f32 v58, -v16, v24, 1.0
	v_fmac_f32_e32 v24, v58, v24
	v_mul_f32_e32 v57, v19, v23
	v_mul_f32_e32 v58, v20, v24
	v_fma_f32 v59, -v15, v57, v19
	v_fma_f32 v60, -v16, v58, v20
	v_fmac_f32_e32 v57, v59, v23
	v_fmac_f32_e32 v58, v60, v24
	v_fma_f32 v15, -v15, v57, v19
	v_fma_f32 v16, -v16, v58, v20
	v_div_fmas_f32 v15, v15, v23, v57
	s_mov_b64 vcc, s[10:11]
	v_div_fmas_f32 v16, v16, v24, v58
	v_div_fixup_f32 v19, v15, v13, v9
	v_div_fixup_f32 v15, v16, v14, v10
.LBB129_91:                             ;   in Loop: Header=BB129_4 Depth=1
	s_or_b64 exec, exec, s[30:31]
.LBB129_92:                             ;   in Loop: Header=BB129_4 Depth=1
	s_andn2_saveexec_b64 s[10:11], s[14:15]
	s_cbranch_execz .LBB129_94
; %bb.93:                               ;   in Loop: Header=BB129_4 Depth=1
	v_div_scale_f32 v15, s[14:15], v12, v12, v11
	v_div_scale_f32 v16, vcc, v11, v12, v11
	v_rcp_f32_e32 v19, v15
	v_fma_f32 v20, -v15, v19, 1.0
	v_fmac_f32_e32 v19, v20, v19
	v_mul_f32_e32 v20, v16, v19
	v_fma_f32 v23, -v15, v20, v16
	v_fmac_f32_e32 v20, v23, v19
	v_fma_f32 v15, -v15, v20, v16
	v_div_fmas_f32 v15, v15, v19, v20
	v_div_fixup_f32 v15, v15, v12, v11
	v_fma_f32 v16, v11, v15, v12
	v_div_scale_f32 v19, s[14:15], v16, v16, 1.0
	v_div_scale_f32 v20, vcc, 1.0, v16, 1.0
	v_rcp_f32_e32 v23, v19
	v_fma_f32 v24, -v19, v23, 1.0
	v_fmac_f32_e32 v23, v24, v23
	v_mul_f32_e32 v24, v20, v23
	v_fma_f32 v57, -v19, v24, v20
	v_fmac_f32_e32 v24, v57, v23
	v_fma_f32 v19, -v19, v24, v20
	v_div_fmas_f32 v19, v19, v23, v24
	v_fma_f32 v20, v9, v15, v10
	v_fma_f32 v15, v10, v15, -v9
	v_div_fixup_f32 v16, v19, v16, 1.0
	v_mul_f32_e32 v19, v20, v16
	v_mul_f32_e32 v15, v15, v16
.LBB129_94:                             ;   in Loop: Header=BB129_4 Depth=1
	s_or_b64 exec, exec, s[10:11]
	v_mul_f32_e32 v16, s17, v15
	v_mul_f32_e32 v15, s16, v15
	v_fma_f32 v16, v19, s16, -v16
	v_fmac_f32_e32 v15, s17, v19
	s_branch .LBB129_82
.LBB129_95:                             ;   in Loop: Header=BB129_4 Depth=1
                                        ; implicit-def: $vgpr15
                                        ; implicit-def: $vgpr16
	s_and_saveexec_b64 s[10:11], s[12:13]
	s_xor_b64 s[12:13], exec, s[10:11]
	s_cbranch_execz .LBB129_101
; %bb.96:                               ;   in Loop: Header=BB129_4 Depth=1
	v_cmp_neq_f32_e32 vcc, 0, v11
	v_cmp_neq_f32_e64 s[10:11], 0, v12
	s_or_b64 s[10:11], s[10:11], vcc
                                        ; implicit-def: $vgpr15
                                        ; implicit-def: $vgpr16
	s_and_saveexec_b64 s[14:15], s[10:11]
	s_xor_b64 s[10:11], exec, s[14:15]
	s_cbranch_execz .LBB129_98
; %bb.97:                               ;   in Loop: Header=BB129_4 Depth=1
	v_div_scale_f32 v13, s[14:15], v11, v11, v12
	v_div_scale_f32 v14, vcc, v12, v11, v12
	v_rcp_f32_e32 v15, v13
	v_fma_f32 v16, -v13, v15, 1.0
	v_fmac_f32_e32 v15, v16, v15
	v_mul_f32_e32 v16, v14, v15
	v_fma_f32 v19, -v13, v16, v14
	v_fmac_f32_e32 v16, v19, v15
	v_fma_f32 v13, -v13, v16, v14
	v_div_fmas_f32 v13, v13, v15, v16
	v_div_fixup_f32 v13, v13, v11, v12
	v_fmac_f32_e32 v11, v12, v13
	v_div_scale_f32 v12, s[14:15], v11, v11, 1.0
	v_div_scale_f32 v14, vcc, 1.0, v11, 1.0
	v_rcp_f32_e32 v15, v12
	v_fma_f32 v16, -v12, v15, 1.0
	v_fmac_f32_e32 v15, v16, v15
	v_mul_f32_e32 v16, v14, v15
	v_fma_f32 v19, -v12, v16, v14
	v_fmac_f32_e32 v16, v19, v15
	v_fma_f32 v12, -v12, v16, v14
	v_div_fmas_f32 v12, v12, v15, v16
	v_fma_f32 v14, v10, v13, v9
	v_fma_f32 v9, -v9, v13, v10
                                        ; implicit-def: $vgpr13
	v_div_fixup_f32 v10, v12, v11, 1.0
	v_mul_f32_e32 v16, v14, v10
	v_mul_f32_e32 v15, v9, v10
                                        ; implicit-def: $vgpr9
                                        ; implicit-def: $vgpr14
.LBB129_98:                             ;   in Loop: Header=BB129_4 Depth=1
	s_andn2_saveexec_b64 s[14:15], s[10:11]
	s_cbranch_execz .LBB129_100
; %bb.99:                               ;   in Loop: Header=BB129_4 Depth=1
	v_div_scale_f32 v11, s[10:11], v13, v13, v9
	v_div_scale_f32 v12, s[10:11], v14, v14, v10
	v_div_scale_f32 v15, vcc, v9, v13, v9
	v_div_scale_f32 v16, s[10:11], v10, v14, v10
	v_rcp_f32_e32 v19, v11
	v_rcp_f32_e32 v20, v12
	v_fma_f32 v23, -v11, v19, 1.0
	v_fmac_f32_e32 v19, v23, v19
	v_fma_f32 v24, -v12, v20, 1.0
	v_fmac_f32_e32 v20, v24, v20
	v_mul_f32_e32 v23, v15, v19
	v_mul_f32_e32 v24, v16, v20
	v_fma_f32 v57, -v11, v23, v15
	v_fma_f32 v58, -v12, v24, v16
	v_fmac_f32_e32 v23, v57, v19
	v_fmac_f32_e32 v24, v58, v20
	v_fma_f32 v11, -v11, v23, v15
	v_fma_f32 v12, -v12, v24, v16
	v_div_fmas_f32 v11, v11, v19, v23
	s_mov_b64 vcc, s[10:11]
	v_div_fmas_f32 v12, v12, v20, v24
	v_div_fixup_f32 v16, v11, v13, v9
	v_div_fixup_f32 v15, v12, v14, v10
.LBB129_100:                            ;   in Loop: Header=BB129_4 Depth=1
	s_or_b64 exec, exec, s[14:15]
                                        ; implicit-def: $vgpr12
                                        ; implicit-def: $vgpr9
.LBB129_101:                            ;   in Loop: Header=BB129_4 Depth=1
	s_andn2_saveexec_b64 s[10:11], s[12:13]
	s_cbranch_execz .LBB129_103
; %bb.102:                              ;   in Loop: Header=BB129_4 Depth=1
	v_div_scale_f32 v13, s[12:13], v12, v12, v11
	v_div_scale_f32 v14, vcc, v11, v12, v11
	v_rcp_f32_e32 v15, v13
	v_fma_f32 v16, -v13, v15, 1.0
	v_fmac_f32_e32 v15, v16, v15
	v_mul_f32_e32 v16, v14, v15
	v_fma_f32 v19, -v13, v16, v14
	v_fmac_f32_e32 v16, v19, v15
	v_fma_f32 v13, -v13, v16, v14
	v_div_fmas_f32 v13, v13, v15, v16
	v_div_fixup_f32 v13, v13, v12, v11
	v_fmac_f32_e32 v12, v11, v13
	v_div_scale_f32 v11, s[12:13], v12, v12, 1.0
	v_div_scale_f32 v14, vcc, 1.0, v12, 1.0
	v_rcp_f32_e32 v15, v11
	v_fma_f32 v16, -v11, v15, 1.0
	v_fmac_f32_e32 v15, v16, v15
	v_mul_f32_e32 v16, v14, v15
	v_fma_f32 v19, -v11, v16, v14
	v_fmac_f32_e32 v16, v19, v15
	v_fma_f32 v11, -v11, v16, v14
	v_div_fmas_f32 v11, v11, v15, v16
	v_fma_f32 v14, v9, v13, v10
	v_fma_f32 v9, v10, v13, -v9
	v_div_fixup_f32 v10, v11, v12, 1.0
	v_mul_f32_e32 v16, v14, v10
	v_mul_f32_e32 v15, v9, v10
.LBB129_103:                            ;   in Loop: Header=BB129_4 Depth=1
	s_or_b64 exec, exec, s[10:11]
	s_and_saveexec_b64 s[10:11], s[0:1]
	s_xor_b64 s[0:1], exec, s[10:11]
	s_cbranch_execz .LBB129_83
.LBB129_104:                            ;   in Loop: Header=BB129_4 Depth=1
	v_mov_b32_e32 v10, s21
	v_add_co_u32_e32 v9, vcc, s20, v37
	v_add_f32_e32 v1, v1, v55
	v_add_f32_e32 v2, v2, v56
	v_addc_co_u32_e32 v10, vcc, v38, v10, vcc
	global_store_dwordx2 v[9:10], v[1:2], off
	s_or_b64 exec, exec, s[0:1]
	s_and_saveexec_b64 s[0:1], s[2:3]
	s_cbranch_execz .LBB129_84
.LBB129_105:                            ;   in Loop: Header=BB129_4 Depth=1
	v_add_f32_e32 v1, v3, v22
	v_add_f32_e32 v2, v4, v21
	v_mov_b32_e32 v4, s21
	v_add_co_u32_e32 v3, vcc, s20, v45
	v_addc_co_u32_e32 v4, vcc, v46, v4, vcc
	global_store_dwordx2 v[3:4], v[1:2], off
	s_or_b64 exec, exec, s[0:1]
	s_and_saveexec_b64 s[0:1], s[6:7]
	s_cbranch_execz .LBB129_85
.LBB129_106:                            ;   in Loop: Header=BB129_4 Depth=1
	v_mov_b32_e32 v4, s21
	v_add_co_u32_e32 v3, vcc, s20, v31
	v_add_f32_e32 v1, v5, v18
	v_add_f32_e32 v2, v6, v17
	v_addc_co_u32_e32 v4, vcc, v32, v4, vcc
	global_store_dwordx2 v[3:4], v[1:2], off
	s_or_b64 exec, exec, s[0:1]
	s_and_saveexec_b64 s[0:1], s[8:9]
	s_cbranch_execz .LBB129_3
.LBB129_107:                            ;   in Loop: Header=BB129_4 Depth=1
	v_mov_b32_e32 v4, s21
	v_add_co_u32_e32 v3, vcc, s20, v25
	v_add_f32_e32 v1, v7, v16
	v_add_f32_e32 v2, v8, v15
	v_addc_co_u32_e32 v4, vcc, v26, v4, vcc
	global_store_dwordx2 v[3:4], v[1:2], off
	s_branch .LBB129_3
.LBB129_108:
	s_mov_b64 s[8:9], 0
.LBB129_109:
	s_andn2_b64 vcc, exec, s[8:9]
	s_cbranch_vccnz .LBB129_193
; %bb.110:
	v_mov_b32_e32 v1, 0x10000
	v_mov_b32_e32 v2, 0
	v_cmp_lt_i64_e32 vcc, s[18:19], v[1:2]
	v_mov_b32_e32 v2, 0
	s_and_b64 s[0:1], vcc, exec
	s_cselect_b32 s7, s19, 0
	s_cselect_b32 s6, s18, 0x10000
	v_lshlrev_b32_e32 v1, 2, v0
	v_cmp_gt_i64_e32 vcc, s[6:7], v[1:2]
	s_and_saveexec_b64 s[0:1], vcc
	s_cbranch_execz .LBB129_193
; %bb.111:
	s_load_dword s4, s[4:5], 0xdd4
	s_and_b32 s2, s17, 0x7fffffff
	s_cmp_lg_u32 s2, 0
	v_cmp_neq_f32_e64 s[0:1], s16, 1.0
	s_cselect_b64 s[2:3], -1, 0
	s_waitcnt lgkmcnt(0)
	s_and_b32 s18, s4, 0xffff
	v_mov_b32_e32 v1, v2
	s_or_b64 s[8:9], s[0:1], s[2:3]
	v_lshlrev_b32_e32 v28, 5, v0
	s_lshl_b32 s19, s18, 5
	s_mov_b64 s[10:11], 0
	s_branch .LBB129_114
.LBB129_112:                            ;   in Loop: Header=BB129_114 Depth=1
	s_or_b64 exec, exec, s[0:1]
.LBB129_113:                            ;   in Loop: Header=BB129_114 Depth=1
	v_add_co_u32_e32 v0, vcc, s18, v0
	s_add_u32 s39, s39, s19
	s_waitcnt vmcnt(0)
	v_add_f32_e32 v8, v8, v32
	v_add_f32_e32 v9, v9, v31
	;; [unrolled: 1-line block ×4, first 2 shown]
	v_addc_co_u32_e32 v1, vcc, 0, v1, vcc
	s_addc_u32 s40, s40, 0
	global_store_dwordx4 v[26:27], v[6:9], off
	s_add_u32 s33, s33, s19
	v_lshlrev_b64 v[6:7], 2, v[0:1]
	s_addc_u32 s36, s36, 0
	s_add_u32 s37, s37, s19
	v_cmp_le_i64_e32 vcc, s[6:7], v[6:7]
	s_addc_u32 s38, s38, 0
	v_add_f32_e32 v2, v2, v19
	v_add_f32_e32 v3, v3, v18
	;; [unrolled: 1-line block ×4, first 2 shown]
	s_or_b64 s[10:11], vcc, s[10:11]
	global_store_dwordx4 v[26:27], v[2:5], off offset:16
	s_andn2_b64 exec, exec, s[10:11]
	s_cbranch_execz .LBB129_193
.LBB129_114:                            ; =>This Inner Loop Header: Depth=1
	v_mov_b32_e32 v3, s40
	v_add_co_u32_e32 v2, vcc, s39, v28
	v_addc_co_u32_e32 v3, vcc, 0, v3, vcc
	global_load_dwordx4 v[22:25], v[2:3], off
	global_load_dwordx4 v[14:17], v[2:3], off offset:16
	v_mov_b32_e32 v2, s36
	v_add_co_u32_e32 v26, vcc, s33, v28
	v_addc_co_u32_e32 v27, vcc, 0, v2, vcc
	v_mov_b32_e32 v3, s38
	v_add_co_u32_e32 v29, vcc, s37, v28
	v_addc_co_u32_e32 v30, vcc, 0, v3, vcc
	global_load_dwordx4 v[10:13], v[29:30], off offset:16
	global_load_dwordx4 v[18:21], v[29:30], off
	global_load_dwordx4 v[2:5], v[26:27], off offset:16
	global_load_dwordx4 v[6:9], v[26:27], off
	s_mov_b64 s[2:3], -1
	s_and_b64 vcc, exec, s[8:9]
                                        ; implicit-def: $vgpr29
                                        ; implicit-def: $vgpr30
	s_waitcnt vmcnt(5)
	v_cmp_gt_f32_e64 s[0:1], 0, v22
	v_cndmask_b32_e64 v31, v22, -v22, s[0:1]
	v_cmp_gt_f32_e64 s[0:1], 0, v23
	v_cndmask_b32_e64 v32, v23, -v23, s[0:1]
	v_cmp_ge_f32_e64 s[0:1], v31, v32
	s_cbranch_vccz .LBB129_124
; %bb.115:                              ;   in Loop: Header=BB129_114 Depth=1
                                        ; implicit-def: $vgpr29
                                        ; implicit-def: $vgpr33
	s_and_saveexec_b64 s[2:3], s[0:1]
	s_xor_b64 s[4:5], exec, s[2:3]
	s_cbranch_execz .LBB129_121
; %bb.116:                              ;   in Loop: Header=BB129_114 Depth=1
	v_cmp_neq_f32_e32 vcc, 0, v22
	v_cmp_neq_f32_e64 s[2:3], 0, v23
	s_or_b64 s[2:3], vcc, s[2:3]
                                        ; implicit-def: $vgpr29
                                        ; implicit-def: $vgpr33
	s_and_saveexec_b64 s[12:13], s[2:3]
	s_xor_b64 s[2:3], exec, s[12:13]
	s_cbranch_execz .LBB129_118
; %bb.117:                              ;   in Loop: Header=BB129_114 Depth=1
	v_div_scale_f32 v29, s[12:13], v22, v22, v23
	v_div_scale_f32 v30, vcc, v23, v22, v23
	v_rcp_f32_e32 v33, v29
	v_fma_f32 v34, -v29, v33, 1.0
	v_fmac_f32_e32 v33, v34, v33
	v_mul_f32_e32 v34, v30, v33
	v_fma_f32 v35, -v29, v34, v30
	v_fmac_f32_e32 v34, v35, v33
	v_fma_f32 v29, -v29, v34, v30
	v_div_fmas_f32 v29, v29, v33, v34
	v_div_fixup_f32 v29, v29, v22, v23
	v_fma_f32 v30, v23, v29, v22
	v_div_scale_f32 v33, s[12:13], v30, v30, 1.0
	v_div_scale_f32 v34, vcc, 1.0, v30, 1.0
	v_rcp_f32_e32 v35, v33
	v_fma_f32 v36, -v33, v35, 1.0
	v_fmac_f32_e32 v35, v36, v35
	v_mul_f32_e32 v36, v34, v35
	v_fma_f32 v37, -v33, v36, v34
	v_fmac_f32_e32 v36, v37, v35
	v_fma_f32 v33, -v33, v36, v34
	v_div_fmas_f32 v33, v33, v35, v36
	s_waitcnt vmcnt(2)
	v_fma_f32 v34, v19, v29, v18
	v_fma_f32 v29, -v18, v29, v19
	v_div_fixup_f32 v30, v33, v30, 1.0
	v_mul_f32_e32 v33, v34, v30
	v_mul_f32_e32 v29, v29, v30
.LBB129_118:                            ;   in Loop: Header=BB129_114 Depth=1
	s_andn2_saveexec_b64 s[12:13], s[2:3]
	s_cbranch_execz .LBB129_120
; %bb.119:                              ;   in Loop: Header=BB129_114 Depth=1
	s_waitcnt vmcnt(2)
	v_div_scale_f32 v29, s[2:3], v31, v31, v18
	v_div_scale_f32 v30, s[2:3], v32, v32, v19
	v_div_scale_f32 v33, vcc, v18, v31, v18
	v_div_scale_f32 v34, s[2:3], v19, v32, v19
	v_rcp_f32_e32 v35, v29
	v_rcp_f32_e32 v36, v30
	v_fma_f32 v37, -v29, v35, 1.0
	v_fmac_f32_e32 v35, v37, v35
	v_fma_f32 v38, -v30, v36, 1.0
	v_fmac_f32_e32 v36, v38, v36
	v_mul_f32_e32 v37, v33, v35
	v_mul_f32_e32 v38, v34, v36
	v_fma_f32 v39, -v29, v37, v33
	v_fma_f32 v40, -v30, v38, v34
	v_fmac_f32_e32 v37, v39, v35
	v_fmac_f32_e32 v38, v40, v36
	v_fma_f32 v29, -v29, v37, v33
	v_fma_f32 v30, -v30, v38, v34
	v_div_fmas_f32 v29, v29, v35, v37
	s_mov_b64 vcc, s[2:3]
	v_div_fmas_f32 v30, v30, v36, v38
	v_div_fixup_f32 v33, v29, v31, v18
	v_div_fixup_f32 v29, v30, v32, v19
.LBB129_120:                            ;   in Loop: Header=BB129_114 Depth=1
	s_or_b64 exec, exec, s[12:13]
.LBB129_121:                            ;   in Loop: Header=BB129_114 Depth=1
	s_andn2_saveexec_b64 s[2:3], s[4:5]
	s_cbranch_execz .LBB129_123
; %bb.122:                              ;   in Loop: Header=BB129_114 Depth=1
	v_div_scale_f32 v29, s[4:5], v23, v23, v22
	v_div_scale_f32 v30, vcc, v22, v23, v22
	v_rcp_f32_e32 v33, v29
	v_fma_f32 v34, -v29, v33, 1.0
	v_fmac_f32_e32 v33, v34, v33
	v_mul_f32_e32 v34, v30, v33
	v_fma_f32 v35, -v29, v34, v30
	v_fmac_f32_e32 v34, v35, v33
	v_fma_f32 v29, -v29, v34, v30
	v_div_fmas_f32 v29, v29, v33, v34
	v_div_fixup_f32 v29, v29, v23, v22
	v_fma_f32 v30, v22, v29, v23
	v_div_scale_f32 v33, s[4:5], v30, v30, 1.0
	v_div_scale_f32 v34, vcc, 1.0, v30, 1.0
	v_rcp_f32_e32 v35, v33
	v_fma_f32 v36, -v33, v35, 1.0
	v_fmac_f32_e32 v35, v36, v35
	v_mul_f32_e32 v36, v34, v35
	v_fma_f32 v37, -v33, v36, v34
	v_fmac_f32_e32 v36, v37, v35
	v_fma_f32 v33, -v33, v36, v34
	v_div_fmas_f32 v33, v33, v35, v36
	s_waitcnt vmcnt(2)
	v_fma_f32 v34, v18, v29, v19
	v_fma_f32 v29, v19, v29, -v18
	v_div_fixup_f32 v30, v33, v30, 1.0
	v_mul_f32_e32 v33, v34, v30
	v_mul_f32_e32 v29, v29, v30
.LBB129_123:                            ;   in Loop: Header=BB129_114 Depth=1
	s_or_b64 exec, exec, s[2:3]
	v_mul_f32_e32 v30, s17, v29
	v_mul_f32_e32 v29, s16, v29
	v_fma_f32 v30, v33, s16, -v30
	v_fmac_f32_e32 v29, s17, v33
	s_mov_b64 s[2:3], 0
.LBB129_124:                            ;   in Loop: Header=BB129_114 Depth=1
	s_and_b64 vcc, exec, s[2:3]
	s_cbranch_vccz .LBB129_134
; %bb.125:                              ;   in Loop: Header=BB129_114 Depth=1
                                        ; implicit-def: $vgpr29
                                        ; implicit-def: $vgpr30
	s_and_saveexec_b64 s[2:3], s[0:1]
	s_xor_b64 s[2:3], exec, s[2:3]
	s_cbranch_execz .LBB129_131
; %bb.126:                              ;   in Loop: Header=BB129_114 Depth=1
	v_cmp_neq_f32_e32 vcc, 0, v22
	v_cmp_neq_f32_e64 s[0:1], 0, v23
	s_or_b64 s[0:1], vcc, s[0:1]
                                        ; implicit-def: $vgpr29
                                        ; implicit-def: $vgpr30
	s_and_saveexec_b64 s[4:5], s[0:1]
	s_xor_b64 s[0:1], exec, s[4:5]
	s_cbranch_execz .LBB129_128
; %bb.127:                              ;   in Loop: Header=BB129_114 Depth=1
	v_div_scale_f32 v29, s[4:5], v22, v22, v23
	v_div_scale_f32 v30, vcc, v23, v22, v23
	v_rcp_f32_e32 v31, v29
	v_fma_f32 v32, -v29, v31, 1.0
	v_fmac_f32_e32 v31, v32, v31
	v_mul_f32_e32 v32, v30, v31
	v_fma_f32 v33, -v29, v32, v30
	v_fmac_f32_e32 v32, v33, v31
	v_fma_f32 v29, -v29, v32, v30
	v_div_fmas_f32 v29, v29, v31, v32
	v_div_fixup_f32 v29, v29, v22, v23
	v_fma_f32 v30, v23, v29, v22
	v_div_scale_f32 v31, s[4:5], v30, v30, 1.0
	v_div_scale_f32 v32, vcc, 1.0, v30, 1.0
	v_rcp_f32_e32 v33, v31
	v_fma_f32 v34, -v31, v33, 1.0
	v_fmac_f32_e32 v33, v34, v33
	v_mul_f32_e32 v34, v32, v33
	v_fma_f32 v35, -v31, v34, v32
	v_fmac_f32_e32 v34, v35, v33
	v_fma_f32 v31, -v31, v34, v32
	v_div_fmas_f32 v31, v31, v33, v34
	s_waitcnt vmcnt(2)
	v_fma_f32 v32, v19, v29, v18
	v_fma_f32 v29, -v18, v29, v19
	v_div_fixup_f32 v31, v31, v30, 1.0
	v_mul_f32_e32 v30, v32, v31
	v_mul_f32_e32 v29, v29, v31
                                        ; implicit-def: $vgpr31
                                        ; implicit-def: $vgpr32
.LBB129_128:                            ;   in Loop: Header=BB129_114 Depth=1
	s_andn2_saveexec_b64 s[4:5], s[0:1]
	s_cbranch_execz .LBB129_130
; %bb.129:                              ;   in Loop: Header=BB129_114 Depth=1
	s_waitcnt vmcnt(2)
	v_div_scale_f32 v29, s[0:1], v31, v31, v18
	v_div_scale_f32 v30, s[0:1], v32, v32, v19
	v_div_scale_f32 v33, vcc, v18, v31, v18
	v_div_scale_f32 v34, s[0:1], v19, v32, v19
	v_rcp_f32_e32 v35, v29
	v_rcp_f32_e32 v36, v30
	v_fma_f32 v37, -v29, v35, 1.0
	v_fmac_f32_e32 v35, v37, v35
	v_fma_f32 v38, -v30, v36, 1.0
	v_fmac_f32_e32 v36, v38, v36
	v_mul_f32_e32 v37, v33, v35
	v_mul_f32_e32 v38, v34, v36
	v_fma_f32 v39, -v29, v37, v33
	v_fma_f32 v40, -v30, v38, v34
	v_fmac_f32_e32 v37, v39, v35
	v_fmac_f32_e32 v38, v40, v36
	v_fma_f32 v29, -v29, v37, v33
	v_fma_f32 v30, -v30, v38, v34
	v_div_fmas_f32 v29, v29, v35, v37
	s_mov_b64 vcc, s[0:1]
	v_div_fmas_f32 v33, v30, v36, v38
	v_div_fixup_f32 v30, v29, v31, v18
	v_div_fixup_f32 v29, v33, v32, v19
.LBB129_130:                            ;   in Loop: Header=BB129_114 Depth=1
	s_or_b64 exec, exec, s[4:5]
.LBB129_131:                            ;   in Loop: Header=BB129_114 Depth=1
	s_andn2_saveexec_b64 s[0:1], s[2:3]
	s_cbranch_execz .LBB129_133
; %bb.132:                              ;   in Loop: Header=BB129_114 Depth=1
	v_div_scale_f32 v29, s[2:3], v23, v23, v22
	v_div_scale_f32 v30, vcc, v22, v23, v22
	v_rcp_f32_e32 v31, v29
	v_fma_f32 v32, -v29, v31, 1.0
	v_fmac_f32_e32 v31, v32, v31
	v_mul_f32_e32 v32, v30, v31
	v_fma_f32 v33, -v29, v32, v30
	v_fmac_f32_e32 v32, v33, v31
	v_fma_f32 v29, -v29, v32, v30
	v_div_fmas_f32 v29, v29, v31, v32
	v_div_fixup_f32 v29, v29, v23, v22
	v_fma_f32 v22, v22, v29, v23
	v_div_scale_f32 v23, s[2:3], v22, v22, 1.0
	v_div_scale_f32 v30, vcc, 1.0, v22, 1.0
	v_rcp_f32_e32 v31, v23
	v_fma_f32 v32, -v23, v31, 1.0
	v_fmac_f32_e32 v31, v32, v31
	v_mul_f32_e32 v32, v30, v31
	v_fma_f32 v33, -v23, v32, v30
	v_fmac_f32_e32 v32, v33, v31
	v_fma_f32 v23, -v23, v32, v30
	v_div_fmas_f32 v23, v23, v31, v32
	s_waitcnt vmcnt(2)
	v_fma_f32 v30, v18, v29, v19
	v_fma_f32 v18, v19, v29, -v18
	v_div_fixup_f32 v19, v23, v22, 1.0
	v_mul_f32_e32 v30, v30, v19
	v_mul_f32_e32 v29, v18, v19
.LBB129_133:                            ;   in Loop: Header=BB129_114 Depth=1
	s_or_b64 exec, exec, s[0:1]
.LBB129_134:                            ;   in Loop: Header=BB129_114 Depth=1
	v_cmp_gt_f32_e32 vcc, 0, v24
	v_cndmask_b32_e64 v22, v24, -v24, vcc
	v_cmp_gt_f32_e32 vcc, 0, v25
	s_waitcnt vmcnt(2)
	v_cndmask_b32_e64 v18, v25, -v25, vcc
	v_cndmask_b32_e64 v19, 0, 1, s[8:9]
	v_cmp_ge_f32_e64 s[2:3], v22, v18
	v_cmp_ne_u32_e64 s[0:1], 1, v19
	s_andn2_b64 vcc, exec, s[8:9]
	s_mov_b64 s[4:5], -1
                                        ; implicit-def: $vgpr31
                                        ; implicit-def: $vgpr32
	s_cbranch_vccnz .LBB129_144
; %bb.135:                              ;   in Loop: Header=BB129_114 Depth=1
                                        ; implicit-def: $vgpr23
                                        ; implicit-def: $vgpr19
	s_and_saveexec_b64 s[4:5], s[2:3]
	s_xor_b64 s[12:13], exec, s[4:5]
	s_cbranch_execz .LBB129_141
; %bb.136:                              ;   in Loop: Header=BB129_114 Depth=1
	v_cmp_neq_f32_e32 vcc, 0, v24
	v_cmp_neq_f32_e64 s[4:5], 0, v25
	s_or_b64 s[4:5], vcc, s[4:5]
                                        ; implicit-def: $vgpr23
                                        ; implicit-def: $vgpr19
	s_and_saveexec_b64 s[14:15], s[4:5]
	s_xor_b64 s[4:5], exec, s[14:15]
	s_cbranch_execz .LBB129_138
; %bb.137:                              ;   in Loop: Header=BB129_114 Depth=1
	v_div_scale_f32 v19, s[14:15], v24, v24, v25
	v_div_scale_f32 v23, vcc, v25, v24, v25
	v_rcp_f32_e32 v31, v19
	v_fma_f32 v32, -v19, v31, 1.0
	v_fmac_f32_e32 v31, v32, v31
	v_mul_f32_e32 v32, v23, v31
	v_fma_f32 v33, -v19, v32, v23
	v_fmac_f32_e32 v32, v33, v31
	v_fma_f32 v19, -v19, v32, v23
	v_div_fmas_f32 v19, v19, v31, v32
	v_div_fixup_f32 v19, v19, v24, v25
	v_fma_f32 v23, v25, v19, v24
	v_div_scale_f32 v31, s[14:15], v23, v23, 1.0
	v_div_scale_f32 v32, vcc, 1.0, v23, 1.0
	v_rcp_f32_e32 v33, v31
	v_fma_f32 v34, -v31, v33, 1.0
	v_fmac_f32_e32 v33, v34, v33
	v_mul_f32_e32 v34, v32, v33
	v_fma_f32 v35, -v31, v34, v32
	v_fmac_f32_e32 v34, v35, v33
	v_fma_f32 v31, -v31, v34, v32
	v_div_fmas_f32 v31, v31, v33, v34
	v_fma_f32 v32, v21, v19, v20
	v_fma_f32 v33, -v20, v19, v21
	v_div_fixup_f32 v23, v31, v23, 1.0
	v_mul_f32_e32 v19, v32, v23
	v_mul_f32_e32 v23, v33, v23
.LBB129_138:                            ;   in Loop: Header=BB129_114 Depth=1
	s_andn2_saveexec_b64 s[14:15], s[4:5]
	s_cbranch_execz .LBB129_140
; %bb.139:                              ;   in Loop: Header=BB129_114 Depth=1
	v_div_scale_f32 v19, s[4:5], v22, v22, v20
	v_div_scale_f32 v23, s[4:5], v18, v18, v21
	v_div_scale_f32 v31, vcc, v20, v22, v20
	v_div_scale_f32 v32, s[4:5], v21, v18, v21
	v_rcp_f32_e32 v33, v19
	v_rcp_f32_e32 v34, v23
	v_fma_f32 v35, -v19, v33, 1.0
	v_fmac_f32_e32 v33, v35, v33
	v_fma_f32 v36, -v23, v34, 1.0
	v_fmac_f32_e32 v34, v36, v34
	v_mul_f32_e32 v35, v31, v33
	v_mul_f32_e32 v36, v32, v34
	v_fma_f32 v37, -v19, v35, v31
	v_fma_f32 v38, -v23, v36, v32
	v_fmac_f32_e32 v35, v37, v33
	v_fmac_f32_e32 v36, v38, v34
	v_fma_f32 v19, -v19, v35, v31
	v_fma_f32 v23, -v23, v36, v32
	v_div_fmas_f32 v19, v19, v33, v35
	s_mov_b64 vcc, s[4:5]
	v_div_fmas_f32 v23, v23, v34, v36
	v_div_fixup_f32 v19, v19, v22, v20
	v_div_fixup_f32 v23, v23, v18, v21
.LBB129_140:                            ;   in Loop: Header=BB129_114 Depth=1
	s_or_b64 exec, exec, s[14:15]
.LBB129_141:                            ;   in Loop: Header=BB129_114 Depth=1
	s_andn2_saveexec_b64 s[4:5], s[12:13]
	s_cbranch_execz .LBB129_143
; %bb.142:                              ;   in Loop: Header=BB129_114 Depth=1
	v_div_scale_f32 v19, s[12:13], v25, v25, v24
	v_div_scale_f32 v23, vcc, v24, v25, v24
	v_rcp_f32_e32 v31, v19
	v_fma_f32 v32, -v19, v31, 1.0
	v_fmac_f32_e32 v31, v32, v31
	v_mul_f32_e32 v32, v23, v31
	v_fma_f32 v33, -v19, v32, v23
	v_fmac_f32_e32 v32, v33, v31
	v_fma_f32 v19, -v19, v32, v23
	v_div_fmas_f32 v19, v19, v31, v32
	v_div_fixup_f32 v19, v19, v25, v24
	v_fma_f32 v23, v24, v19, v25
	v_div_scale_f32 v31, s[12:13], v23, v23, 1.0
	v_div_scale_f32 v32, vcc, 1.0, v23, 1.0
	v_rcp_f32_e32 v33, v31
	v_fma_f32 v34, -v31, v33, 1.0
	v_fmac_f32_e32 v33, v34, v33
	v_mul_f32_e32 v34, v32, v33
	v_fma_f32 v35, -v31, v34, v32
	v_fmac_f32_e32 v34, v35, v33
	v_fma_f32 v31, -v31, v34, v32
	v_div_fmas_f32 v31, v31, v33, v34
	v_fma_f32 v32, v20, v19, v21
	v_fma_f32 v33, v21, v19, -v20
	v_div_fixup_f32 v23, v31, v23, 1.0
	v_mul_f32_e32 v19, v32, v23
	v_mul_f32_e32 v23, v33, v23
.LBB129_143:                            ;   in Loop: Header=BB129_114 Depth=1
	s_or_b64 exec, exec, s[4:5]
	v_mul_f32_e32 v31, s17, v23
	v_fma_f32 v32, v19, s16, -v31
	v_mul_f32_e32 v31, s16, v23
	v_fmac_f32_e32 v31, s17, v19
	s_mov_b64 s[4:5], 0
.LBB129_144:                            ;   in Loop: Header=BB129_114 Depth=1
	s_and_b64 vcc, exec, s[4:5]
	s_cbranch_vccz .LBB129_154
; %bb.145:                              ;   in Loop: Header=BB129_114 Depth=1
                                        ; implicit-def: $vgpr31
                                        ; implicit-def: $vgpr32
	s_and_saveexec_b64 s[4:5], s[2:3]
	s_xor_b64 s[4:5], exec, s[4:5]
	s_cbranch_execz .LBB129_151
; %bb.146:                              ;   in Loop: Header=BB129_114 Depth=1
	v_cmp_neq_f32_e32 vcc, 0, v24
	v_cmp_neq_f32_e64 s[2:3], 0, v25
	s_or_b64 s[2:3], vcc, s[2:3]
                                        ; implicit-def: $vgpr31
                                        ; implicit-def: $vgpr32
	s_and_saveexec_b64 s[12:13], s[2:3]
	s_xor_b64 s[2:3], exec, s[12:13]
	s_cbranch_execz .LBB129_148
; %bb.147:                              ;   in Loop: Header=BB129_114 Depth=1
	v_div_scale_f32 v18, s[12:13], v24, v24, v25
	v_div_scale_f32 v19, vcc, v25, v24, v25
	v_rcp_f32_e32 v22, v18
	v_fma_f32 v23, -v18, v22, 1.0
	v_fmac_f32_e32 v22, v23, v22
	v_mul_f32_e32 v23, v19, v22
	v_fma_f32 v31, -v18, v23, v19
	v_fmac_f32_e32 v23, v31, v22
	v_fma_f32 v18, -v18, v23, v19
	v_div_fmas_f32 v18, v18, v22, v23
	v_div_fixup_f32 v18, v18, v24, v25
	v_fmac_f32_e32 v24, v25, v18
	v_div_scale_f32 v19, s[12:13], v24, v24, 1.0
	v_div_scale_f32 v22, vcc, 1.0, v24, 1.0
	v_rcp_f32_e32 v23, v19
	v_fma_f32 v25, -v19, v23, 1.0
	v_fmac_f32_e32 v23, v25, v23
	v_mul_f32_e32 v25, v22, v23
	v_fma_f32 v31, -v19, v25, v22
	v_fmac_f32_e32 v25, v31, v23
	v_fma_f32 v19, -v19, v25, v22
	v_div_fmas_f32 v19, v19, v23, v25
	v_fma_f32 v22, v21, v18, v20
	v_fma_f32 v18, -v20, v18, v21
	v_div_fixup_f32 v19, v19, v24, 1.0
	v_mul_f32_e32 v32, v22, v19
	v_mul_f32_e32 v31, v18, v19
                                        ; implicit-def: $vgpr18_vgpr19_vgpr20_vgpr21
                                        ; implicit-def: $vgpr22
                                        ; implicit-def: $vgpr18
.LBB129_148:                            ;   in Loop: Header=BB129_114 Depth=1
	s_andn2_saveexec_b64 s[12:13], s[2:3]
	s_cbranch_execz .LBB129_150
; %bb.149:                              ;   in Loop: Header=BB129_114 Depth=1
	v_div_scale_f32 v19, s[2:3], v22, v22, v20
	v_div_scale_f32 v23, s[2:3], v18, v18, v21
	v_div_scale_f32 v24, vcc, v20, v22, v20
	v_div_scale_f32 v25, s[2:3], v21, v18, v21
	v_rcp_f32_e32 v31, v19
	v_rcp_f32_e32 v32, v23
	v_fma_f32 v33, -v19, v31, 1.0
	v_fmac_f32_e32 v31, v33, v31
	v_fma_f32 v34, -v23, v32, 1.0
	v_fmac_f32_e32 v32, v34, v32
	v_mul_f32_e32 v33, v24, v31
	v_mul_f32_e32 v34, v25, v32
	v_fma_f32 v35, -v19, v33, v24
	v_fma_f32 v36, -v23, v34, v25
	v_fmac_f32_e32 v33, v35, v31
	v_fmac_f32_e32 v34, v36, v32
	v_fma_f32 v19, -v19, v33, v24
	v_fma_f32 v23, -v23, v34, v25
	v_div_fmas_f32 v19, v19, v31, v33
	s_mov_b64 vcc, s[2:3]
	v_div_fmas_f32 v23, v23, v32, v34
	v_div_fixup_f32 v32, v19, v22, v20
	v_div_fixup_f32 v31, v23, v18, v21
.LBB129_150:                            ;   in Loop: Header=BB129_114 Depth=1
	s_or_b64 exec, exec, s[12:13]
                                        ; implicit-def: $vgpr22_vgpr23_vgpr24_vgpr25
                                        ; implicit-def: $vgpr18_vgpr19_vgpr20_vgpr21
.LBB129_151:                            ;   in Loop: Header=BB129_114 Depth=1
	s_andn2_saveexec_b64 s[2:3], s[4:5]
	s_cbranch_execz .LBB129_153
; %bb.152:                              ;   in Loop: Header=BB129_114 Depth=1
	v_div_scale_f32 v18, s[4:5], v25, v25, v24
	v_div_scale_f32 v19, vcc, v24, v25, v24
	v_rcp_f32_e32 v22, v18
	v_fma_f32 v23, -v18, v22, 1.0
	v_fmac_f32_e32 v22, v23, v22
	v_mul_f32_e32 v23, v19, v22
	v_fma_f32 v31, -v18, v23, v19
	v_fmac_f32_e32 v23, v31, v22
	v_fma_f32 v18, -v18, v23, v19
	v_div_fmas_f32 v18, v18, v22, v23
	v_div_fixup_f32 v18, v18, v25, v24
	v_fmac_f32_e32 v25, v24, v18
	v_div_scale_f32 v19, s[4:5], v25, v25, 1.0
	v_div_scale_f32 v22, vcc, 1.0, v25, 1.0
	v_rcp_f32_e32 v23, v19
	v_fma_f32 v24, -v19, v23, 1.0
	v_fmac_f32_e32 v23, v24, v23
	v_mul_f32_e32 v24, v22, v23
	v_fma_f32 v31, -v19, v24, v22
	v_fmac_f32_e32 v24, v31, v23
	v_fma_f32 v19, -v19, v24, v22
	v_div_fmas_f32 v19, v19, v23, v24
	v_fma_f32 v22, v20, v18, v21
	v_fma_f32 v18, v21, v18, -v20
	v_div_fixup_f32 v19, v19, v25, 1.0
	v_mul_f32_e32 v32, v22, v19
	v_mul_f32_e32 v31, v18, v19
.LBB129_153:                            ;   in Loop: Header=BB129_114 Depth=1
	s_or_b64 exec, exec, s[2:3]
.LBB129_154:                            ;   in Loop: Header=BB129_114 Depth=1
	v_cmp_gt_f32_e32 vcc, 0, v14
	v_cndmask_b32_e64 v20, v14, -v14, vcc
	v_cmp_gt_f32_e32 vcc, 0, v15
	v_cndmask_b32_e64 v21, v15, -v15, vcc
	v_cmp_ge_f32_e64 s[2:3], v20, v21
	s_and_b64 vcc, exec, s[0:1]
	s_mov_b64 s[4:5], -1
                                        ; implicit-def: $vgpr18
                                        ; implicit-def: $vgpr19
	s_cbranch_vccnz .LBB129_164
; %bb.155:                              ;   in Loop: Header=BB129_114 Depth=1
                                        ; implicit-def: $vgpr18
                                        ; implicit-def: $vgpr22
	s_and_saveexec_b64 s[4:5], s[2:3]
	s_xor_b64 s[12:13], exec, s[4:5]
	s_cbranch_execz .LBB129_161
; %bb.156:                              ;   in Loop: Header=BB129_114 Depth=1
	v_cmp_neq_f32_e32 vcc, 0, v14
	v_cmp_neq_f32_e64 s[4:5], 0, v15
	s_or_b64 s[4:5], vcc, s[4:5]
                                        ; implicit-def: $vgpr18
                                        ; implicit-def: $vgpr22
	s_and_saveexec_b64 s[14:15], s[4:5]
	s_xor_b64 s[4:5], exec, s[14:15]
	s_cbranch_execz .LBB129_158
; %bb.157:                              ;   in Loop: Header=BB129_114 Depth=1
	v_div_scale_f32 v18, s[14:15], v14, v14, v15
	v_div_scale_f32 v19, vcc, v15, v14, v15
	v_rcp_f32_e32 v22, v18
	v_fma_f32 v23, -v18, v22, 1.0
	v_fmac_f32_e32 v22, v23, v22
	v_mul_f32_e32 v23, v19, v22
	v_fma_f32 v24, -v18, v23, v19
	v_fmac_f32_e32 v23, v24, v22
	v_fma_f32 v18, -v18, v23, v19
	v_div_fmas_f32 v18, v18, v22, v23
	v_div_fixup_f32 v18, v18, v14, v15
	v_fma_f32 v19, v15, v18, v14
	v_div_scale_f32 v22, s[14:15], v19, v19, 1.0
	v_div_scale_f32 v23, vcc, 1.0, v19, 1.0
	v_rcp_f32_e32 v24, v22
	v_fma_f32 v25, -v22, v24, 1.0
	v_fmac_f32_e32 v24, v25, v24
	v_mul_f32_e32 v25, v23, v24
	v_fma_f32 v33, -v22, v25, v23
	v_fmac_f32_e32 v25, v33, v24
	v_fma_f32 v22, -v22, v25, v23
	v_div_fmas_f32 v22, v22, v24, v25
	v_fma_f32 v23, v11, v18, v10
	v_fma_f32 v18, -v10, v18, v11
	v_div_fixup_f32 v19, v22, v19, 1.0
	v_mul_f32_e32 v22, v23, v19
	v_mul_f32_e32 v18, v18, v19
.LBB129_158:                            ;   in Loop: Header=BB129_114 Depth=1
	s_andn2_saveexec_b64 s[14:15], s[4:5]
	s_cbranch_execz .LBB129_160
; %bb.159:                              ;   in Loop: Header=BB129_114 Depth=1
	v_div_scale_f32 v18, s[4:5], v20, v20, v10
	v_div_scale_f32 v19, s[4:5], v21, v21, v11
	v_div_scale_f32 v22, vcc, v10, v20, v10
	v_div_scale_f32 v23, s[4:5], v11, v21, v11
	v_rcp_f32_e32 v24, v18
	v_rcp_f32_e32 v25, v19
	v_fma_f32 v33, -v18, v24, 1.0
	v_fmac_f32_e32 v24, v33, v24
	v_fma_f32 v34, -v19, v25, 1.0
	v_fmac_f32_e32 v25, v34, v25
	v_mul_f32_e32 v33, v22, v24
	v_mul_f32_e32 v34, v23, v25
	v_fma_f32 v35, -v18, v33, v22
	v_fma_f32 v36, -v19, v34, v23
	v_fmac_f32_e32 v33, v35, v24
	v_fmac_f32_e32 v34, v36, v25
	v_fma_f32 v18, -v18, v33, v22
	v_fma_f32 v19, -v19, v34, v23
	v_div_fmas_f32 v18, v18, v24, v33
	s_mov_b64 vcc, s[4:5]
	v_div_fmas_f32 v19, v19, v25, v34
	v_div_fixup_f32 v22, v18, v20, v10
	v_div_fixup_f32 v18, v19, v21, v11
.LBB129_160:                            ;   in Loop: Header=BB129_114 Depth=1
	s_or_b64 exec, exec, s[14:15]
.LBB129_161:                            ;   in Loop: Header=BB129_114 Depth=1
	s_andn2_saveexec_b64 s[4:5], s[12:13]
	s_cbranch_execz .LBB129_163
; %bb.162:                              ;   in Loop: Header=BB129_114 Depth=1
	v_div_scale_f32 v18, s[12:13], v15, v15, v14
	v_div_scale_f32 v19, vcc, v14, v15, v14
	v_rcp_f32_e32 v22, v18
	v_fma_f32 v23, -v18, v22, 1.0
	v_fmac_f32_e32 v22, v23, v22
	v_mul_f32_e32 v23, v19, v22
	v_fma_f32 v24, -v18, v23, v19
	v_fmac_f32_e32 v23, v24, v22
	v_fma_f32 v18, -v18, v23, v19
	v_div_fmas_f32 v18, v18, v22, v23
	v_div_fixup_f32 v18, v18, v15, v14
	v_fma_f32 v19, v14, v18, v15
	v_div_scale_f32 v22, s[12:13], v19, v19, 1.0
	v_div_scale_f32 v23, vcc, 1.0, v19, 1.0
	v_rcp_f32_e32 v24, v22
	v_fma_f32 v25, -v22, v24, 1.0
	v_fmac_f32_e32 v24, v25, v24
	v_mul_f32_e32 v25, v23, v24
	v_fma_f32 v33, -v22, v25, v23
	v_fmac_f32_e32 v25, v33, v24
	v_fma_f32 v22, -v22, v25, v23
	v_div_fmas_f32 v22, v22, v24, v25
	v_fma_f32 v23, v10, v18, v11
	v_fma_f32 v18, v11, v18, -v10
	v_div_fixup_f32 v19, v22, v19, 1.0
	v_mul_f32_e32 v22, v23, v19
	v_mul_f32_e32 v18, v18, v19
.LBB129_163:                            ;   in Loop: Header=BB129_114 Depth=1
	s_or_b64 exec, exec, s[4:5]
	v_mul_f32_e32 v19, s17, v18
	v_mul_f32_e32 v18, s16, v18
	v_fma_f32 v19, v22, s16, -v19
	v_fmac_f32_e32 v18, s17, v22
	s_mov_b64 s[4:5], 0
.LBB129_164:                            ;   in Loop: Header=BB129_114 Depth=1
	s_and_b64 vcc, exec, s[4:5]
	s_cbranch_vccz .LBB129_174
; %bb.165:                              ;   in Loop: Header=BB129_114 Depth=1
                                        ; implicit-def: $vgpr18
                                        ; implicit-def: $vgpr19
	s_and_saveexec_b64 s[4:5], s[2:3]
	s_xor_b64 s[4:5], exec, s[4:5]
	s_cbranch_execz .LBB129_171
; %bb.166:                              ;   in Loop: Header=BB129_114 Depth=1
	v_cmp_neq_f32_e32 vcc, 0, v14
	v_cmp_neq_f32_e64 s[2:3], 0, v15
	s_or_b64 s[2:3], vcc, s[2:3]
                                        ; implicit-def: $vgpr18
                                        ; implicit-def: $vgpr19
	s_and_saveexec_b64 s[12:13], s[2:3]
	s_xor_b64 s[2:3], exec, s[12:13]
	s_cbranch_execz .LBB129_168
; %bb.167:                              ;   in Loop: Header=BB129_114 Depth=1
	v_div_scale_f32 v18, s[12:13], v14, v14, v15
	v_div_scale_f32 v19, vcc, v15, v14, v15
	v_rcp_f32_e32 v20, v18
	v_fma_f32 v21, -v18, v20, 1.0
	v_fmac_f32_e32 v20, v21, v20
	v_mul_f32_e32 v21, v19, v20
	v_fma_f32 v22, -v18, v21, v19
	v_fmac_f32_e32 v21, v22, v20
	v_fma_f32 v18, -v18, v21, v19
	v_div_fmas_f32 v18, v18, v20, v21
	v_div_fixup_f32 v18, v18, v14, v15
	v_fma_f32 v19, v15, v18, v14
	v_div_scale_f32 v20, s[12:13], v19, v19, 1.0
	v_div_scale_f32 v21, vcc, 1.0, v19, 1.0
	v_rcp_f32_e32 v22, v20
	v_fma_f32 v23, -v20, v22, 1.0
	v_fmac_f32_e32 v22, v23, v22
	v_mul_f32_e32 v23, v21, v22
	v_fma_f32 v24, -v20, v23, v21
	v_fmac_f32_e32 v23, v24, v22
	v_fma_f32 v20, -v20, v23, v21
	v_div_fmas_f32 v20, v20, v22, v23
	v_fma_f32 v21, v11, v18, v10
	v_fma_f32 v18, -v10, v18, v11
	v_div_fixup_f32 v20, v20, v19, 1.0
	v_mul_f32_e32 v19, v21, v20
	v_mul_f32_e32 v18, v18, v20
                                        ; implicit-def: $vgpr20
                                        ; implicit-def: $vgpr21
.LBB129_168:                            ;   in Loop: Header=BB129_114 Depth=1
	s_andn2_saveexec_b64 s[12:13], s[2:3]
	s_cbranch_execz .LBB129_170
; %bb.169:                              ;   in Loop: Header=BB129_114 Depth=1
	v_div_scale_f32 v18, s[2:3], v20, v20, v10
	v_div_scale_f32 v19, s[2:3], v21, v21, v11
	v_div_scale_f32 v22, vcc, v10, v20, v10
	v_div_scale_f32 v23, s[2:3], v11, v21, v11
	v_rcp_f32_e32 v24, v18
	v_rcp_f32_e32 v25, v19
	v_fma_f32 v33, -v18, v24, 1.0
	v_fmac_f32_e32 v24, v33, v24
	v_fma_f32 v34, -v19, v25, 1.0
	v_fmac_f32_e32 v25, v34, v25
	v_mul_f32_e32 v33, v22, v24
	v_mul_f32_e32 v34, v23, v25
	v_fma_f32 v35, -v18, v33, v22
	v_fma_f32 v36, -v19, v34, v23
	v_fmac_f32_e32 v33, v35, v24
	v_fmac_f32_e32 v34, v36, v25
	v_fma_f32 v18, -v18, v33, v22
	v_fma_f32 v19, -v19, v34, v23
	v_div_fmas_f32 v18, v18, v24, v33
	s_mov_b64 vcc, s[2:3]
	v_div_fmas_f32 v22, v19, v25, v34
	v_div_fixup_f32 v19, v18, v20, v10
	v_div_fixup_f32 v18, v22, v21, v11
.LBB129_170:                            ;   in Loop: Header=BB129_114 Depth=1
	s_or_b64 exec, exec, s[12:13]
.LBB129_171:                            ;   in Loop: Header=BB129_114 Depth=1
	s_andn2_saveexec_b64 s[2:3], s[4:5]
	s_cbranch_execz .LBB129_173
; %bb.172:                              ;   in Loop: Header=BB129_114 Depth=1
	v_div_scale_f32 v18, s[4:5], v15, v15, v14
	v_div_scale_f32 v19, vcc, v14, v15, v14
	v_rcp_f32_e32 v20, v18
	v_fma_f32 v21, -v18, v20, 1.0
	v_fmac_f32_e32 v20, v21, v20
	v_mul_f32_e32 v21, v19, v20
	v_fma_f32 v22, -v18, v21, v19
	v_fmac_f32_e32 v21, v22, v20
	v_fma_f32 v18, -v18, v21, v19
	v_div_fmas_f32 v18, v18, v20, v21
	v_div_fixup_f32 v18, v18, v15, v14
	v_fma_f32 v14, v14, v18, v15
	v_div_scale_f32 v15, s[4:5], v14, v14, 1.0
	v_div_scale_f32 v19, vcc, 1.0, v14, 1.0
	v_rcp_f32_e32 v20, v15
	v_fma_f32 v21, -v15, v20, 1.0
	v_fmac_f32_e32 v20, v21, v20
	v_mul_f32_e32 v21, v19, v20
	v_fma_f32 v22, -v15, v21, v19
	v_fmac_f32_e32 v21, v22, v20
	v_fma_f32 v15, -v15, v21, v19
	v_div_fmas_f32 v15, v15, v20, v21
	v_fma_f32 v19, v10, v18, v11
	v_fma_f32 v10, v11, v18, -v10
	v_div_fixup_f32 v11, v15, v14, 1.0
	v_mul_f32_e32 v19, v19, v11
	v_mul_f32_e32 v18, v10, v11
.LBB129_173:                            ;   in Loop: Header=BB129_114 Depth=1
	s_or_b64 exec, exec, s[2:3]
.LBB129_174:                            ;   in Loop: Header=BB129_114 Depth=1
	v_cmp_gt_f32_e32 vcc, 0, v16
	v_cndmask_b32_e64 v14, v16, -v16, vcc
	v_cmp_gt_f32_e32 vcc, 0, v17
	v_cndmask_b32_e64 v10, v17, -v17, vcc
	v_cmp_ge_f32_e64 s[2:3], v14, v10
	s_and_b64 vcc, exec, s[0:1]
	s_mov_b64 s[0:1], -1
                                        ; implicit-def: $vgpr20
                                        ; implicit-def: $vgpr21
	s_cbranch_vccnz .LBB129_184
; %bb.175:                              ;   in Loop: Header=BB129_114 Depth=1
                                        ; implicit-def: $vgpr15
                                        ; implicit-def: $vgpr11
	s_and_saveexec_b64 s[0:1], s[2:3]
	s_xor_b64 s[4:5], exec, s[0:1]
	s_cbranch_execz .LBB129_181
; %bb.176:                              ;   in Loop: Header=BB129_114 Depth=1
	v_cmp_neq_f32_e32 vcc, 0, v16
	v_cmp_neq_f32_e64 s[0:1], 0, v17
	s_or_b64 s[0:1], vcc, s[0:1]
                                        ; implicit-def: $vgpr15
                                        ; implicit-def: $vgpr11
	s_and_saveexec_b64 s[12:13], s[0:1]
	s_xor_b64 s[0:1], exec, s[12:13]
	s_cbranch_execz .LBB129_178
; %bb.177:                              ;   in Loop: Header=BB129_114 Depth=1
	v_div_scale_f32 v11, s[12:13], v16, v16, v17
	v_div_scale_f32 v15, vcc, v17, v16, v17
	v_rcp_f32_e32 v20, v11
	v_fma_f32 v21, -v11, v20, 1.0
	v_fmac_f32_e32 v20, v21, v20
	v_mul_f32_e32 v21, v15, v20
	v_fma_f32 v22, -v11, v21, v15
	v_fmac_f32_e32 v21, v22, v20
	v_fma_f32 v11, -v11, v21, v15
	v_div_fmas_f32 v11, v11, v20, v21
	v_div_fixup_f32 v11, v11, v16, v17
	v_fma_f32 v15, v17, v11, v16
	v_div_scale_f32 v20, s[12:13], v15, v15, 1.0
	v_div_scale_f32 v21, vcc, 1.0, v15, 1.0
	v_rcp_f32_e32 v22, v20
	v_fma_f32 v23, -v20, v22, 1.0
	v_fmac_f32_e32 v22, v23, v22
	v_mul_f32_e32 v23, v21, v22
	v_fma_f32 v24, -v20, v23, v21
	v_fmac_f32_e32 v23, v24, v22
	v_fma_f32 v20, -v20, v23, v21
	v_div_fmas_f32 v20, v20, v22, v23
	v_fma_f32 v21, v13, v11, v12
	v_fma_f32 v22, -v12, v11, v13
	v_div_fixup_f32 v15, v20, v15, 1.0
	v_mul_f32_e32 v11, v21, v15
	v_mul_f32_e32 v15, v22, v15
.LBB129_178:                            ;   in Loop: Header=BB129_114 Depth=1
	s_andn2_saveexec_b64 s[12:13], s[0:1]
	s_cbranch_execz .LBB129_180
; %bb.179:                              ;   in Loop: Header=BB129_114 Depth=1
	v_div_scale_f32 v11, s[0:1], v14, v14, v12
	v_div_scale_f32 v15, s[0:1], v10, v10, v13
	v_div_scale_f32 v20, vcc, v12, v14, v12
	v_div_scale_f32 v21, s[0:1], v13, v10, v13
	v_rcp_f32_e32 v22, v11
	v_rcp_f32_e32 v23, v15
	v_fma_f32 v24, -v11, v22, 1.0
	v_fmac_f32_e32 v22, v24, v22
	v_fma_f32 v25, -v15, v23, 1.0
	v_fmac_f32_e32 v23, v25, v23
	v_mul_f32_e32 v24, v20, v22
	v_mul_f32_e32 v25, v21, v23
	v_fma_f32 v33, -v11, v24, v20
	v_fma_f32 v34, -v15, v25, v21
	v_fmac_f32_e32 v24, v33, v22
	v_fmac_f32_e32 v25, v34, v23
	v_fma_f32 v11, -v11, v24, v20
	v_fma_f32 v15, -v15, v25, v21
	v_div_fmas_f32 v11, v11, v22, v24
	s_mov_b64 vcc, s[0:1]
	v_div_fmas_f32 v15, v15, v23, v25
	v_div_fixup_f32 v11, v11, v14, v12
	v_div_fixup_f32 v15, v15, v10, v13
.LBB129_180:                            ;   in Loop: Header=BB129_114 Depth=1
	s_or_b64 exec, exec, s[12:13]
.LBB129_181:                            ;   in Loop: Header=BB129_114 Depth=1
	s_andn2_saveexec_b64 s[0:1], s[4:5]
	s_cbranch_execz .LBB129_183
; %bb.182:                              ;   in Loop: Header=BB129_114 Depth=1
	v_div_scale_f32 v11, s[4:5], v17, v17, v16
	v_div_scale_f32 v15, vcc, v16, v17, v16
	v_rcp_f32_e32 v20, v11
	v_fma_f32 v21, -v11, v20, 1.0
	v_fmac_f32_e32 v20, v21, v20
	v_mul_f32_e32 v21, v15, v20
	v_fma_f32 v22, -v11, v21, v15
	v_fmac_f32_e32 v21, v22, v20
	v_fma_f32 v11, -v11, v21, v15
	v_div_fmas_f32 v11, v11, v20, v21
	v_div_fixup_f32 v11, v11, v17, v16
	v_fma_f32 v15, v16, v11, v17
	v_div_scale_f32 v20, s[4:5], v15, v15, 1.0
	v_div_scale_f32 v21, vcc, 1.0, v15, 1.0
	v_rcp_f32_e32 v22, v20
	v_fma_f32 v23, -v20, v22, 1.0
	v_fmac_f32_e32 v22, v23, v22
	v_mul_f32_e32 v23, v21, v22
	v_fma_f32 v24, -v20, v23, v21
	v_fmac_f32_e32 v23, v24, v22
	v_fma_f32 v20, -v20, v23, v21
	v_div_fmas_f32 v20, v20, v22, v23
	v_fma_f32 v21, v12, v11, v13
	v_fma_f32 v22, v13, v11, -v12
	v_div_fixup_f32 v15, v20, v15, 1.0
	v_mul_f32_e32 v11, v21, v15
	v_mul_f32_e32 v15, v22, v15
.LBB129_183:                            ;   in Loop: Header=BB129_114 Depth=1
	s_or_b64 exec, exec, s[0:1]
	v_mul_f32_e32 v20, s17, v15
	v_fma_f32 v21, v11, s16, -v20
	v_mul_f32_e32 v20, s16, v15
	v_fmac_f32_e32 v20, s17, v11
	s_mov_b64 s[0:1], 0
.LBB129_184:                            ;   in Loop: Header=BB129_114 Depth=1
	s_and_b64 vcc, exec, s[0:1]
	s_cbranch_vccz .LBB129_113
; %bb.185:                              ;   in Loop: Header=BB129_114 Depth=1
                                        ; implicit-def: $vgpr20
                                        ; implicit-def: $vgpr21
	s_and_saveexec_b64 s[0:1], s[2:3]
	s_xor_b64 s[2:3], exec, s[0:1]
	s_cbranch_execz .LBB129_191
; %bb.186:                              ;   in Loop: Header=BB129_114 Depth=1
	v_cmp_neq_f32_e32 vcc, 0, v16
	v_cmp_neq_f32_e64 s[0:1], 0, v17
	s_or_b64 s[0:1], vcc, s[0:1]
                                        ; implicit-def: $vgpr20
                                        ; implicit-def: $vgpr21
	s_and_saveexec_b64 s[4:5], s[0:1]
	s_xor_b64 s[0:1], exec, s[4:5]
	s_cbranch_execz .LBB129_188
; %bb.187:                              ;   in Loop: Header=BB129_114 Depth=1
	v_div_scale_f32 v10, s[4:5], v16, v16, v17
	v_div_scale_f32 v11, vcc, v17, v16, v17
	v_rcp_f32_e32 v14, v10
	v_fma_f32 v15, -v10, v14, 1.0
	v_fmac_f32_e32 v14, v15, v14
	v_mul_f32_e32 v15, v11, v14
	v_fma_f32 v20, -v10, v15, v11
	v_fmac_f32_e32 v15, v20, v14
	v_fma_f32 v10, -v10, v15, v11
	v_div_fmas_f32 v10, v10, v14, v15
	v_div_fixup_f32 v10, v10, v16, v17
	v_fmac_f32_e32 v16, v17, v10
	v_div_scale_f32 v11, s[4:5], v16, v16, 1.0
	v_div_scale_f32 v14, vcc, 1.0, v16, 1.0
	v_rcp_f32_e32 v15, v11
	v_fma_f32 v17, -v11, v15, 1.0
	v_fmac_f32_e32 v15, v17, v15
	v_mul_f32_e32 v17, v14, v15
	v_fma_f32 v20, -v11, v17, v14
	v_fmac_f32_e32 v17, v20, v15
	v_fma_f32 v11, -v11, v17, v14
	v_div_fmas_f32 v11, v11, v15, v17
	v_fma_f32 v14, v13, v10, v12
	v_fma_f32 v10, -v12, v10, v13
	v_div_fixup_f32 v11, v11, v16, 1.0
	v_mul_f32_e32 v21, v14, v11
	v_mul_f32_e32 v20, v10, v11
                                        ; implicit-def: $vgpr10_vgpr11_vgpr12_vgpr13
                                        ; implicit-def: $vgpr14
                                        ; implicit-def: $vgpr10
.LBB129_188:                            ;   in Loop: Header=BB129_114 Depth=1
	s_andn2_saveexec_b64 s[4:5], s[0:1]
	s_cbranch_execz .LBB129_190
; %bb.189:                              ;   in Loop: Header=BB129_114 Depth=1
	v_div_scale_f32 v11, s[0:1], v14, v14, v12
	v_div_scale_f32 v15, s[0:1], v10, v10, v13
	v_div_scale_f32 v16, vcc, v12, v14, v12
	v_div_scale_f32 v17, s[0:1], v13, v10, v13
	v_rcp_f32_e32 v20, v11
	v_rcp_f32_e32 v21, v15
	v_fma_f32 v22, -v11, v20, 1.0
	v_fmac_f32_e32 v20, v22, v20
	v_fma_f32 v23, -v15, v21, 1.0
	v_fmac_f32_e32 v21, v23, v21
	v_mul_f32_e32 v22, v16, v20
	v_mul_f32_e32 v23, v17, v21
	v_fma_f32 v24, -v11, v22, v16
	v_fma_f32 v25, -v15, v23, v17
	v_fmac_f32_e32 v22, v24, v20
	v_fmac_f32_e32 v23, v25, v21
	v_fma_f32 v11, -v11, v22, v16
	v_fma_f32 v15, -v15, v23, v17
	v_div_fmas_f32 v11, v11, v20, v22
	s_mov_b64 vcc, s[0:1]
	v_div_fmas_f32 v15, v15, v21, v23
	v_div_fixup_f32 v21, v11, v14, v12
	v_div_fixup_f32 v20, v15, v10, v13
.LBB129_190:                            ;   in Loop: Header=BB129_114 Depth=1
	s_or_b64 exec, exec, s[4:5]
                                        ; implicit-def: $vgpr14_vgpr15_vgpr16_vgpr17
                                        ; implicit-def: $vgpr10_vgpr11_vgpr12_vgpr13
.LBB129_191:                            ;   in Loop: Header=BB129_114 Depth=1
	s_andn2_saveexec_b64 s[0:1], s[2:3]
	s_cbranch_execz .LBB129_112
; %bb.192:                              ;   in Loop: Header=BB129_114 Depth=1
	v_div_scale_f32 v10, s[2:3], v17, v17, v16
	v_div_scale_f32 v11, vcc, v16, v17, v16
	v_rcp_f32_e32 v14, v10
	v_fma_f32 v15, -v10, v14, 1.0
	v_fmac_f32_e32 v14, v15, v14
	v_mul_f32_e32 v15, v11, v14
	v_fma_f32 v20, -v10, v15, v11
	v_fmac_f32_e32 v15, v20, v14
	v_fma_f32 v10, -v10, v15, v11
	v_div_fmas_f32 v10, v10, v14, v15
	v_div_fixup_f32 v10, v10, v17, v16
	v_fmac_f32_e32 v17, v16, v10
	v_div_scale_f32 v11, s[2:3], v17, v17, 1.0
	v_div_scale_f32 v14, vcc, 1.0, v17, 1.0
	v_rcp_f32_e32 v15, v11
	v_fma_f32 v16, -v11, v15, 1.0
	v_fmac_f32_e32 v15, v16, v15
	v_mul_f32_e32 v16, v14, v15
	v_fma_f32 v20, -v11, v16, v14
	v_fmac_f32_e32 v16, v20, v15
	v_fma_f32 v11, -v11, v16, v14
	v_div_fmas_f32 v11, v11, v15, v16
	v_fma_f32 v14, v12, v10, v13
	v_fma_f32 v10, v13, v10, -v12
	v_div_fixup_f32 v11, v11, v17, 1.0
	v_mul_f32_e32 v21, v14, v11
	v_mul_f32_e32 v20, v10, v11
	s_branch .LBB129_112
.LBB129_193:
	s_endpgm
	.section	.rodata,"a",@progbits
	.p2align	6, 0x0
	.amdhsa_kernel _ZN2at6native12_GLOBAL__N_125multi_tensor_apply_kernelINS1_28TensorListScalarListMetadataIN3c107complexIfEELi3EEENS1_28PointwiseOpScalarListFunctorIS6_Li3ELi3ELi0EEEJSt7dividesIS6_EEEEvT_T0_DpT1_
		.amdhsa_group_segment_fixed_size 0
		.amdhsa_private_segment_fixed_size 0
		.amdhsa_kernarg_size 3784
		.amdhsa_user_sgpr_count 6
		.amdhsa_user_sgpr_private_segment_buffer 1
		.amdhsa_user_sgpr_dispatch_ptr 0
		.amdhsa_user_sgpr_queue_ptr 0
		.amdhsa_user_sgpr_kernarg_segment_ptr 1
		.amdhsa_user_sgpr_dispatch_id 0
		.amdhsa_user_sgpr_flat_scratch_init 0
		.amdhsa_user_sgpr_private_segment_size 0
		.amdhsa_uses_dynamic_stack 0
		.amdhsa_system_sgpr_private_segment_wavefront_offset 0
		.amdhsa_system_sgpr_workgroup_id_x 1
		.amdhsa_system_sgpr_workgroup_id_y 0
		.amdhsa_system_sgpr_workgroup_id_z 0
		.amdhsa_system_sgpr_workgroup_info 0
		.amdhsa_system_vgpr_workitem_id 0
		.amdhsa_next_free_vgpr 64
		.amdhsa_next_free_sgpr 43
		.amdhsa_reserve_vcc 1
		.amdhsa_reserve_flat_scratch 0
		.amdhsa_float_round_mode_32 0
		.amdhsa_float_round_mode_16_64 0
		.amdhsa_float_denorm_mode_32 3
		.amdhsa_float_denorm_mode_16_64 3
		.amdhsa_dx10_clamp 1
		.amdhsa_ieee_mode 1
		.amdhsa_fp16_overflow 0
		.amdhsa_exception_fp_ieee_invalid_op 0
		.amdhsa_exception_fp_denorm_src 0
		.amdhsa_exception_fp_ieee_div_zero 0
		.amdhsa_exception_fp_ieee_overflow 0
		.amdhsa_exception_fp_ieee_underflow 0
		.amdhsa_exception_fp_ieee_inexact 0
		.amdhsa_exception_int_div_zero 0
	.end_amdhsa_kernel
	.section	.text._ZN2at6native12_GLOBAL__N_125multi_tensor_apply_kernelINS1_28TensorListScalarListMetadataIN3c107complexIfEELi3EEENS1_28PointwiseOpScalarListFunctorIS6_Li3ELi3ELi0EEEJSt7dividesIS6_EEEEvT_T0_DpT1_,"axG",@progbits,_ZN2at6native12_GLOBAL__N_125multi_tensor_apply_kernelINS1_28TensorListScalarListMetadataIN3c107complexIfEELi3EEENS1_28PointwiseOpScalarListFunctorIS6_Li3ELi3ELi0EEEJSt7dividesIS6_EEEEvT_T0_DpT1_,comdat
.Lfunc_end129:
	.size	_ZN2at6native12_GLOBAL__N_125multi_tensor_apply_kernelINS1_28TensorListScalarListMetadataIN3c107complexIfEELi3EEENS1_28PointwiseOpScalarListFunctorIS6_Li3ELi3ELi0EEEJSt7dividesIS6_EEEEvT_T0_DpT1_, .Lfunc_end129-_ZN2at6native12_GLOBAL__N_125multi_tensor_apply_kernelINS1_28TensorListScalarListMetadataIN3c107complexIfEELi3EEENS1_28PointwiseOpScalarListFunctorIS6_Li3ELi3ELi0EEEJSt7dividesIS6_EEEEvT_T0_DpT1_
                                        ; -- End function
	.set _ZN2at6native12_GLOBAL__N_125multi_tensor_apply_kernelINS1_28TensorListScalarListMetadataIN3c107complexIfEELi3EEENS1_28PointwiseOpScalarListFunctorIS6_Li3ELi3ELi0EEEJSt7dividesIS6_EEEEvT_T0_DpT1_.num_vgpr, 64
	.set _ZN2at6native12_GLOBAL__N_125multi_tensor_apply_kernelINS1_28TensorListScalarListMetadataIN3c107complexIfEELi3EEENS1_28PointwiseOpScalarListFunctorIS6_Li3ELi3ELi0EEEJSt7dividesIS6_EEEEvT_T0_DpT1_.num_agpr, 0
	.set _ZN2at6native12_GLOBAL__N_125multi_tensor_apply_kernelINS1_28TensorListScalarListMetadataIN3c107complexIfEELi3EEENS1_28PointwiseOpScalarListFunctorIS6_Li3ELi3ELi0EEEJSt7dividesIS6_EEEEvT_T0_DpT1_.numbered_sgpr, 43
	.set _ZN2at6native12_GLOBAL__N_125multi_tensor_apply_kernelINS1_28TensorListScalarListMetadataIN3c107complexIfEELi3EEENS1_28PointwiseOpScalarListFunctorIS6_Li3ELi3ELi0EEEJSt7dividesIS6_EEEEvT_T0_DpT1_.num_named_barrier, 0
	.set _ZN2at6native12_GLOBAL__N_125multi_tensor_apply_kernelINS1_28TensorListScalarListMetadataIN3c107complexIfEELi3EEENS1_28PointwiseOpScalarListFunctorIS6_Li3ELi3ELi0EEEJSt7dividesIS6_EEEEvT_T0_DpT1_.private_seg_size, 0
	.set _ZN2at6native12_GLOBAL__N_125multi_tensor_apply_kernelINS1_28TensorListScalarListMetadataIN3c107complexIfEELi3EEENS1_28PointwiseOpScalarListFunctorIS6_Li3ELi3ELi0EEEJSt7dividesIS6_EEEEvT_T0_DpT1_.uses_vcc, 1
	.set _ZN2at6native12_GLOBAL__N_125multi_tensor_apply_kernelINS1_28TensorListScalarListMetadataIN3c107complexIfEELi3EEENS1_28PointwiseOpScalarListFunctorIS6_Li3ELi3ELi0EEEJSt7dividesIS6_EEEEvT_T0_DpT1_.uses_flat_scratch, 0
	.set _ZN2at6native12_GLOBAL__N_125multi_tensor_apply_kernelINS1_28TensorListScalarListMetadataIN3c107complexIfEELi3EEENS1_28PointwiseOpScalarListFunctorIS6_Li3ELi3ELi0EEEJSt7dividesIS6_EEEEvT_T0_DpT1_.has_dyn_sized_stack, 0
	.set _ZN2at6native12_GLOBAL__N_125multi_tensor_apply_kernelINS1_28TensorListScalarListMetadataIN3c107complexIfEELi3EEENS1_28PointwiseOpScalarListFunctorIS6_Li3ELi3ELi0EEEJSt7dividesIS6_EEEEvT_T0_DpT1_.has_recursion, 0
	.set _ZN2at6native12_GLOBAL__N_125multi_tensor_apply_kernelINS1_28TensorListScalarListMetadataIN3c107complexIfEELi3EEENS1_28PointwiseOpScalarListFunctorIS6_Li3ELi3ELi0EEEJSt7dividesIS6_EEEEvT_T0_DpT1_.has_indirect_call, 0
	.section	.AMDGPU.csdata,"",@progbits
; Kernel info:
; codeLenInByte = 11404
; TotalNumSgprs: 47
; NumVgprs: 64
; ScratchSize: 0
; MemoryBound: 1
; FloatMode: 240
; IeeeMode: 1
; LDSByteSize: 0 bytes/workgroup (compile time only)
; SGPRBlocks: 5
; VGPRBlocks: 15
; NumSGPRsForWavesPerEU: 47
; NumVGPRsForWavesPerEU: 64
; Occupancy: 4
; WaveLimiterHint : 1
; COMPUTE_PGM_RSRC2:SCRATCH_EN: 0
; COMPUTE_PGM_RSRC2:USER_SGPR: 6
; COMPUTE_PGM_RSRC2:TRAP_HANDLER: 0
; COMPUTE_PGM_RSRC2:TGID_X_EN: 1
; COMPUTE_PGM_RSRC2:TGID_Y_EN: 0
; COMPUTE_PGM_RSRC2:TGID_Z_EN: 0
; COMPUTE_PGM_RSRC2:TIDIG_COMP_CNT: 0
	.section	.text._ZN2at6native12_GLOBAL__N_125multi_tensor_apply_kernelINS1_28TensorListScalarListMetadataIfLi3EEENS1_28PointwiseOpScalarListFunctorIN3c104HalfELi3ELi3ELi0EEEJSt7dividesIfEEEEvT_T0_DpT1_,"axG",@progbits,_ZN2at6native12_GLOBAL__N_125multi_tensor_apply_kernelINS1_28TensorListScalarListMetadataIfLi3EEENS1_28PointwiseOpScalarListFunctorIN3c104HalfELi3ELi3ELi0EEEJSt7dividesIfEEEEvT_T0_DpT1_,comdat
	.globl	_ZN2at6native12_GLOBAL__N_125multi_tensor_apply_kernelINS1_28TensorListScalarListMetadataIfLi3EEENS1_28PointwiseOpScalarListFunctorIN3c104HalfELi3ELi3ELi0EEEJSt7dividesIfEEEEvT_T0_DpT1_ ; -- Begin function _ZN2at6native12_GLOBAL__N_125multi_tensor_apply_kernelINS1_28TensorListScalarListMetadataIfLi3EEENS1_28PointwiseOpScalarListFunctorIN3c104HalfELi3ELi3ELi0EEEJSt7dividesIfEEEEvT_T0_DpT1_
	.p2align	8
	.type	_ZN2at6native12_GLOBAL__N_125multi_tensor_apply_kernelINS1_28TensorListScalarListMetadataIfLi3EEENS1_28PointwiseOpScalarListFunctorIN3c104HalfELi3ELi3ELi0EEEJSt7dividesIfEEEEvT_T0_DpT1_,@function
_ZN2at6native12_GLOBAL__N_125multi_tensor_apply_kernelINS1_28TensorListScalarListMetadataIfLi3EEENS1_28PointwiseOpScalarListFunctorIN3c104HalfELi3ELi3ELi0EEEJSt7dividesIfEEEEvT_T0_DpT1_: ; @_ZN2at6native12_GLOBAL__N_125multi_tensor_apply_kernelINS1_28TensorListScalarListMetadataIfLi3EEENS1_28PointwiseOpScalarListFunctorIN3c104HalfELi3ELi3ELi0EEEJSt7dividesIfEEEEvT_T0_DpT1_
; %bb.0:
	v_mov_b32_e32 v1, s6
	global_load_ubyte v1, v1, s[4:5] offset:1728
	s_add_u32 s0, s4, s6
	s_mul_i32 s1, s6, 3
	s_addc_u32 s2, s5, 0
	s_mul_hi_u32 s3, s6, 3
	s_add_u32 s0, s0, s1
	s_addc_u32 s1, s2, s3
	s_load_dword s0, s[0:1], 0x800
	s_mov_b32 s11, 0
	s_mov_b32 s17, s11
	s_waitcnt lgkmcnt(0)
	s_ashr_i32 s1, s0, 31
	s_waitcnt vmcnt(0)
	v_readfirstlane_b32 s2, v1
	v_lshlrev_b32_e32 v1, 2, v1
	v_sub_co_u32_e32 v1, vcc, 0, v1
	s_lshl_b32 s10, s2, 3
	v_subb_co_u32_e64 v2, s[2:3], 0, 0, vcc
	s_load_dwordx2 s[18:19], s[4:5], s10 offset:0x480
	s_load_dwordx2 s[8:9], s[4:5], s10 offset:0x0
	;; [unrolled: 1-line block ×4, first 2 shown]
	s_add_u32 s14, s4, s10
	s_addc_u32 s10, s5, 0
	s_lshl_b64 s[12:13], s[0:1], 17
	s_waitcnt lgkmcnt(0)
	s_add_u32 s24, s8, s12
	v_mov_b32_e32 v3, s10
	s_addc_u32 s26, s9, s13
	s_and_b32 s10, s24, 7
	v_add_co_u32_e32 v1, vcc, s14, v1
	s_add_u32 s27, s6, s12
	v_addc_co_u32_e32 v2, vcc, v3, v2, vcc
	s_addc_u32 s28, s7, s13
	v_readfirstlane_b32 s14, v1
	v_readfirstlane_b32 s15, v2
	s_add_u32 s29, s2, s12
	s_load_dword s25, s[14:15], 0x600
	s_addc_u32 s30, s3, s13
	s_or_b32 s14, s29, s27
	s_and_b32 s14, s14, 7
	s_cmp_eq_u32 s14, 0
	s_cselect_b64 s[20:21], -1, 0
	s_lshl_b64 s[0:1], s[0:1], 16
	s_sub_u32 s14, s18, s0
	s_subb_u32 s15, s19, s1
	s_and_b32 s16, s18, 3
	s_or_b64 s[0:1], s[10:11], s[16:17]
	s_cmp_eq_u64 s[0:1], 0
	s_cselect_b64 s[0:1], -1, 0
	s_and_b64 s[10:11], s[20:21], s[0:1]
	s_mov_b64 s[0:1], -1
	s_and_b64 vcc, exec, s[10:11]
	s_cbranch_vccnz .LBB130_29
; %bb.1:
	v_cmp_lt_i64_e64 s[0:1], s[14:15], 1
	s_and_b64 vcc, exec, s[0:1]
	s_cbranch_vccnz .LBB130_28
; %bb.2:
	v_mov_b32_e32 v1, 0x10000
	s_load_dword s10, s[4:5], 0xd14
	v_mov_b32_e32 v2, 0
	v_cmp_lt_i64_e32 vcc, s[14:15], v[1:2]
	v_mov_b32_e32 v18, 0
	s_and_b64 s[0:1], vcc, exec
	s_cselect_b32 s17, s15, 0
	s_cselect_b32 s16, s14, 0x10000
	s_waitcnt lgkmcnt(0)
	s_and_b32 s10, s10, 0xffff
	v_lshlrev_b32_e32 v17, 1, v0
	v_mad_u64_u32 v[5:6], s[0:1], s10, 6, v[17:18]
	v_cmp_lt_u64_e32 vcc, s[14:15], v[1:2]
	v_mov_b32_e32 v2, s9
	s_and_b64 s[0:1], vcc, exec
	v_add_co_u32_e32 v1, vcc, s8, v5
	v_addc_co_u32_e32 v2, vcc, v2, v6, vcc
	v_mov_b32_e32 v4, s7
	v_add_co_u32_e32 v3, vcc, s6, v5
	v_addc_co_u32_e32 v4, vcc, v4, v6, vcc
	v_mov_b32_e32 v7, s3
	v_add_co_u32_e32 v5, vcc, s2, v5
	s_cselect_b32 s19, s15, 0
	s_cselect_b32 s18, s14, 0x10000
	s_lshl_b32 s31, s10, 2
	v_addc_co_u32_e32 v6, vcc, v7, v6, vcc
	v_add_co_u32_e32 v11, vcc, s31, v17
	v_addc_co_u32_e64 v12, s[0:1], 0, 0, vcc
	v_mov_b32_e32 v8, s9
	v_add_co_u32_e32 v7, vcc, s8, v11
	v_addc_co_u32_e32 v8, vcc, v8, v12, vcc
	v_mov_b32_e32 v10, s7
	v_add_co_u32_e32 v9, vcc, s6, v11
	v_addc_co_u32_e32 v10, vcc, v10, v12, vcc
	;; [unrolled: 3-line block ×6, first 2 shown]
	v_add_co_u32_e32 v19, vcc, s10, v0
	v_lshlrev_b32_e32 v25, 1, v19
	s_lshl_b32 s22, s10, 1
	s_mul_i32 s23, s10, 3
	s_lshl_b32 s33, s10, 3
	v_addc_co_u32_e64 v20, s[10:11], 0, 0, vcc
	v_mov_b32_e32 v22, s9
	v_add_co_u32_e32 v21, vcc, s8, v25
	v_addc_co_u32_e32 v22, vcc, 0, v22, vcc
	v_mov_b32_e32 v24, s7
	v_add_co_u32_e32 v23, vcc, s6, v25
	v_addc_co_u32_e32 v24, vcc, 0, v24, vcc
	;; [unrolled: 3-line block ×3, first 2 shown]
	v_add_co_u32_e32 v27, vcc, s23, v0
	v_addc_co_u32_e64 v28, s[2:3], 0, 0, vcc
	v_add_co_u32_e32 v29, vcc, s22, v0
	v_cmp_eq_f32_e64 s[0:1], s25, 1.0
	s_mov_b64 s[20:21], 0
	v_addc_co_u32_e64 v30, s[2:3], 0, 0, vcc
	s_branch .LBB130_4
.LBB130_3:                              ;   in Loop: Header=BB130_4 Depth=1
	s_or_b64 exec, exec, s[2:3]
	v_add_co_u32_e32 v13, vcc, s33, v13
	v_addc_co_u32_e32 v14, vcc, 0, v14, vcc
	v_add_co_u32_e32 v15, vcc, s33, v15
	v_addc_co_u32_e32 v16, vcc, 0, v16, vcc
	;; [unrolled: 2-line block ×10, first 2 shown]
	s_add_u32 s20, s20, s31
	v_add_co_u32_e32 v23, vcc, s33, v23
	v_mov_b32_e32 v32, s17
	s_addc_u32 s21, s21, 0
	v_addc_co_u32_e32 v24, vcc, 0, v24, vcc
	v_mov_b32_e32 v31, s16
	v_cmp_lt_i64_e32 vcc, s[20:21], v[31:32]
	v_add_co_u32_e64 v25, s[2:3], s33, v25
	v_addc_co_u32_e64 v26, s[2:3], 0, v26, s[2:3]
	s_cbranch_vccz .LBB130_28
.LBB130_4:                              ; =>This Inner Loop Header: Depth=1
	v_mov_b32_e32 v32, s21
	v_add_co_u32_e32 v31, vcc, s20, v0
	v_addc_co_u32_e32 v32, vcc, 0, v32, vcc
	v_cmp_gt_u64_e32 vcc, s[18:19], v[31:32]
	v_mov_b32_e32 v33, 0
	v_mov_b32_e32 v32, 0
	s_and_saveexec_b64 s[6:7], vcc
	s_cbranch_execz .LBB130_6
; %bb.5:                                ;   in Loop: Header=BB130_4 Depth=1
	v_mov_b32_e32 v34, s13
	v_add_co_u32_e64 v31, s[2:3], s12, v15
	v_addc_co_u32_e64 v32, s[2:3], v16, v34, s[2:3]
	v_add_co_u32_e64 v33, s[2:3], s12, v13
	v_addc_co_u32_e64 v34, s[2:3], v14, v34, s[2:3]
	global_load_ushort v35, v[33:34], off
	global_load_ushort v36, v[31:32], off
	s_waitcnt vmcnt(1)
	v_cvt_f32_f16_e32 v32, v35
	s_waitcnt vmcnt(0)
	v_cvt_f32_f16_e32 v33, v36
.LBB130_6:                              ;   in Loop: Header=BB130_4 Depth=1
	s_or_b64 exec, exec, s[6:7]
	v_mov_b32_e32 v31, 0
	v_mov_b32_e32 v37, 0
	s_and_saveexec_b64 s[6:7], vcc
	s_cbranch_execz .LBB130_8
; %bb.7:                                ;   in Loop: Header=BB130_4 Depth=1
	v_mov_b32_e32 v35, s13
	v_add_co_u32_e64 v34, s[2:3], s12, v17
	v_addc_co_u32_e64 v35, s[2:3], v18, v35, s[2:3]
	global_load_ushort v34, v[34:35], off
	s_waitcnt vmcnt(0)
	v_cvt_f32_f16_e32 v37, v34
.LBB130_8:                              ;   in Loop: Header=BB130_4 Depth=1
	s_or_b64 exec, exec, s[6:7]
	v_mov_b32_e32 v35, s21
	v_add_co_u32_e64 v34, s[2:3], s20, v19
	v_addc_co_u32_e64 v35, s[2:3], v20, v35, s[2:3]
	v_cmp_gt_u64_e64 s[2:3], s[18:19], v[34:35]
	v_mov_b32_e32 v35, 0
	s_and_saveexec_b64 s[8:9], s[2:3]
	s_cbranch_execz .LBB130_10
; %bb.9:                                ;   in Loop: Header=BB130_4 Depth=1
	v_mov_b32_e32 v31, s13
	v_add_co_u32_e64 v34, s[6:7], s12, v23
	v_addc_co_u32_e64 v35, s[6:7], v24, v31, s[6:7]
	v_add_co_u32_e64 v38, s[6:7], s12, v21
	v_addc_co_u32_e64 v39, s[6:7], v22, v31, s[6:7]
	global_load_ushort v31, v[38:39], off
	global_load_ushort v36, v[34:35], off
	s_waitcnt vmcnt(1)
	v_cvt_f32_f16_e32 v35, v31
	s_waitcnt vmcnt(0)
	v_cvt_f32_f16_e32 v31, v36
.LBB130_10:                             ;   in Loop: Header=BB130_4 Depth=1
	s_or_b64 exec, exec, s[8:9]
	v_mov_b32_e32 v34, 0
	v_mov_b32_e32 v39, 0
	s_and_saveexec_b64 s[8:9], s[2:3]
	s_cbranch_execz .LBB130_12
; %bb.11:                               ;   in Loop: Header=BB130_4 Depth=1
	v_mov_b32_e32 v36, s13
	v_add_co_u32_e64 v38, s[6:7], s12, v25
	v_addc_co_u32_e64 v39, s[6:7], v26, v36, s[6:7]
	global_load_ushort v36, v[38:39], off
	s_waitcnt vmcnt(0)
	v_cvt_f32_f16_e32 v39, v36
.LBB130_12:                             ;   in Loop: Header=BB130_4 Depth=1
	s_or_b64 exec, exec, s[8:9]
	v_mov_b32_e32 v36, s21
	v_add_co_u32_e64 v40, s[6:7], s20, v29
	v_addc_co_u32_e64 v41, s[6:7], v30, v36, s[6:7]
	v_cmp_gt_u64_e64 s[6:7], s[18:19], v[40:41]
	v_mov_b32_e32 v38, 0
	s_and_saveexec_b64 s[10:11], s[6:7]
	s_cbranch_execz .LBB130_14
; %bb.13:                               ;   in Loop: Header=BB130_4 Depth=1
	v_mov_b32_e32 v34, s13
	v_add_co_u32_e64 v40, s[8:9], s12, v9
	v_addc_co_u32_e64 v41, s[8:9], v10, v34, s[8:9]
	v_add_co_u32_e64 v42, s[8:9], s12, v7
	v_addc_co_u32_e64 v43, s[8:9], v8, v34, s[8:9]
	global_load_ushort v34, v[42:43], off
	global_load_ushort v36, v[40:41], off
	s_waitcnt vmcnt(1)
	v_cvt_f32_f16_e32 v38, v34
	s_waitcnt vmcnt(0)
	v_cvt_f32_f16_e32 v34, v36
.LBB130_14:                             ;   in Loop: Header=BB130_4 Depth=1
	s_or_b64 exec, exec, s[10:11]
	v_mov_b32_e32 v36, 0
	v_mov_b32_e32 v41, 0
	s_and_saveexec_b64 s[10:11], s[6:7]
	s_cbranch_execz .LBB130_16
; %bb.15:                               ;   in Loop: Header=BB130_4 Depth=1
	v_mov_b32_e32 v41, s13
	v_add_co_u32_e64 v40, s[8:9], s12, v11
	v_addc_co_u32_e64 v41, s[8:9], v12, v41, s[8:9]
	global_load_ushort v40, v[40:41], off
	s_waitcnt vmcnt(0)
	v_cvt_f32_f16_e32 v41, v40
.LBB130_16:                             ;   in Loop: Header=BB130_4 Depth=1
	s_or_b64 exec, exec, s[10:11]
	v_mov_b32_e32 v40, s21
	v_add_co_u32_e64 v42, s[8:9], s20, v27
	v_addc_co_u32_e64 v43, s[8:9], v28, v40, s[8:9]
	v_cmp_gt_u64_e64 s[8:9], s[18:19], v[42:43]
	v_mov_b32_e32 v40, 0
	s_and_saveexec_b64 s[22:23], s[8:9]
	s_cbranch_execnz .LBB130_22
; %bb.17:                               ;   in Loop: Header=BB130_4 Depth=1
	s_or_b64 exec, exec, s[22:23]
	v_mov_b32_e32 v42, 0
	s_and_saveexec_b64 s[22:23], s[8:9]
	s_cbranch_execnz .LBB130_23
.LBB130_18:                             ;   in Loop: Header=BB130_4 Depth=1
	s_or_b64 exec, exec, s[22:23]
	s_and_saveexec_b64 s[10:11], vcc
	s_cbranch_execnz .LBB130_24
.LBB130_19:                             ;   in Loop: Header=BB130_4 Depth=1
	s_or_b64 exec, exec, s[10:11]
	s_and_saveexec_b64 s[10:11], s[2:3]
	s_cbranch_execnz .LBB130_25
.LBB130_20:                             ;   in Loop: Header=BB130_4 Depth=1
	s_or_b64 exec, exec, s[10:11]
	s_and_saveexec_b64 s[2:3], s[6:7]
	s_cbranch_execnz .LBB130_26
.LBB130_21:                             ;   in Loop: Header=BB130_4 Depth=1
	s_or_b64 exec, exec, s[2:3]
	s_and_saveexec_b64 s[2:3], s[8:9]
	s_cbranch_execz .LBB130_3
	s_branch .LBB130_27
.LBB130_22:                             ;   in Loop: Header=BB130_4 Depth=1
	v_mov_b32_e32 v36, s13
	v_add_co_u32_e64 v42, s[10:11], s12, v3
	v_addc_co_u32_e64 v43, s[10:11], v4, v36, s[10:11]
	v_add_co_u32_e64 v44, s[10:11], s12, v1
	v_addc_co_u32_e64 v45, s[10:11], v2, v36, s[10:11]
	global_load_ushort v36, v[44:45], off
	global_load_ushort v46, v[42:43], off
	s_waitcnt vmcnt(1)
	v_cvt_f32_f16_e32 v40, v36
	s_waitcnt vmcnt(0)
	v_cvt_f32_f16_e32 v36, v46
	s_or_b64 exec, exec, s[22:23]
	v_mov_b32_e32 v42, 0
	s_and_saveexec_b64 s[22:23], s[8:9]
	s_cbranch_execz .LBB130_18
.LBB130_23:                             ;   in Loop: Header=BB130_4 Depth=1
	v_mov_b32_e32 v43, s13
	v_add_co_u32_e64 v42, s[10:11], s12, v5
	v_addc_co_u32_e64 v43, s[10:11], v6, v43, s[10:11]
	global_load_ushort v42, v[42:43], off
	s_waitcnt vmcnt(0)
	v_cvt_f32_f16_e32 v42, v42
	s_or_b64 exec, exec, s[22:23]
	s_and_saveexec_b64 s[10:11], vcc
	s_cbranch_execz .LBB130_19
.LBB130_24:                             ;   in Loop: Header=BB130_4 Depth=1
	v_div_scale_f32 v43, s[22:23], v37, v37, v33
	v_div_scale_f32 v44, vcc, v33, v37, v33
	v_rcp_f32_e32 v45, v43
	v_fma_f32 v46, -v43, v45, 1.0
	v_fmac_f32_e32 v45, v46, v45
	v_mul_f32_e32 v46, v44, v45
	v_fma_f32 v47, -v43, v46, v44
	v_fmac_f32_e32 v46, v47, v45
	v_fma_f32 v43, -v43, v46, v44
	v_div_fmas_f32 v43, v43, v45, v46
	v_mov_b32_e32 v44, s13
	v_div_fixup_f32 v33, v43, v37, v33
	v_add_f32_e32 v37, v32, v33
	v_fmac_f32_e32 v32, s25, v33
	v_cndmask_b32_e64 v32, v32, v37, s[0:1]
	v_cvt_f16_f32_e32 v37, v32
	v_add_co_u32_e32 v32, vcc, s12, v13
	v_addc_co_u32_e32 v33, vcc, v14, v44, vcc
	global_store_short v[32:33], v37, off
	s_or_b64 exec, exec, s[10:11]
	s_and_saveexec_b64 s[10:11], s[2:3]
	s_cbranch_execz .LBB130_20
.LBB130_25:                             ;   in Loop: Header=BB130_4 Depth=1
	v_div_scale_f32 v32, s[2:3], v39, v39, v31
	v_div_scale_f32 v33, vcc, v31, v39, v31
	v_rcp_f32_e32 v37, v32
	v_fma_f32 v43, -v32, v37, 1.0
	v_fmac_f32_e32 v37, v43, v37
	v_mul_f32_e32 v43, v33, v37
	v_fma_f32 v44, -v32, v43, v33
	v_fmac_f32_e32 v43, v44, v37
	v_fma_f32 v32, -v32, v43, v33
	v_div_fmas_f32 v32, v32, v37, v43
	v_mov_b32_e32 v33, s13
	v_div_fixup_f32 v31, v32, v39, v31
	v_add_f32_e32 v32, v35, v31
	v_fmac_f32_e32 v35, s25, v31
	v_cndmask_b32_e64 v31, v35, v32, s[0:1]
	v_cvt_f16_f32_e32 v35, v31
	v_add_co_u32_e32 v31, vcc, s12, v21
	v_addc_co_u32_e32 v32, vcc, v22, v33, vcc
	global_store_short v[31:32], v35, off
	s_or_b64 exec, exec, s[10:11]
	s_and_saveexec_b64 s[2:3], s[6:7]
	s_cbranch_execz .LBB130_21
.LBB130_26:                             ;   in Loop: Header=BB130_4 Depth=1
	v_div_scale_f32 v31, s[6:7], v41, v41, v34
	v_div_scale_f32 v32, vcc, v34, v41, v34
	v_rcp_f32_e32 v33, v31
	v_fma_f32 v35, -v31, v33, 1.0
	v_fmac_f32_e32 v33, v35, v33
	v_mul_f32_e32 v35, v32, v33
	v_fma_f32 v37, -v31, v35, v32
	v_fmac_f32_e32 v35, v37, v33
	v_fma_f32 v31, -v31, v35, v32
	v_div_fmas_f32 v31, v31, v33, v35
	v_mov_b32_e32 v32, s13
	v_div_fixup_f32 v31, v31, v41, v34
	v_add_f32_e32 v33, v38, v31
	v_fmac_f32_e32 v38, s25, v31
	v_cndmask_b32_e64 v31, v38, v33, s[0:1]
	v_cvt_f16_f32_e32 v33, v31
	v_add_co_u32_e32 v31, vcc, s12, v7
	v_addc_co_u32_e32 v32, vcc, v8, v32, vcc
	global_store_short v[31:32], v33, off
	s_or_b64 exec, exec, s[2:3]
	s_and_saveexec_b64 s[2:3], s[8:9]
	s_cbranch_execz .LBB130_3
.LBB130_27:                             ;   in Loop: Header=BB130_4 Depth=1
	v_div_scale_f32 v31, s[6:7], v42, v42, v36
	v_div_scale_f32 v32, vcc, v36, v42, v36
	v_rcp_f32_e32 v33, v31
	v_fma_f32 v34, -v31, v33, 1.0
	v_fmac_f32_e32 v33, v34, v33
	v_mul_f32_e32 v34, v32, v33
	v_fma_f32 v35, -v31, v34, v32
	v_fmac_f32_e32 v34, v35, v33
	v_fma_f32 v31, -v31, v34, v32
	v_div_fmas_f32 v31, v31, v33, v34
	v_mov_b32_e32 v32, s13
	v_div_fixup_f32 v31, v31, v42, v36
	v_add_f32_e32 v33, v40, v31
	v_fmac_f32_e32 v40, s25, v31
	v_cndmask_b32_e64 v31, v40, v33, s[0:1]
	v_cvt_f16_f32_e32 v33, v31
	v_add_co_u32_e32 v31, vcc, s12, v1
	v_addc_co_u32_e32 v32, vcc, v2, v32, vcc
	global_store_short v[31:32], v33, off
	s_branch .LBB130_3
.LBB130_28:
	s_mov_b64 s[0:1], 0
.LBB130_29:
	s_andn2_b64 vcc, exec, s[0:1]
	s_cbranch_vccnz .LBB130_33
; %bb.30:
	v_mov_b32_e32 v1, 0x10000
	v_mov_b32_e32 v2, 0
	v_cmp_lt_i64_e32 vcc, s[14:15], v[1:2]
	v_mov_b32_e32 v2, 0
	s_and_b64 s[0:1], vcc, exec
	s_cselect_b32 s11, s15, 0
	s_cselect_b32 s10, s14, 0x10000
	v_lshlrev_b32_e32 v1, 2, v0
	v_cmp_gt_i64_e32 vcc, s[10:11], v[1:2]
	s_and_saveexec_b64 s[0:1], vcc
	s_cbranch_execz .LBB130_33
; %bb.31:
	s_load_dword s2, s[4:5], 0xd14
	v_mov_b32_e32 v1, v2
	s_waitcnt lgkmcnt(0)
	v_cmp_eq_f32_e64 s[0:1], s25, 1.0
	s_mov_b32 s14, s25
	v_lshlrev_b32_e32 v4, 3, v0
	s_and_b32 s15, s2, 0xffff
	s_lshl_b32 s16, s15, 3
	s_mov_b64 s[12:13], 0
.LBB130_32:                             ; =>This Inner Loop Header: Depth=1
	v_mov_b32_e32 v3, s26
	v_add_co_u32_e32 v2, vcc, s24, v4
	v_mov_b32_e32 v6, s28
	v_add_co_u32_e64 v5, s[2:3], s27, v4
	v_mov_b32_e32 v8, s30
	v_add_co_u32_e64 v7, s[4:5], s29, v4
	v_addc_co_u32_e32 v3, vcc, 0, v3, vcc
	v_addc_co_u32_e64 v6, vcc, 0, v6, s[2:3]
	v_addc_co_u32_e64 v8, vcc, 0, v8, s[4:5]
	global_load_dwordx2 v[11:12], v[5:6], off
	global_load_dwordx2 v[13:14], v[7:8], off
	;; [unrolled: 1-line block ×3, first 2 shown]
	v_add_co_u32_e64 v0, s[6:7], s15, v0
	v_addc_co_u32_e64 v1, s[6:7], 0, v1, s[6:7]
	v_lshlrev_b64 v[9:10], 2, v[0:1]
	s_add_u32 s24, s24, s16
	v_cmp_le_i64_e64 s[2:3], s[10:11], v[9:10]
	s_addc_u32 s26, s26, 0
	s_add_u32 s27, s27, s16
	s_addc_u32 s28, s28, 0
	s_add_u32 s29, s29, s16
	s_addc_u32 s30, s30, 0
	s_or_b64 s[12:13], s[2:3], s[12:13]
	s_waitcnt vmcnt(2)
	v_cvt_f32_f16_e32 v6, v11
	s_waitcnt vmcnt(1)
	v_cvt_f32_f16_e32 v7, v13
	v_cvt_f32_f16_sdwa v9, v12 dst_sel:DWORD dst_unused:UNUSED_PAD src0_sel:WORD_1
	v_cvt_f32_f16_sdwa v10, v14 dst_sel:DWORD dst_unused:UNUSED_PAD src0_sel:WORD_1
	v_cvt_f32_f16_e32 v12, v12
	v_cvt_f32_f16_e32 v14, v14
	v_cvt_f32_f16_sdwa v11, v11 dst_sel:DWORD dst_unused:UNUSED_PAD src0_sel:WORD_1
	v_cvt_f32_f16_sdwa v13, v13 dst_sel:DWORD dst_unused:UNUSED_PAD src0_sel:WORD_1
	v_div_scale_f32 v19, s[4:5], v7, v7, v6
	v_div_scale_f32 v20, s[4:5], v10, v10, v9
	;; [unrolled: 1-line block ×4, first 2 shown]
	v_div_scale_f32 v23, vcc, v6, v7, v6
	v_div_scale_f32 v24, s[4:5], v9, v10, v9
	v_div_scale_f32 v25, s[6:7], v12, v14, v12
	;; [unrolled: 1-line block ×3, first 2 shown]
	v_rcp_f32_e32 v27, v19
	s_waitcnt vmcnt(0)
	v_cvt_f32_f16_e32 v5, v15
	v_rcp_f32_e32 v28, v20
	v_cvt_f32_f16_sdwa v8, v16 dst_sel:DWORD dst_unused:UNUSED_PAD src0_sel:WORD_1
	v_rcp_f32_e32 v29, v21
	v_fma_f32 v31, -v19, v27, 1.0
	v_rcp_f32_e32 v30, v22
	v_fma_f32 v32, -v20, v28, 1.0
	v_fmac_f32_e32 v27, v31, v27
	v_fma_f32 v33, -v21, v29, 1.0
	v_fmac_f32_e32 v28, v32, v28
	v_mul_f32_e32 v31, v23, v27
	v_fma_f32 v34, -v22, v30, 1.0
	v_fmac_f32_e32 v29, v33, v29
	v_mul_f32_e32 v32, v24, v28
	v_fma_f32 v35, -v19, v31, v23
	v_fmac_f32_e32 v30, v34, v30
	v_mul_f32_e32 v33, v25, v29
	v_fma_f32 v36, -v20, v32, v24
	;; [unrolled: 3-line block ×3, first 2 shown]
	v_fmac_f32_e32 v32, v36, v28
	v_fma_f32 v19, -v19, v31, v23
	v_fma_f32 v38, -v22, v34, v26
	v_fmac_f32_e32 v33, v37, v29
	v_fma_f32 v20, -v20, v32, v24
	v_div_fmas_f32 v19, v19, v27, v31
	s_mov_b64 vcc, s[4:5]
	v_fmac_f32_e32 v34, v38, v30
	v_fma_f32 v21, -v21, v33, v25
	v_div_fmas_f32 v20, v20, v28, v32
	s_mov_b64 vcc, s[6:7]
	v_fma_f32 v22, -v22, v34, v26
	v_div_fmas_f32 v21, v21, v29, v33
	s_mov_b64 vcc, s[8:9]
	v_div_fmas_f32 v22, v22, v30, v34
	v_cvt_f32_f16_e32 v17, v16
	v_cvt_f32_f16_sdwa v18, v15 dst_sel:DWORD dst_unused:UNUSED_PAD src0_sel:WORD_1
	v_div_fixup_f32 v6, v19, v7, v6
	v_add_f32_e32 v5, v6, v5
	v_fma_mix_f32 v6, s25, v6, v15 op_sel_hi:[0,0,1]
	v_cndmask_b32_e64 v5, v6, v5, s[0:1]
	v_div_fixup_f32 v7, v20, v10, v9
	v_add_f32_e32 v6, v7, v8
	v_fma_mix_f32 v7, s25, v7, v16 op_sel:[0,0,1] op_sel_hi:[0,0,1]
	v_div_fixup_f32 v8, v21, v14, v12
	v_cndmask_b32_e64 v6, v7, v6, s[0:1]
	v_div_fixup_f32 v7, v22, v13, v11
	v_add_f32_e32 v9, v8, v17
	v_fma_mix_f32 v8, s14, v8, v16 op_sel_hi:[0,0,1]
	v_add_f32_e32 v10, v7, v18
	v_fma_mix_f32 v7, s25, v7, v15 op_sel:[0,0,1] op_sel_hi:[0,0,1]
	v_cndmask_b32_e64 v8, v8, v9, s[0:1]
	v_cndmask_b32_e64 v7, v7, v10, s[0:1]
	v_cvt_f16_f32_e32 v5, v5
	v_cvt_f16_f32_e32 v6, v6
	;; [unrolled: 1-line block ×4, first 2 shown]
	v_pack_b32_f16 v6, v8, v6
	v_pack_b32_f16 v5, v5, v7
	global_store_dwordx2 v[2:3], v[5:6], off
	s_andn2_b64 exec, exec, s[12:13]
	s_cbranch_execnz .LBB130_32
.LBB130_33:
	s_endpgm
	.section	.rodata,"a",@progbits
	.p2align	6, 0x0
	.amdhsa_kernel _ZN2at6native12_GLOBAL__N_125multi_tensor_apply_kernelINS1_28TensorListScalarListMetadataIfLi3EEENS1_28PointwiseOpScalarListFunctorIN3c104HalfELi3ELi3ELi0EEEJSt7dividesIfEEEEvT_T0_DpT1_
		.amdhsa_group_segment_fixed_size 0
		.amdhsa_private_segment_fixed_size 0
		.amdhsa_kernarg_size 3592
		.amdhsa_user_sgpr_count 6
		.amdhsa_user_sgpr_private_segment_buffer 1
		.amdhsa_user_sgpr_dispatch_ptr 0
		.amdhsa_user_sgpr_queue_ptr 0
		.amdhsa_user_sgpr_kernarg_segment_ptr 1
		.amdhsa_user_sgpr_dispatch_id 0
		.amdhsa_user_sgpr_flat_scratch_init 0
		.amdhsa_user_sgpr_private_segment_size 0
		.amdhsa_uses_dynamic_stack 0
		.amdhsa_system_sgpr_private_segment_wavefront_offset 0
		.amdhsa_system_sgpr_workgroup_id_x 1
		.amdhsa_system_sgpr_workgroup_id_y 0
		.amdhsa_system_sgpr_workgroup_id_z 0
		.amdhsa_system_sgpr_workgroup_info 0
		.amdhsa_system_vgpr_workitem_id 0
		.amdhsa_next_free_vgpr 48
		.amdhsa_next_free_sgpr 34
		.amdhsa_reserve_vcc 1
		.amdhsa_reserve_flat_scratch 0
		.amdhsa_float_round_mode_32 0
		.amdhsa_float_round_mode_16_64 0
		.amdhsa_float_denorm_mode_32 3
		.amdhsa_float_denorm_mode_16_64 3
		.amdhsa_dx10_clamp 1
		.amdhsa_ieee_mode 1
		.amdhsa_fp16_overflow 0
		.amdhsa_exception_fp_ieee_invalid_op 0
		.amdhsa_exception_fp_denorm_src 0
		.amdhsa_exception_fp_ieee_div_zero 0
		.amdhsa_exception_fp_ieee_overflow 0
		.amdhsa_exception_fp_ieee_underflow 0
		.amdhsa_exception_fp_ieee_inexact 0
		.amdhsa_exception_int_div_zero 0
	.end_amdhsa_kernel
	.section	.text._ZN2at6native12_GLOBAL__N_125multi_tensor_apply_kernelINS1_28TensorListScalarListMetadataIfLi3EEENS1_28PointwiseOpScalarListFunctorIN3c104HalfELi3ELi3ELi0EEEJSt7dividesIfEEEEvT_T0_DpT1_,"axG",@progbits,_ZN2at6native12_GLOBAL__N_125multi_tensor_apply_kernelINS1_28TensorListScalarListMetadataIfLi3EEENS1_28PointwiseOpScalarListFunctorIN3c104HalfELi3ELi3ELi0EEEJSt7dividesIfEEEEvT_T0_DpT1_,comdat
.Lfunc_end130:
	.size	_ZN2at6native12_GLOBAL__N_125multi_tensor_apply_kernelINS1_28TensorListScalarListMetadataIfLi3EEENS1_28PointwiseOpScalarListFunctorIN3c104HalfELi3ELi3ELi0EEEJSt7dividesIfEEEEvT_T0_DpT1_, .Lfunc_end130-_ZN2at6native12_GLOBAL__N_125multi_tensor_apply_kernelINS1_28TensorListScalarListMetadataIfLi3EEENS1_28PointwiseOpScalarListFunctorIN3c104HalfELi3ELi3ELi0EEEJSt7dividesIfEEEEvT_T0_DpT1_
                                        ; -- End function
	.set _ZN2at6native12_GLOBAL__N_125multi_tensor_apply_kernelINS1_28TensorListScalarListMetadataIfLi3EEENS1_28PointwiseOpScalarListFunctorIN3c104HalfELi3ELi3ELi0EEEJSt7dividesIfEEEEvT_T0_DpT1_.num_vgpr, 48
	.set _ZN2at6native12_GLOBAL__N_125multi_tensor_apply_kernelINS1_28TensorListScalarListMetadataIfLi3EEENS1_28PointwiseOpScalarListFunctorIN3c104HalfELi3ELi3ELi0EEEJSt7dividesIfEEEEvT_T0_DpT1_.num_agpr, 0
	.set _ZN2at6native12_GLOBAL__N_125multi_tensor_apply_kernelINS1_28TensorListScalarListMetadataIfLi3EEENS1_28PointwiseOpScalarListFunctorIN3c104HalfELi3ELi3ELi0EEEJSt7dividesIfEEEEvT_T0_DpT1_.numbered_sgpr, 34
	.set _ZN2at6native12_GLOBAL__N_125multi_tensor_apply_kernelINS1_28TensorListScalarListMetadataIfLi3EEENS1_28PointwiseOpScalarListFunctorIN3c104HalfELi3ELi3ELi0EEEJSt7dividesIfEEEEvT_T0_DpT1_.num_named_barrier, 0
	.set _ZN2at6native12_GLOBAL__N_125multi_tensor_apply_kernelINS1_28TensorListScalarListMetadataIfLi3EEENS1_28PointwiseOpScalarListFunctorIN3c104HalfELi3ELi3ELi0EEEJSt7dividesIfEEEEvT_T0_DpT1_.private_seg_size, 0
	.set _ZN2at6native12_GLOBAL__N_125multi_tensor_apply_kernelINS1_28TensorListScalarListMetadataIfLi3EEENS1_28PointwiseOpScalarListFunctorIN3c104HalfELi3ELi3ELi0EEEJSt7dividesIfEEEEvT_T0_DpT1_.uses_vcc, 1
	.set _ZN2at6native12_GLOBAL__N_125multi_tensor_apply_kernelINS1_28TensorListScalarListMetadataIfLi3EEENS1_28PointwiseOpScalarListFunctorIN3c104HalfELi3ELi3ELi0EEEJSt7dividesIfEEEEvT_T0_DpT1_.uses_flat_scratch, 0
	.set _ZN2at6native12_GLOBAL__N_125multi_tensor_apply_kernelINS1_28TensorListScalarListMetadataIfLi3EEENS1_28PointwiseOpScalarListFunctorIN3c104HalfELi3ELi3ELi0EEEJSt7dividesIfEEEEvT_T0_DpT1_.has_dyn_sized_stack, 0
	.set _ZN2at6native12_GLOBAL__N_125multi_tensor_apply_kernelINS1_28TensorListScalarListMetadataIfLi3EEENS1_28PointwiseOpScalarListFunctorIN3c104HalfELi3ELi3ELi0EEEJSt7dividesIfEEEEvT_T0_DpT1_.has_recursion, 0
	.set _ZN2at6native12_GLOBAL__N_125multi_tensor_apply_kernelINS1_28TensorListScalarListMetadataIfLi3EEENS1_28PointwiseOpScalarListFunctorIN3c104HalfELi3ELi3ELi0EEEJSt7dividesIfEEEEvT_T0_DpT1_.has_indirect_call, 0
	.section	.AMDGPU.csdata,"",@progbits
; Kernel info:
; codeLenInByte = 2704
; TotalNumSgprs: 38
; NumVgprs: 48
; ScratchSize: 0
; MemoryBound: 0
; FloatMode: 240
; IeeeMode: 1
; LDSByteSize: 0 bytes/workgroup (compile time only)
; SGPRBlocks: 4
; VGPRBlocks: 11
; NumSGPRsForWavesPerEU: 38
; NumVGPRsForWavesPerEU: 48
; Occupancy: 5
; WaveLimiterHint : 0
; COMPUTE_PGM_RSRC2:SCRATCH_EN: 0
; COMPUTE_PGM_RSRC2:USER_SGPR: 6
; COMPUTE_PGM_RSRC2:TRAP_HANDLER: 0
; COMPUTE_PGM_RSRC2:TGID_X_EN: 1
; COMPUTE_PGM_RSRC2:TGID_Y_EN: 0
; COMPUTE_PGM_RSRC2:TGID_Z_EN: 0
; COMPUTE_PGM_RSRC2:TIDIG_COMP_CNT: 0
	.section	.text._ZN2at6native12_GLOBAL__N_125multi_tensor_apply_kernelINS1_28TensorListScalarListMetadataIfLi3EEENS1_28PointwiseOpScalarListFunctorIN3c108BFloat16ELi3ELi3ELi0EEEJSt7dividesIfEEEEvT_T0_DpT1_,"axG",@progbits,_ZN2at6native12_GLOBAL__N_125multi_tensor_apply_kernelINS1_28TensorListScalarListMetadataIfLi3EEENS1_28PointwiseOpScalarListFunctorIN3c108BFloat16ELi3ELi3ELi0EEEJSt7dividesIfEEEEvT_T0_DpT1_,comdat
	.globl	_ZN2at6native12_GLOBAL__N_125multi_tensor_apply_kernelINS1_28TensorListScalarListMetadataIfLi3EEENS1_28PointwiseOpScalarListFunctorIN3c108BFloat16ELi3ELi3ELi0EEEJSt7dividesIfEEEEvT_T0_DpT1_ ; -- Begin function _ZN2at6native12_GLOBAL__N_125multi_tensor_apply_kernelINS1_28TensorListScalarListMetadataIfLi3EEENS1_28PointwiseOpScalarListFunctorIN3c108BFloat16ELi3ELi3ELi0EEEJSt7dividesIfEEEEvT_T0_DpT1_
	.p2align	8
	.type	_ZN2at6native12_GLOBAL__N_125multi_tensor_apply_kernelINS1_28TensorListScalarListMetadataIfLi3EEENS1_28PointwiseOpScalarListFunctorIN3c108BFloat16ELi3ELi3ELi0EEEJSt7dividesIfEEEEvT_T0_DpT1_,@function
_ZN2at6native12_GLOBAL__N_125multi_tensor_apply_kernelINS1_28TensorListScalarListMetadataIfLi3EEENS1_28PointwiseOpScalarListFunctorIN3c108BFloat16ELi3ELi3ELi0EEEJSt7dividesIfEEEEvT_T0_DpT1_: ; @_ZN2at6native12_GLOBAL__N_125multi_tensor_apply_kernelINS1_28TensorListScalarListMetadataIfLi3EEENS1_28PointwiseOpScalarListFunctorIN3c108BFloat16ELi3ELi3ELi0EEEJSt7dividesIfEEEEvT_T0_DpT1_
; %bb.0:
	v_mov_b32_e32 v1, s6
	global_load_ubyte v1, v1, s[4:5] offset:1728
	s_add_u32 s0, s4, s6
	s_mul_i32 s1, s6, 3
	s_addc_u32 s2, s5, 0
	s_mul_hi_u32 s3, s6, 3
	s_add_u32 s0, s0, s1
	s_addc_u32 s1, s2, s3
	s_load_dword s0, s[0:1], 0x800
	s_mov_b32 s3, 0
	s_mov_b32 s7, s3
	s_waitcnt lgkmcnt(0)
	s_ashr_i32 s1, s0, 31
	s_waitcnt vmcnt(0)
	v_readfirstlane_b32 s2, v1
	v_lshlrev_b32_e32 v1, 2, v1
	v_sub_co_u32_e32 v1, vcc, 0, v1
	s_lshl_b32 s2, s2, 3
	v_subb_co_u32_e64 v2, s[8:9], 0, 0, vcc
	s_load_dwordx2 s[8:9], s[4:5], s2 offset:0x480
	s_load_dwordx2 s[12:13], s[4:5], s2 offset:0x0
	s_load_dwordx2 s[14:15], s[4:5], s2 offset:0x180
	s_load_dwordx2 s[16:17], s[4:5], s2 offset:0x300
	s_add_u32 s6, s4, s2
	s_addc_u32 s2, s5, 0
	s_lshl_b64 s[18:19], s[0:1], 17
	v_add_co_u32_e32 v1, vcc, s6, v1
	s_waitcnt lgkmcnt(0)
	s_add_u32 s6, s14, s18
	v_mov_b32_e32 v3, s2
	s_or_b32 s6, s16, s6
	v_addc_co_u32_e32 v2, vcc, v3, v2, vcc
	s_and_b32 s2, s12, 7
	s_and_b32 s6, s6, 7
	v_readfirstlane_b32 s10, v1
	v_readfirstlane_b32 s11, v2
	s_cmp_eq_u32 s6, 0
	s_load_dword s30, s[10:11], 0x600
	s_cselect_b64 s[10:11], -1, 0
	s_lshl_b64 s[0:1], s[0:1], 16
	s_sub_u32 s20, s8, s0
	s_subb_u32 s21, s9, s1
	s_and_b32 s6, s8, 3
	s_or_b64 s[0:1], s[2:3], s[6:7]
	s_cmp_eq_u64 s[0:1], 0
	s_cselect_b64 s[0:1], -1, 0
	s_and_b64 s[2:3], s[10:11], s[0:1]
	s_mov_b64 s[0:1], -1
	s_and_b64 vcc, exec, s[2:3]
	s_cbranch_vccnz .LBB131_29
; %bb.1:
	v_cmp_lt_i64_e64 s[0:1], s[20:21], 1
	s_and_b64 vcc, exec, s[0:1]
	s_cbranch_vccnz .LBB131_28
; %bb.2:
	v_mov_b32_e32 v1, 0x10000
	s_load_dword s2, s[4:5], 0xd14
	v_mov_b32_e32 v2, 0
	v_cmp_lt_i64_e32 vcc, s[20:21], v[1:2]
	v_mov_b32_e32 v18, 0
	s_and_b64 s[0:1], vcc, exec
	s_cselect_b32 s23, s21, 0
	s_cselect_b32 s22, s20, 0x10000
	s_waitcnt lgkmcnt(0)
	s_and_b32 s2, s2, 0xffff
	v_lshlrev_b32_e32 v17, 1, v0
	v_mad_u64_u32 v[5:6], s[0:1], s2, 6, v[17:18]
	v_cmp_lt_u64_e32 vcc, s[20:21], v[1:2]
	v_mov_b32_e32 v2, s13
	s_and_b64 s[0:1], vcc, exec
	v_add_co_u32_e32 v1, vcc, s12, v5
	v_addc_co_u32_e32 v2, vcc, v2, v6, vcc
	v_mov_b32_e32 v4, s15
	v_add_co_u32_e32 v3, vcc, s14, v5
	v_addc_co_u32_e32 v4, vcc, v4, v6, vcc
	v_mov_b32_e32 v7, s17
	v_add_co_u32_e32 v5, vcc, s16, v5
	s_cselect_b32 s25, s21, 0
	s_cselect_b32 s24, s20, 0x10000
	s_lshl_b32 s31, s2, 2
	v_addc_co_u32_e32 v6, vcc, v7, v6, vcc
	v_add_co_u32_e32 v11, vcc, s31, v17
	v_addc_co_u32_e64 v12, s[0:1], 0, 0, vcc
	v_mov_b32_e32 v8, s13
	v_add_co_u32_e32 v7, vcc, s12, v11
	v_addc_co_u32_e32 v8, vcc, v8, v12, vcc
	v_mov_b32_e32 v10, s15
	v_add_co_u32_e32 v9, vcc, s14, v11
	v_addc_co_u32_e32 v10, vcc, v10, v12, vcc
	;; [unrolled: 3-line block ×6, first 2 shown]
	v_add_co_u32_e32 v19, vcc, s2, v0
	v_lshlrev_b32_e32 v25, 1, v19
	s_lshl_b32 s6, s2, 1
	s_mul_i32 s7, s2, 3
	s_lshl_b32 s33, s2, 3
	v_addc_co_u32_e64 v20, s[2:3], 0, 0, vcc
	v_mov_b32_e32 v22, s13
	v_add_co_u32_e32 v21, vcc, s12, v25
	v_addc_co_u32_e32 v22, vcc, 0, v22, vcc
	v_mov_b32_e32 v24, s15
	v_add_co_u32_e32 v23, vcc, s14, v25
	v_addc_co_u32_e32 v24, vcc, 0, v24, vcc
	;; [unrolled: 3-line block ×3, first 2 shown]
	v_add_co_u32_e32 v27, vcc, s7, v0
	v_addc_co_u32_e64 v28, s[2:3], 0, 0, vcc
	v_add_co_u32_e32 v29, vcc, s6, v0
	v_cmp_eq_f32_e64 s[0:1], s30, 1.0
	s_mov_b64 s[26:27], 0
	s_movk_i32 s34, 0x7fff
	v_addc_co_u32_e64 v30, s[2:3], 0, 0, vcc
	v_mov_b32_e32 v31, 0x7fc0
	s_branch .LBB131_4
.LBB131_3:                              ;   in Loop: Header=BB131_4 Depth=1
	s_or_b64 exec, exec, s[2:3]
	v_add_co_u32_e32 v13, vcc, s33, v13
	v_addc_co_u32_e32 v14, vcc, 0, v14, vcc
	v_add_co_u32_e32 v15, vcc, s33, v15
	v_addc_co_u32_e32 v16, vcc, 0, v16, vcc
	;; [unrolled: 2-line block ×10, first 2 shown]
	s_add_u32 s26, s26, s31
	v_add_co_u32_e32 v23, vcc, s33, v23
	v_mov_b32_e32 v33, s23
	s_addc_u32 s27, s27, 0
	v_addc_co_u32_e32 v24, vcc, 0, v24, vcc
	v_mov_b32_e32 v32, s22
	v_cmp_lt_i64_e32 vcc, s[26:27], v[32:33]
	v_add_co_u32_e64 v25, s[2:3], s33, v25
	v_addc_co_u32_e64 v26, s[2:3], 0, v26, s[2:3]
	s_cbranch_vccz .LBB131_28
.LBB131_4:                              ; =>This Inner Loop Header: Depth=1
	v_mov_b32_e32 v33, s27
	v_add_co_u32_e32 v32, vcc, s26, v0
	v_addc_co_u32_e32 v33, vcc, 0, v33, vcc
	v_cmp_gt_u64_e32 vcc, s[24:25], v[32:33]
	v_mov_b32_e32 v35, 0
	v_mov_b32_e32 v34, 0
	s_and_saveexec_b64 s[6:7], vcc
	s_cbranch_execz .LBB131_6
; %bb.5:                                ;   in Loop: Header=BB131_4 Depth=1
	v_mov_b32_e32 v35, s19
	v_add_co_u32_e64 v32, s[2:3], s18, v13
	v_addc_co_u32_e64 v33, s[2:3], v14, v35, s[2:3]
	v_add_co_u32_e64 v34, s[2:3], s18, v15
	v_addc_co_u32_e64 v35, s[2:3], v16, v35, s[2:3]
	global_load_ushort v36, v[34:35], off
	global_load_ushort v37, v[32:33], off
	s_waitcnt vmcnt(1)
	v_lshlrev_b32_e32 v35, 16, v36
	s_waitcnt vmcnt(0)
	v_lshlrev_b32_e32 v34, 16, v37
.LBB131_6:                              ;   in Loop: Header=BB131_4 Depth=1
	s_or_b64 exec, exec, s[6:7]
	v_mov_b32_e32 v32, 0
	v_mov_b32_e32 v39, 0
	s_and_saveexec_b64 s[6:7], vcc
	s_cbranch_execz .LBB131_8
; %bb.7:                                ;   in Loop: Header=BB131_4 Depth=1
	v_mov_b32_e32 v33, s19
	v_add_co_u32_e64 v36, s[2:3], s18, v17
	v_addc_co_u32_e64 v37, s[2:3], v18, v33, s[2:3]
	global_load_ushort v33, v[36:37], off
	s_waitcnt vmcnt(0)
	v_lshlrev_b32_e32 v39, 16, v33
.LBB131_8:                              ;   in Loop: Header=BB131_4 Depth=1
	s_or_b64 exec, exec, s[6:7]
	v_mov_b32_e32 v33, s27
	v_add_co_u32_e64 v36, s[2:3], s26, v19
	v_addc_co_u32_e64 v37, s[2:3], v20, v33, s[2:3]
	v_cmp_gt_u64_e64 s[2:3], s[24:25], v[36:37]
	v_mov_b32_e32 v37, 0
	s_and_saveexec_b64 s[8:9], s[2:3]
	s_cbranch_execz .LBB131_10
; %bb.9:                                ;   in Loop: Header=BB131_4 Depth=1
	v_mov_b32_e32 v37, s19
	v_add_co_u32_e64 v32, s[6:7], s18, v21
	v_addc_co_u32_e64 v33, s[6:7], v22, v37, s[6:7]
	v_add_co_u32_e64 v36, s[6:7], s18, v23
	v_addc_co_u32_e64 v37, s[6:7], v24, v37, s[6:7]
	global_load_ushort v38, v[36:37], off
	global_load_ushort v40, v[32:33], off
	s_waitcnt vmcnt(1)
	v_lshlrev_b32_e32 v32, 16, v38
	s_waitcnt vmcnt(0)
	v_lshlrev_b32_e32 v37, 16, v40
.LBB131_10:                             ;   in Loop: Header=BB131_4 Depth=1
	s_or_b64 exec, exec, s[8:9]
	v_mov_b32_e32 v33, 0
	v_mov_b32_e32 v41, 0
	s_and_saveexec_b64 s[8:9], s[2:3]
	s_cbranch_execz .LBB131_12
; %bb.11:                               ;   in Loop: Header=BB131_4 Depth=1
	v_mov_b32_e32 v36, s19
	v_add_co_u32_e64 v40, s[6:7], s18, v25
	v_addc_co_u32_e64 v41, s[6:7], v26, v36, s[6:7]
	global_load_ushort v36, v[40:41], off
	s_waitcnt vmcnt(0)
	v_lshlrev_b32_e32 v41, 16, v36
.LBB131_12:                             ;   in Loop: Header=BB131_4 Depth=1
	s_or_b64 exec, exec, s[8:9]
	v_mov_b32_e32 v36, s27
	v_add_co_u32_e64 v42, s[6:7], s26, v29
	v_addc_co_u32_e64 v43, s[6:7], v30, v36, s[6:7]
	v_cmp_gt_u64_e64 s[6:7], s[24:25], v[42:43]
	v_mov_b32_e32 v38, 0
	s_and_saveexec_b64 s[10:11], s[6:7]
	s_cbranch_execz .LBB131_14
; %bb.13:                               ;   in Loop: Header=BB131_4 Depth=1
	v_mov_b32_e32 v33, s19
	v_add_co_u32_e64 v42, s[8:9], s18, v7
	v_addc_co_u32_e64 v43, s[8:9], v8, v33, s[8:9]
	v_add_co_u32_e64 v44, s[8:9], s18, v9
	v_addc_co_u32_e64 v45, s[8:9], v10, v33, s[8:9]
	global_load_ushort v33, v[44:45], off
	global_load_ushort v36, v[42:43], off
	s_waitcnt vmcnt(1)
	v_lshlrev_b32_e32 v33, 16, v33
	s_waitcnt vmcnt(0)
	v_lshlrev_b32_e32 v38, 16, v36
.LBB131_14:                             ;   in Loop: Header=BB131_4 Depth=1
	s_or_b64 exec, exec, s[10:11]
	v_mov_b32_e32 v36, 0
	v_mov_b32_e32 v42, 0
	s_and_saveexec_b64 s[10:11], s[6:7]
	s_cbranch_execz .LBB131_16
; %bb.15:                               ;   in Loop: Header=BB131_4 Depth=1
	v_mov_b32_e32 v40, s19
	v_add_co_u32_e64 v42, s[8:9], s18, v11
	v_addc_co_u32_e64 v43, s[8:9], v12, v40, s[8:9]
	global_load_ushort v40, v[42:43], off
	s_waitcnt vmcnt(0)
	v_lshlrev_b32_e32 v42, 16, v40
.LBB131_16:                             ;   in Loop: Header=BB131_4 Depth=1
	s_or_b64 exec, exec, s[10:11]
	v_mov_b32_e32 v40, s27
	v_add_co_u32_e64 v43, s[8:9], s26, v27
	v_addc_co_u32_e64 v44, s[8:9], v28, v40, s[8:9]
	v_cmp_gt_u64_e64 s[8:9], s[24:25], v[43:44]
	v_mov_b32_e32 v40, 0
	s_and_saveexec_b64 s[28:29], s[8:9]
	s_cbranch_execnz .LBB131_22
; %bb.17:                               ;   in Loop: Header=BB131_4 Depth=1
	s_or_b64 exec, exec, s[28:29]
	v_mov_b32_e32 v43, 0
	s_and_saveexec_b64 s[28:29], s[8:9]
	s_cbranch_execnz .LBB131_23
.LBB131_18:                             ;   in Loop: Header=BB131_4 Depth=1
	s_or_b64 exec, exec, s[28:29]
	s_and_saveexec_b64 s[28:29], vcc
	s_cbranch_execnz .LBB131_24
.LBB131_19:                             ;   in Loop: Header=BB131_4 Depth=1
	s_or_b64 exec, exec, s[28:29]
	s_and_saveexec_b64 s[10:11], s[2:3]
	s_cbranch_execnz .LBB131_25
.LBB131_20:                             ;   in Loop: Header=BB131_4 Depth=1
	s_or_b64 exec, exec, s[10:11]
	s_and_saveexec_b64 s[2:3], s[6:7]
	s_cbranch_execnz .LBB131_26
.LBB131_21:                             ;   in Loop: Header=BB131_4 Depth=1
	s_or_b64 exec, exec, s[2:3]
	s_and_saveexec_b64 s[2:3], s[8:9]
	s_cbranch_execz .LBB131_3
	s_branch .LBB131_27
.LBB131_22:                             ;   in Loop: Header=BB131_4 Depth=1
	v_mov_b32_e32 v36, s19
	v_add_co_u32_e64 v43, s[10:11], s18, v1
	v_addc_co_u32_e64 v44, s[10:11], v2, v36, s[10:11]
	v_add_co_u32_e64 v45, s[10:11], s18, v3
	v_addc_co_u32_e64 v46, s[10:11], v4, v36, s[10:11]
	global_load_ushort v36, v[45:46], off
	global_load_ushort v40, v[43:44], off
	s_waitcnt vmcnt(1)
	v_lshlrev_b32_e32 v36, 16, v36
	s_waitcnt vmcnt(0)
	v_lshlrev_b32_e32 v40, 16, v40
	s_or_b64 exec, exec, s[28:29]
	v_mov_b32_e32 v43, 0
	s_and_saveexec_b64 s[28:29], s[8:9]
	s_cbranch_execz .LBB131_18
.LBB131_23:                             ;   in Loop: Header=BB131_4 Depth=1
	v_mov_b32_e32 v44, s19
	v_add_co_u32_e64 v43, s[10:11], s18, v5
	v_addc_co_u32_e64 v44, s[10:11], v6, v44, s[10:11]
	global_load_ushort v43, v[43:44], off
	s_waitcnt vmcnt(0)
	v_lshlrev_b32_e32 v43, 16, v43
	s_or_b64 exec, exec, s[28:29]
	s_and_saveexec_b64 s[28:29], vcc
	s_cbranch_execz .LBB131_19
.LBB131_24:                             ;   in Loop: Header=BB131_4 Depth=1
	v_div_scale_f32 v44, s[10:11], v39, v39, v35
	v_div_scale_f32 v45, vcc, v35, v39, v35
	v_rcp_f32_e32 v46, v44
	v_fma_f32 v47, -v44, v46, 1.0
	v_fmac_f32_e32 v46, v47, v46
	v_mul_f32_e32 v47, v45, v46
	v_fma_f32 v48, -v44, v47, v45
	v_fmac_f32_e32 v47, v48, v46
	v_fma_f32 v44, -v44, v47, v45
	v_div_fmas_f32 v45, v44, v46, v47
	v_mov_b32_e32 v46, s19
	v_add_co_u32_e64 v44, s[10:11], s18, v13
	v_div_fixup_f32 v35, v45, v39, v35
	v_add_f32_e32 v39, v34, v35
	v_fmac_f32_e32 v34, s30, v35
	v_cndmask_b32_e64 v34, v34, v39, s[0:1]
	v_bfe_u32 v35, v34, 16, 1
	v_cmp_o_f32_e32 vcc, v34, v34
	v_add3_u32 v34, v34, v35, s34
	v_cndmask_b32_sdwa v34, v31, v34, vcc dst_sel:DWORD dst_unused:UNUSED_PAD src0_sel:DWORD src1_sel:WORD_1
	v_addc_co_u32_e64 v45, vcc, v14, v46, s[10:11]
	global_store_short v[44:45], v34, off
	s_or_b64 exec, exec, s[28:29]
	s_and_saveexec_b64 s[10:11], s[2:3]
	s_cbranch_execz .LBB131_20
.LBB131_25:                             ;   in Loop: Header=BB131_4 Depth=1
	v_div_scale_f32 v34, s[2:3], v41, v41, v32
	v_div_scale_f32 v35, vcc, v32, v41, v32
	v_rcp_f32_e32 v39, v34
	v_fma_f32 v44, -v34, v39, 1.0
	v_fmac_f32_e32 v39, v44, v39
	v_mul_f32_e32 v44, v35, v39
	v_fma_f32 v45, -v34, v44, v35
	v_fmac_f32_e32 v44, v45, v39
	v_fma_f32 v34, -v34, v44, v35
	v_div_fmas_f32 v39, v34, v39, v44
	v_mov_b32_e32 v35, s19
	v_add_co_u32_e32 v34, vcc, s18, v21
	v_addc_co_u32_e32 v35, vcc, v22, v35, vcc
	v_div_fixup_f32 v32, v39, v41, v32
	v_add_f32_e32 v39, v37, v32
	v_fmac_f32_e32 v37, s30, v32
	v_cndmask_b32_e64 v32, v37, v39, s[0:1]
	v_bfe_u32 v37, v32, 16, 1
	v_cmp_o_f32_e32 vcc, v32, v32
	v_add3_u32 v32, v32, v37, s34
	v_cndmask_b32_sdwa v32, v31, v32, vcc dst_sel:DWORD dst_unused:UNUSED_PAD src0_sel:DWORD src1_sel:WORD_1
	global_store_short v[34:35], v32, off
	s_or_b64 exec, exec, s[10:11]
	s_and_saveexec_b64 s[2:3], s[6:7]
	s_cbranch_execz .LBB131_21
.LBB131_26:                             ;   in Loop: Header=BB131_4 Depth=1
	v_div_scale_f32 v32, s[6:7], v42, v42, v33
	v_div_scale_f32 v34, vcc, v33, v42, v33
	v_rcp_f32_e32 v35, v32
	v_fma_f32 v37, -v32, v35, 1.0
	v_fmac_f32_e32 v35, v37, v35
	v_mul_f32_e32 v37, v34, v35
	v_fma_f32 v39, -v32, v37, v34
	v_fmac_f32_e32 v37, v39, v35
	v_fma_f32 v32, -v32, v37, v34
	v_div_fmas_f32 v32, v32, v35, v37
	v_mov_b32_e32 v35, s19
	v_add_co_u32_e32 v34, vcc, s18, v7
	v_addc_co_u32_e32 v35, vcc, v8, v35, vcc
	v_div_fixup_f32 v32, v32, v42, v33
	v_add_f32_e32 v33, v38, v32
	v_fmac_f32_e32 v38, s30, v32
	v_cndmask_b32_e64 v32, v38, v33, s[0:1]
	v_bfe_u32 v33, v32, 16, 1
	v_cmp_o_f32_e32 vcc, v32, v32
	v_add3_u32 v32, v32, v33, s34
	v_cndmask_b32_sdwa v32, v31, v32, vcc dst_sel:DWORD dst_unused:UNUSED_PAD src0_sel:DWORD src1_sel:WORD_1
	global_store_short v[34:35], v32, off
	s_or_b64 exec, exec, s[2:3]
	s_and_saveexec_b64 s[2:3], s[8:9]
	s_cbranch_execz .LBB131_3
.LBB131_27:                             ;   in Loop: Header=BB131_4 Depth=1
	v_div_scale_f32 v32, s[6:7], v43, v43, v36
	v_div_scale_f32 v33, vcc, v36, v43, v36
	v_rcp_f32_e32 v34, v32
	v_fma_f32 v35, -v32, v34, 1.0
	v_fmac_f32_e32 v34, v35, v34
	v_mul_f32_e32 v35, v33, v34
	v_fma_f32 v37, -v32, v35, v33
	v_fmac_f32_e32 v35, v37, v34
	v_fma_f32 v32, -v32, v35, v33
	v_div_fmas_f32 v34, v32, v34, v35
	v_mov_b32_e32 v33, s19
	v_add_co_u32_e32 v32, vcc, s18, v1
	v_addc_co_u32_e32 v33, vcc, v2, v33, vcc
	v_div_fixup_f32 v34, v34, v43, v36
	v_add_f32_e32 v35, v40, v34
	v_fmac_f32_e32 v40, s30, v34
	v_cndmask_b32_e64 v34, v40, v35, s[0:1]
	v_bfe_u32 v35, v34, 16, 1
	v_cmp_o_f32_e32 vcc, v34, v34
	v_add3_u32 v34, v34, v35, s34
	v_cndmask_b32_sdwa v34, v31, v34, vcc dst_sel:DWORD dst_unused:UNUSED_PAD src0_sel:DWORD src1_sel:WORD_1
	global_store_short v[32:33], v34, off
	s_branch .LBB131_3
.LBB131_28:
	s_mov_b64 s[0:1], 0
.LBB131_29:
	s_andn2_b64 vcc, exec, s[0:1]
	s_cbranch_vccnz .LBB131_33
; %bb.30:
	v_mov_b32_e32 v1, 0x10000
	v_mov_b32_e32 v2, 0
	v_cmp_lt_i64_e32 vcc, s[20:21], v[1:2]
	v_mov_b32_e32 v2, 0
	s_and_b64 s[0:1], vcc, exec
	s_cselect_b32 s9, s21, 0
	s_cselect_b32 s8, s20, 0x10000
	v_lshlrev_b32_e32 v1, 2, v0
	v_cmp_gt_i64_e32 vcc, s[8:9], v[1:2]
	s_and_saveexec_b64 s[0:1], vcc
	s_cbranch_execz .LBB131_33
; %bb.31:
	s_load_dword s2, s[4:5], 0xd14
	v_mov_b32_e32 v1, v2
	v_lshlrev_b32_e32 v2, 3, v0
	v_mov_b32_e32 v3, s19
	v_add_co_u32_e32 v2, vcc, s18, v2
	s_waitcnt lgkmcnt(0)
	s_and_b32 s19, s2, 0xffff
	v_cmp_eq_f32_e64 s[0:1], s30, 1.0
	v_addc_co_u32_e32 v3, vcc, 0, v3, vcc
	s_lshl_b32 s18, s19, 3
	s_mov_b64 s[10:11], 0
	v_mov_b32_e32 v4, s13
	v_mov_b32_e32 v5, s15
	;; [unrolled: 1-line block ×3, first 2 shown]
	s_movk_i32 s13, 0x7fff
	v_mov_b32_e32 v7, 0x7fc0
	v_mov_b32_e32 v8, 0x7fc00000
.LBB131_32:                             ; =>This Inner Loop Header: Depth=1
	v_add_co_u32_e32 v9, vcc, s14, v2
	v_addc_co_u32_e32 v10, vcc, v5, v3, vcc
	v_add_co_u32_e32 v11, vcc, s16, v2
	v_addc_co_u32_e32 v12, vcc, v6, v3, vcc
	v_add_co_u32_e32 v0, vcc, s19, v0
	v_addc_co_u32_e32 v1, vcc, 0, v1, vcc
	v_add_co_u32_e32 v13, vcc, s12, v2
	v_addc_co_u32_e32 v14, vcc, v4, v3, vcc
	global_load_dwordx2 v[15:16], v[9:10], off
	global_load_dwordx2 v[17:18], v[11:12], off
	;; [unrolled: 1-line block ×3, first 2 shown]
	v_add_co_u32_e32 v2, vcc, s18, v2
	v_lshlrev_b64 v[9:10], 2, v[0:1]
	v_addc_co_u32_e32 v3, vcc, 0, v3, vcc
	v_cmp_le_i64_e32 vcc, s[8:9], v[9:10]
	s_or_b64 s[10:11], vcc, s[10:11]
	s_waitcnt vmcnt(2)
	v_lshlrev_b32_e32 v9, 16, v15
	s_waitcnt vmcnt(1)
	v_lshlrev_b32_e32 v10, 16, v17
	v_and_b32_e32 v11, 0xffff0000, v15
	v_and_b32_e32 v12, 0xffff0000, v17
	v_alignbit_b32 v15, v16, v15, 16
	v_alignbit_b32 v17, v18, v17, 16
	v_div_scale_f32 v23, s[2:3], v10, v10, v9
	v_and_b32_e32 v16, 0xffff0000, v16
	v_and_b32_e32 v18, 0xffff0000, v18
	v_div_scale_f32 v25, s[2:3], v12, v12, v11
	v_and_b32_e32 v15, 0xffff0000, v15
	v_and_b32_e32 v17, 0xffff0000, v17
	v_div_scale_f32 v27, s[4:5], v18, v18, v16
	v_div_scale_f32 v29, s[6:7], v17, v17, v15
	v_div_scale_f32 v24, vcc, v9, v10, v9
	v_div_scale_f32 v26, s[2:3], v11, v12, v11
	v_div_scale_f32 v30, s[6:7], v15, v17, v15
	;; [unrolled: 1-line block ×3, first 2 shown]
	v_rcp_f32_e32 v31, v23
	v_rcp_f32_e32 v32, v25
	s_waitcnt vmcnt(0)
	v_lshlrev_b32_e32 v21, 16, v19
	v_and_b32_e32 v22, 0xffff0000, v19
	v_rcp_f32_e32 v33, v27
	v_fma_f32 v35, -v23, v31, 1.0
	v_rcp_f32_e32 v34, v29
	v_fma_f32 v36, -v25, v32, 1.0
	v_fmac_f32_e32 v31, v35, v31
	v_fma_f32 v37, -v27, v33, 1.0
	v_fmac_f32_e32 v32, v36, v32
	v_fma_f32 v35, -v29, v34, 1.0
	v_mul_f32_e32 v36, v24, v31
	v_fmac_f32_e32 v33, v37, v33
	v_mul_f32_e32 v37, v26, v32
	v_fmac_f32_e32 v34, v35, v34
	v_fma_f32 v38, -v23, v36, v24
	v_fma_f32 v39, -v25, v37, v26
	v_mul_f32_e32 v41, v30, v34
	v_fmac_f32_e32 v36, v38, v31
	v_mul_f32_e32 v35, v28, v33
	v_fmac_f32_e32 v37, v39, v32
	v_fma_f32 v38, -v29, v41, v30
	v_fma_f32 v23, -v23, v36, v24
	;; [unrolled: 1-line block ×4, first 2 shown]
	v_fmac_f32_e32 v41, v38, v34
	v_div_fmas_f32 v23, v23, v31, v36
	s_mov_b64 vcc, s[2:3]
	v_fmac_f32_e32 v35, v40, v33
	v_fma_f32 v26, -v29, v41, v30
	v_div_fmas_f32 v24, v24, v32, v37
	s_mov_b64 vcc, s[6:7]
	v_fma_f32 v25, -v27, v35, v28
	v_div_fmas_f32 v26, v26, v34, v41
	s_mov_b64 vcc, s[4:5]
	v_div_fmas_f32 v25, v25, v33, v35
	v_alignbit_b32 v19, v20, v19, 16
	v_and_b32_e32 v19, 0xffff0000, v19
	v_and_b32_e32 v20, 0xffff0000, v20
	v_div_fixup_f32 v9, v23, v10, v9
	v_add_f32_e32 v10, v9, v21
	v_fmac_f32_e32 v21, s30, v9
	v_cndmask_b32_e64 v10, v21, v10, s[0:1]
	v_div_fixup_f32 v9, v24, v12, v11
	v_add_f32_e32 v11, v9, v22
	v_fmac_f32_e32 v22, s30, v9
	v_div_fixup_f32 v9, v26, v17, v15
	v_bfe_u32 v12, v10, 16, 1
	v_cndmask_b32_e64 v11, v22, v11, s[0:1]
	v_add_f32_e32 v15, v9, v19
	v_fmac_f32_e32 v19, s30, v9
	v_div_fixup_f32 v9, v25, v18, v16
	v_add3_u32 v12, v10, v12, s13
	v_bfe_u32 v16, v11, 16, 1
	v_cndmask_b32_e64 v15, v19, v15, s[0:1]
	v_add_f32_e32 v17, v9, v20
	v_fmac_f32_e32 v20, s30, v9
	v_lshrrev_b32_e32 v9, 16, v12
	v_add3_u32 v12, v11, v16, s13
	v_bfe_u32 v16, v15, 16, 1
	v_cndmask_b32_e64 v17, v20, v17, s[0:1]
	v_cmp_o_f32_e32 vcc, v10, v10
	v_cndmask_b32_e32 v9, v7, v9, vcc
	v_and_b32_e32 v10, 0xffff0000, v12
	v_add3_u32 v12, v15, v16, s13
	v_bfe_u32 v16, v17, 16, 1
	v_cmp_o_f32_e32 vcc, v11, v11
	v_cndmask_b32_e32 v10, v8, v10, vcc
	v_lshrrev_b32_e32 v11, 16, v12
	v_add3_u32 v12, v17, v16, s13
	v_cmp_o_f32_e32 vcc, v15, v15
	v_cndmask_b32_e32 v11, v7, v11, vcc
	v_and_b32_e32 v12, 0xffff0000, v12
	v_cmp_o_f32_e32 vcc, v17, v17
	v_or_b32_e32 v9, v9, v10
	v_cndmask_b32_e32 v10, v8, v12, vcc
	v_or3_b32 v9, v9, 0, 0
	v_or3_b32 v10, 0, v11, v10
	global_store_dwordx2 v[13:14], v[9:10], off
	s_andn2_b64 exec, exec, s[10:11]
	s_cbranch_execnz .LBB131_32
.LBB131_33:
	s_endpgm
	.section	.rodata,"a",@progbits
	.p2align	6, 0x0
	.amdhsa_kernel _ZN2at6native12_GLOBAL__N_125multi_tensor_apply_kernelINS1_28TensorListScalarListMetadataIfLi3EEENS1_28PointwiseOpScalarListFunctorIN3c108BFloat16ELi3ELi3ELi0EEEJSt7dividesIfEEEEvT_T0_DpT1_
		.amdhsa_group_segment_fixed_size 0
		.amdhsa_private_segment_fixed_size 0
		.amdhsa_kernarg_size 3592
		.amdhsa_user_sgpr_count 6
		.amdhsa_user_sgpr_private_segment_buffer 1
		.amdhsa_user_sgpr_dispatch_ptr 0
		.amdhsa_user_sgpr_queue_ptr 0
		.amdhsa_user_sgpr_kernarg_segment_ptr 1
		.amdhsa_user_sgpr_dispatch_id 0
		.amdhsa_user_sgpr_flat_scratch_init 0
		.amdhsa_user_sgpr_private_segment_size 0
		.amdhsa_uses_dynamic_stack 0
		.amdhsa_system_sgpr_private_segment_wavefront_offset 0
		.amdhsa_system_sgpr_workgroup_id_x 1
		.amdhsa_system_sgpr_workgroup_id_y 0
		.amdhsa_system_sgpr_workgroup_id_z 0
		.amdhsa_system_sgpr_workgroup_info 0
		.amdhsa_system_vgpr_workitem_id 0
		.amdhsa_next_free_vgpr 49
		.amdhsa_next_free_sgpr 35
		.amdhsa_reserve_vcc 1
		.amdhsa_reserve_flat_scratch 0
		.amdhsa_float_round_mode_32 0
		.amdhsa_float_round_mode_16_64 0
		.amdhsa_float_denorm_mode_32 3
		.amdhsa_float_denorm_mode_16_64 3
		.amdhsa_dx10_clamp 1
		.amdhsa_ieee_mode 1
		.amdhsa_fp16_overflow 0
		.amdhsa_exception_fp_ieee_invalid_op 0
		.amdhsa_exception_fp_denorm_src 0
		.amdhsa_exception_fp_ieee_div_zero 0
		.amdhsa_exception_fp_ieee_overflow 0
		.amdhsa_exception_fp_ieee_underflow 0
		.amdhsa_exception_fp_ieee_inexact 0
		.amdhsa_exception_int_div_zero 0
	.end_amdhsa_kernel
	.section	.text._ZN2at6native12_GLOBAL__N_125multi_tensor_apply_kernelINS1_28TensorListScalarListMetadataIfLi3EEENS1_28PointwiseOpScalarListFunctorIN3c108BFloat16ELi3ELi3ELi0EEEJSt7dividesIfEEEEvT_T0_DpT1_,"axG",@progbits,_ZN2at6native12_GLOBAL__N_125multi_tensor_apply_kernelINS1_28TensorListScalarListMetadataIfLi3EEENS1_28PointwiseOpScalarListFunctorIN3c108BFloat16ELi3ELi3ELi0EEEJSt7dividesIfEEEEvT_T0_DpT1_,comdat
.Lfunc_end131:
	.size	_ZN2at6native12_GLOBAL__N_125multi_tensor_apply_kernelINS1_28TensorListScalarListMetadataIfLi3EEENS1_28PointwiseOpScalarListFunctorIN3c108BFloat16ELi3ELi3ELi0EEEJSt7dividesIfEEEEvT_T0_DpT1_, .Lfunc_end131-_ZN2at6native12_GLOBAL__N_125multi_tensor_apply_kernelINS1_28TensorListScalarListMetadataIfLi3EEENS1_28PointwiseOpScalarListFunctorIN3c108BFloat16ELi3ELi3ELi0EEEJSt7dividesIfEEEEvT_T0_DpT1_
                                        ; -- End function
	.set _ZN2at6native12_GLOBAL__N_125multi_tensor_apply_kernelINS1_28TensorListScalarListMetadataIfLi3EEENS1_28PointwiseOpScalarListFunctorIN3c108BFloat16ELi3ELi3ELi0EEEJSt7dividesIfEEEEvT_T0_DpT1_.num_vgpr, 49
	.set _ZN2at6native12_GLOBAL__N_125multi_tensor_apply_kernelINS1_28TensorListScalarListMetadataIfLi3EEENS1_28PointwiseOpScalarListFunctorIN3c108BFloat16ELi3ELi3ELi0EEEJSt7dividesIfEEEEvT_T0_DpT1_.num_agpr, 0
	.set _ZN2at6native12_GLOBAL__N_125multi_tensor_apply_kernelINS1_28TensorListScalarListMetadataIfLi3EEENS1_28PointwiseOpScalarListFunctorIN3c108BFloat16ELi3ELi3ELi0EEEJSt7dividesIfEEEEvT_T0_DpT1_.numbered_sgpr, 35
	.set _ZN2at6native12_GLOBAL__N_125multi_tensor_apply_kernelINS1_28TensorListScalarListMetadataIfLi3EEENS1_28PointwiseOpScalarListFunctorIN3c108BFloat16ELi3ELi3ELi0EEEJSt7dividesIfEEEEvT_T0_DpT1_.num_named_barrier, 0
	.set _ZN2at6native12_GLOBAL__N_125multi_tensor_apply_kernelINS1_28TensorListScalarListMetadataIfLi3EEENS1_28PointwiseOpScalarListFunctorIN3c108BFloat16ELi3ELi3ELi0EEEJSt7dividesIfEEEEvT_T0_DpT1_.private_seg_size, 0
	.set _ZN2at6native12_GLOBAL__N_125multi_tensor_apply_kernelINS1_28TensorListScalarListMetadataIfLi3EEENS1_28PointwiseOpScalarListFunctorIN3c108BFloat16ELi3ELi3ELi0EEEJSt7dividesIfEEEEvT_T0_DpT1_.uses_vcc, 1
	.set _ZN2at6native12_GLOBAL__N_125multi_tensor_apply_kernelINS1_28TensorListScalarListMetadataIfLi3EEENS1_28PointwiseOpScalarListFunctorIN3c108BFloat16ELi3ELi3ELi0EEEJSt7dividesIfEEEEvT_T0_DpT1_.uses_flat_scratch, 0
	.set _ZN2at6native12_GLOBAL__N_125multi_tensor_apply_kernelINS1_28TensorListScalarListMetadataIfLi3EEENS1_28PointwiseOpScalarListFunctorIN3c108BFloat16ELi3ELi3ELi0EEEJSt7dividesIfEEEEvT_T0_DpT1_.has_dyn_sized_stack, 0
	.set _ZN2at6native12_GLOBAL__N_125multi_tensor_apply_kernelINS1_28TensorListScalarListMetadataIfLi3EEENS1_28PointwiseOpScalarListFunctorIN3c108BFloat16ELi3ELi3ELi0EEEJSt7dividesIfEEEEvT_T0_DpT1_.has_recursion, 0
	.set _ZN2at6native12_GLOBAL__N_125multi_tensor_apply_kernelINS1_28TensorListScalarListMetadataIfLi3EEENS1_28PointwiseOpScalarListFunctorIN3c108BFloat16ELi3ELi3ELi0EEEJSt7dividesIfEEEEvT_T0_DpT1_.has_indirect_call, 0
	.section	.AMDGPU.csdata,"",@progbits
; Kernel info:
; codeLenInByte = 2912
; TotalNumSgprs: 39
; NumVgprs: 49
; ScratchSize: 0
; MemoryBound: 0
; FloatMode: 240
; IeeeMode: 1
; LDSByteSize: 0 bytes/workgroup (compile time only)
; SGPRBlocks: 4
; VGPRBlocks: 12
; NumSGPRsForWavesPerEU: 39
; NumVGPRsForWavesPerEU: 49
; Occupancy: 4
; WaveLimiterHint : 0
; COMPUTE_PGM_RSRC2:SCRATCH_EN: 0
; COMPUTE_PGM_RSRC2:USER_SGPR: 6
; COMPUTE_PGM_RSRC2:TRAP_HANDLER: 0
; COMPUTE_PGM_RSRC2:TGID_X_EN: 1
; COMPUTE_PGM_RSRC2:TGID_Y_EN: 0
; COMPUTE_PGM_RSRC2:TGID_Z_EN: 0
; COMPUTE_PGM_RSRC2:TIDIG_COMP_CNT: 0
	.section	.AMDGPU.gpr_maximums,"",@progbits
	.set amdgpu.max_num_vgpr, 0
	.set amdgpu.max_num_agpr, 0
	.set amdgpu.max_num_sgpr, 0
	.section	.AMDGPU.csdata,"",@progbits
	.type	__hip_cuid_2988f54630b3eda2,@object ; @__hip_cuid_2988f54630b3eda2
	.section	.bss,"aw",@nobits
	.globl	__hip_cuid_2988f54630b3eda2
__hip_cuid_2988f54630b3eda2:
	.byte	0                               ; 0x0
	.size	__hip_cuid_2988f54630b3eda2, 1

	.ident	"AMD clang version 22.0.0git (https://github.com/RadeonOpenCompute/llvm-project roc-7.2.4 26084 f58b06dce1f9c15707c5f808fd002e18c2accf7e)"
	.section	".note.GNU-stack","",@progbits
	.addrsig
	.addrsig_sym __hip_cuid_2988f54630b3eda2
	.amdgpu_metadata
---
amdhsa.kernels:
  - .args:
      - .offset:         0
        .size:           3048
        .value_kind:     by_value
      - .offset:         3048
        .size:           1
        .value_kind:     by_value
      - .offset:         3049
        .size:           1
        .value_kind:     by_value
      - .offset:         3050
        .size:           1
        .value_kind:     by_value
      - .offset:         3056
        .size:           4
        .value_kind:     hidden_block_count_x
      - .offset:         3060
        .size:           4
        .value_kind:     hidden_block_count_y
      - .offset:         3064
        .size:           4
        .value_kind:     hidden_block_count_z
      - .offset:         3068
        .size:           2
        .value_kind:     hidden_group_size_x
      - .offset:         3070
        .size:           2
        .value_kind:     hidden_group_size_y
      - .offset:         3072
        .size:           2
        .value_kind:     hidden_group_size_z
      - .offset:         3074
        .size:           2
        .value_kind:     hidden_remainder_x
      - .offset:         3076
        .size:           2
        .value_kind:     hidden_remainder_y
      - .offset:         3078
        .size:           2
        .value_kind:     hidden_remainder_z
      - .offset:         3096
        .size:           8
        .value_kind:     hidden_global_offset_x
      - .offset:         3104
        .size:           8
        .value_kind:     hidden_global_offset_y
      - .offset:         3112
        .size:           8
        .value_kind:     hidden_global_offset_z
      - .offset:         3120
        .size:           2
        .value_kind:     hidden_grid_dims
    .group_segment_fixed_size: 0
    .kernarg_segment_align: 8
    .kernarg_segment_size: 3312
    .language:       OpenCL C
    .language_version:
      - 2
      - 0
    .max_flat_workgroup_size: 512
    .name:           _ZN2at6native12_GLOBAL__N_125multi_tensor_apply_kernelINS1_18TensorListMetadataILi4EEENS1_24PointwiseOpScalarFunctorIhLi4ELi3ELi3EEEJSt10multipliesIhEhEEEvT_T0_DpT1_
    .private_segment_fixed_size: 0
    .sgpr_count:     38
    .sgpr_spill_count: 0
    .symbol:         _ZN2at6native12_GLOBAL__N_125multi_tensor_apply_kernelINS1_18TensorListMetadataILi4EEENS1_24PointwiseOpScalarFunctorIhLi4ELi3ELi3EEEJSt10multipliesIhEhEEEvT_T0_DpT1_.kd
    .uniform_work_group_size: 1
    .uses_dynamic_stack: false
    .vgpr_count:     54
    .vgpr_spill_count: 0
    .wavefront_size: 64
  - .args:
      - .offset:         0
        .size:           3048
        .value_kind:     by_value
      - .offset:         3048
        .size:           1
        .value_kind:     by_value
      - .offset:         3049
        .size:           1
        .value_kind:     by_value
      - .offset:         3050
        .size:           1
        .value_kind:     by_value
      - .offset:         3056
        .size:           4
        .value_kind:     hidden_block_count_x
      - .offset:         3060
        .size:           4
        .value_kind:     hidden_block_count_y
      - .offset:         3064
        .size:           4
        .value_kind:     hidden_block_count_z
      - .offset:         3068
        .size:           2
        .value_kind:     hidden_group_size_x
      - .offset:         3070
        .size:           2
        .value_kind:     hidden_group_size_y
      - .offset:         3072
        .size:           2
        .value_kind:     hidden_group_size_z
      - .offset:         3074
        .size:           2
        .value_kind:     hidden_remainder_x
      - .offset:         3076
        .size:           2
        .value_kind:     hidden_remainder_y
      - .offset:         3078
        .size:           2
        .value_kind:     hidden_remainder_z
      - .offset:         3096
        .size:           8
        .value_kind:     hidden_global_offset_x
      - .offset:         3104
        .size:           8
        .value_kind:     hidden_global_offset_y
      - .offset:         3112
        .size:           8
        .value_kind:     hidden_global_offset_z
      - .offset:         3120
        .size:           2
        .value_kind:     hidden_grid_dims
    .group_segment_fixed_size: 0
    .kernarg_segment_align: 8
    .kernarg_segment_size: 3312
    .language:       OpenCL C
    .language_version:
      - 2
      - 0
    .max_flat_workgroup_size: 512
    .name:           _ZN2at6native12_GLOBAL__N_125multi_tensor_apply_kernelINS1_18TensorListMetadataILi4EEENS1_24PointwiseOpScalarFunctorIaLi4ELi3ELi3EEEJSt10multipliesIaEaEEEvT_T0_DpT1_
    .private_segment_fixed_size: 0
    .sgpr_count:     38
    .sgpr_spill_count: 0
    .symbol:         _ZN2at6native12_GLOBAL__N_125multi_tensor_apply_kernelINS1_18TensorListMetadataILi4EEENS1_24PointwiseOpScalarFunctorIaLi4ELi3ELi3EEEJSt10multipliesIaEaEEEvT_T0_DpT1_.kd
    .uniform_work_group_size: 1
    .uses_dynamic_stack: false
    .vgpr_count:     54
    .vgpr_spill_count: 0
    .wavefront_size: 64
  - .args:
      - .offset:         0
        .size:           3048
        .value_kind:     by_value
      - .offset:         3048
        .size:           1
        .value_kind:     by_value
      - .offset:         3049
        .size:           1
        .value_kind:     by_value
      - .offset:         3052
        .size:           4
        .value_kind:     by_value
      - .offset:         3056
        .size:           4
        .value_kind:     hidden_block_count_x
      - .offset:         3060
        .size:           4
        .value_kind:     hidden_block_count_y
      - .offset:         3064
        .size:           4
        .value_kind:     hidden_block_count_z
      - .offset:         3068
        .size:           2
        .value_kind:     hidden_group_size_x
      - .offset:         3070
        .size:           2
        .value_kind:     hidden_group_size_y
      - .offset:         3072
        .size:           2
        .value_kind:     hidden_group_size_z
      - .offset:         3074
        .size:           2
        .value_kind:     hidden_remainder_x
      - .offset:         3076
        .size:           2
        .value_kind:     hidden_remainder_y
      - .offset:         3078
        .size:           2
        .value_kind:     hidden_remainder_z
      - .offset:         3096
        .size:           8
        .value_kind:     hidden_global_offset_x
      - .offset:         3104
        .size:           8
        .value_kind:     hidden_global_offset_y
      - .offset:         3112
        .size:           8
        .value_kind:     hidden_global_offset_z
      - .offset:         3120
        .size:           2
        .value_kind:     hidden_grid_dims
    .group_segment_fixed_size: 0
    .kernarg_segment_align: 8
    .kernarg_segment_size: 3312
    .language:       OpenCL C
    .language_version:
      - 2
      - 0
    .max_flat_workgroup_size: 512
    .name:           _ZN2at6native12_GLOBAL__N_125multi_tensor_apply_kernelINS1_18TensorListMetadataILi4EEENS1_24PointwiseOpScalarFunctorIiLi4ELi3ELi3EEEJSt10multipliesIiEiEEEvT_T0_DpT1_
    .private_segment_fixed_size: 0
    .sgpr_count:     40
    .sgpr_spill_count: 0
    .symbol:         _ZN2at6native12_GLOBAL__N_125multi_tensor_apply_kernelINS1_18TensorListMetadataILi4EEENS1_24PointwiseOpScalarFunctorIiLi4ELi3ELi3EEEJSt10multipliesIiEiEEEvT_T0_DpT1_.kd
    .uniform_work_group_size: 1
    .uses_dynamic_stack: false
    .vgpr_count:     54
    .vgpr_spill_count: 0
    .wavefront_size: 64
  - .args:
      - .offset:         0
        .size:           3048
        .value_kind:     by_value
      - .offset:         3048
        .size:           1
        .value_kind:     by_value
      - .offset:         3049
        .size:           1
        .value_kind:     by_value
      - .offset:         3056
        .size:           8
        .value_kind:     by_value
      - .offset:         3064
        .size:           4
        .value_kind:     hidden_block_count_x
      - .offset:         3068
        .size:           4
        .value_kind:     hidden_block_count_y
      - .offset:         3072
        .size:           4
        .value_kind:     hidden_block_count_z
      - .offset:         3076
        .size:           2
        .value_kind:     hidden_group_size_x
      - .offset:         3078
        .size:           2
        .value_kind:     hidden_group_size_y
      - .offset:         3080
        .size:           2
        .value_kind:     hidden_group_size_z
      - .offset:         3082
        .size:           2
        .value_kind:     hidden_remainder_x
      - .offset:         3084
        .size:           2
        .value_kind:     hidden_remainder_y
      - .offset:         3086
        .size:           2
        .value_kind:     hidden_remainder_z
      - .offset:         3104
        .size:           8
        .value_kind:     hidden_global_offset_x
      - .offset:         3112
        .size:           8
        .value_kind:     hidden_global_offset_y
      - .offset:         3120
        .size:           8
        .value_kind:     hidden_global_offset_z
      - .offset:         3128
        .size:           2
        .value_kind:     hidden_grid_dims
    .group_segment_fixed_size: 0
    .kernarg_segment_align: 8
    .kernarg_segment_size: 3320
    .language:       OpenCL C
    .language_version:
      - 2
      - 0
    .max_flat_workgroup_size: 512
    .name:           _ZN2at6native12_GLOBAL__N_125multi_tensor_apply_kernelINS1_18TensorListMetadataILi4EEENS1_24PointwiseOpScalarFunctorIlLi4ELi3ELi3EEEJSt10multipliesIlElEEEvT_T0_DpT1_
    .private_segment_fixed_size: 0
    .sgpr_count:     40
    .sgpr_spill_count: 0
    .symbol:         _ZN2at6native12_GLOBAL__N_125multi_tensor_apply_kernelINS1_18TensorListMetadataILi4EEENS1_24PointwiseOpScalarFunctorIlLi4ELi3ELi3EEEJSt10multipliesIlElEEEvT_T0_DpT1_.kd
    .uniform_work_group_size: 1
    .uses_dynamic_stack: false
    .vgpr_count:     66
    .vgpr_spill_count: 0
    .wavefront_size: 64
  - .args:
      - .offset:         0
        .size:           3048
        .value_kind:     by_value
      - .offset:         3048
        .size:           1
        .value_kind:     by_value
      - .offset:         3049
        .size:           1
        .value_kind:     by_value
      - .offset:         3050
        .size:           2
        .value_kind:     by_value
      - .offset:         3056
        .size:           4
        .value_kind:     hidden_block_count_x
      - .offset:         3060
        .size:           4
        .value_kind:     hidden_block_count_y
      - .offset:         3064
        .size:           4
        .value_kind:     hidden_block_count_z
      - .offset:         3068
        .size:           2
        .value_kind:     hidden_group_size_x
      - .offset:         3070
        .size:           2
        .value_kind:     hidden_group_size_y
      - .offset:         3072
        .size:           2
        .value_kind:     hidden_group_size_z
      - .offset:         3074
        .size:           2
        .value_kind:     hidden_remainder_x
      - .offset:         3076
        .size:           2
        .value_kind:     hidden_remainder_y
      - .offset:         3078
        .size:           2
        .value_kind:     hidden_remainder_z
      - .offset:         3096
        .size:           8
        .value_kind:     hidden_global_offset_x
      - .offset:         3104
        .size:           8
        .value_kind:     hidden_global_offset_y
      - .offset:         3112
        .size:           8
        .value_kind:     hidden_global_offset_z
      - .offset:         3120
        .size:           2
        .value_kind:     hidden_grid_dims
    .group_segment_fixed_size: 0
    .kernarg_segment_align: 8
    .kernarg_segment_size: 3312
    .language:       OpenCL C
    .language_version:
      - 2
      - 0
    .max_flat_workgroup_size: 512
    .name:           _ZN2at6native12_GLOBAL__N_125multi_tensor_apply_kernelINS1_18TensorListMetadataILi4EEENS1_24PointwiseOpScalarFunctorIsLi4ELi3ELi3EEEJSt10multipliesIsEsEEEvT_T0_DpT1_
    .private_segment_fixed_size: 0
    .sgpr_count:     38
    .sgpr_spill_count: 0
    .symbol:         _ZN2at6native12_GLOBAL__N_125multi_tensor_apply_kernelINS1_18TensorListMetadataILi4EEENS1_24PointwiseOpScalarFunctorIsLi4ELi3ELi3EEEJSt10multipliesIsEsEEEvT_T0_DpT1_.kd
    .uniform_work_group_size: 1
    .uses_dynamic_stack: false
    .vgpr_count:     54
    .vgpr_spill_count: 0
    .wavefront_size: 64
  - .args:
      - .offset:         0
        .size:           3048
        .value_kind:     by_value
      - .offset:         3048
        .size:           1
        .value_kind:     by_value
      - .offset:         3049
        .size:           1
        .value_kind:     by_value
      - .offset:         3056
        .size:           8
        .value_kind:     by_value
      - .offset:         3064
        .size:           4
        .value_kind:     hidden_block_count_x
      - .offset:         3068
        .size:           4
        .value_kind:     hidden_block_count_y
      - .offset:         3072
        .size:           4
        .value_kind:     hidden_block_count_z
      - .offset:         3076
        .size:           2
        .value_kind:     hidden_group_size_x
      - .offset:         3078
        .size:           2
        .value_kind:     hidden_group_size_y
      - .offset:         3080
        .size:           2
        .value_kind:     hidden_group_size_z
      - .offset:         3082
        .size:           2
        .value_kind:     hidden_remainder_x
      - .offset:         3084
        .size:           2
        .value_kind:     hidden_remainder_y
      - .offset:         3086
        .size:           2
        .value_kind:     hidden_remainder_z
      - .offset:         3104
        .size:           8
        .value_kind:     hidden_global_offset_x
      - .offset:         3112
        .size:           8
        .value_kind:     hidden_global_offset_y
      - .offset:         3120
        .size:           8
        .value_kind:     hidden_global_offset_z
      - .offset:         3128
        .size:           2
        .value_kind:     hidden_grid_dims
    .group_segment_fixed_size: 0
    .kernarg_segment_align: 8
    .kernarg_segment_size: 3320
    .language:       OpenCL C
    .language_version:
      - 2
      - 0
    .max_flat_workgroup_size: 512
    .name:           _ZN2at6native12_GLOBAL__N_125multi_tensor_apply_kernelINS1_18TensorListMetadataILi4EEENS1_24PointwiseOpScalarFunctorIdLi4ELi3ELi3EEEJSt10multipliesIdEdEEEvT_T0_DpT1_
    .private_segment_fixed_size: 0
    .sgpr_count:     43
    .sgpr_spill_count: 0
    .symbol:         _ZN2at6native12_GLOBAL__N_125multi_tensor_apply_kernelINS1_18TensorListMetadataILi4EEENS1_24PointwiseOpScalarFunctorIdLi4ELi3ELi3EEEJSt10multipliesIdEdEEEvT_T0_DpT1_.kd
    .uniform_work_group_size: 1
    .uses_dynamic_stack: false
    .vgpr_count:     65
    .vgpr_spill_count: 0
    .wavefront_size: 64
  - .args:
      - .offset:         0
        .size:           3048
        .value_kind:     by_value
      - .offset:         3048
        .size:           1
        .value_kind:     by_value
      - .offset:         3049
        .size:           1
        .value_kind:     by_value
      - .offset:         3052
        .size:           4
        .value_kind:     by_value
      - .offset:         3056
        .size:           4
        .value_kind:     hidden_block_count_x
      - .offset:         3060
        .size:           4
        .value_kind:     hidden_block_count_y
      - .offset:         3064
        .size:           4
        .value_kind:     hidden_block_count_z
      - .offset:         3068
        .size:           2
        .value_kind:     hidden_group_size_x
      - .offset:         3070
        .size:           2
        .value_kind:     hidden_group_size_y
      - .offset:         3072
        .size:           2
        .value_kind:     hidden_group_size_z
      - .offset:         3074
        .size:           2
        .value_kind:     hidden_remainder_x
      - .offset:         3076
        .size:           2
        .value_kind:     hidden_remainder_y
      - .offset:         3078
        .size:           2
        .value_kind:     hidden_remainder_z
      - .offset:         3096
        .size:           8
        .value_kind:     hidden_global_offset_x
      - .offset:         3104
        .size:           8
        .value_kind:     hidden_global_offset_y
      - .offset:         3112
        .size:           8
        .value_kind:     hidden_global_offset_z
      - .offset:         3120
        .size:           2
        .value_kind:     hidden_grid_dims
    .group_segment_fixed_size: 0
    .kernarg_segment_align: 8
    .kernarg_segment_size: 3312
    .language:       OpenCL C
    .language_version:
      - 2
      - 0
    .max_flat_workgroup_size: 512
    .name:           _ZN2at6native12_GLOBAL__N_125multi_tensor_apply_kernelINS1_18TensorListMetadataILi4EEENS1_24PointwiseOpScalarFunctorIfLi4ELi3ELi3EEEJSt10multipliesIfEfEEEvT_T0_DpT1_
    .private_segment_fixed_size: 0
    .sgpr_count:     40
    .sgpr_spill_count: 0
    .symbol:         _ZN2at6native12_GLOBAL__N_125multi_tensor_apply_kernelINS1_18TensorListMetadataILi4EEENS1_24PointwiseOpScalarFunctorIfLi4ELi3ELi3EEEJSt10multipliesIfEfEEEvT_T0_DpT1_.kd
    .uniform_work_group_size: 1
    .uses_dynamic_stack: false
    .vgpr_count:     54
    .vgpr_spill_count: 0
    .wavefront_size: 64
  - .args:
      - .offset:         0
        .size:           3048
        .value_kind:     by_value
      - .offset:         3048
        .size:           1
        .value_kind:     by_value
      - .offset:         3049
        .size:           1
        .value_kind:     by_value
      - .offset:         3056
        .size:           16
        .value_kind:     by_value
      - .offset:         3072
        .size:           4
        .value_kind:     hidden_block_count_x
      - .offset:         3076
        .size:           4
        .value_kind:     hidden_block_count_y
      - .offset:         3080
        .size:           4
        .value_kind:     hidden_block_count_z
      - .offset:         3084
        .size:           2
        .value_kind:     hidden_group_size_x
      - .offset:         3086
        .size:           2
        .value_kind:     hidden_group_size_y
      - .offset:         3088
        .size:           2
        .value_kind:     hidden_group_size_z
      - .offset:         3090
        .size:           2
        .value_kind:     hidden_remainder_x
      - .offset:         3092
        .size:           2
        .value_kind:     hidden_remainder_y
      - .offset:         3094
        .size:           2
        .value_kind:     hidden_remainder_z
      - .offset:         3112
        .size:           8
        .value_kind:     hidden_global_offset_x
      - .offset:         3120
        .size:           8
        .value_kind:     hidden_global_offset_y
      - .offset:         3128
        .size:           8
        .value_kind:     hidden_global_offset_z
      - .offset:         3136
        .size:           2
        .value_kind:     hidden_grid_dims
    .group_segment_fixed_size: 0
    .kernarg_segment_align: 16
    .kernarg_segment_size: 3328
    .language:       OpenCL C
    .language_version:
      - 2
      - 0
    .max_flat_workgroup_size: 512
    .name:           _ZN2at6native12_GLOBAL__N_125multi_tensor_apply_kernelINS1_18TensorListMetadataILi4EEENS1_24PointwiseOpScalarFunctorIN3c107complexIdEELi4ELi3ELi3EEEJSt10multipliesIS8_ES8_EEEvT_T0_DpT1_
    .private_segment_fixed_size: 0
    .sgpr_count:     43
    .sgpr_spill_count: 0
    .symbol:         _ZN2at6native12_GLOBAL__N_125multi_tensor_apply_kernelINS1_18TensorListMetadataILi4EEENS1_24PointwiseOpScalarFunctorIN3c107complexIdEELi4ELi3ELi3EEEJSt10multipliesIS8_ES8_EEEvT_T0_DpT1_.kd
    .uniform_work_group_size: 1
    .uses_dynamic_stack: false
    .vgpr_count:     59
    .vgpr_spill_count: 0
    .wavefront_size: 64
  - .args:
      - .offset:         0
        .size:           3048
        .value_kind:     by_value
      - .offset:         3048
        .size:           1
        .value_kind:     by_value
      - .offset:         3049
        .size:           1
        .value_kind:     by_value
      - .offset:         3056
        .size:           8
        .value_kind:     by_value
      - .offset:         3064
        .size:           4
        .value_kind:     hidden_block_count_x
      - .offset:         3068
        .size:           4
        .value_kind:     hidden_block_count_y
      - .offset:         3072
        .size:           4
        .value_kind:     hidden_block_count_z
      - .offset:         3076
        .size:           2
        .value_kind:     hidden_group_size_x
      - .offset:         3078
        .size:           2
        .value_kind:     hidden_group_size_y
      - .offset:         3080
        .size:           2
        .value_kind:     hidden_group_size_z
      - .offset:         3082
        .size:           2
        .value_kind:     hidden_remainder_x
      - .offset:         3084
        .size:           2
        .value_kind:     hidden_remainder_y
      - .offset:         3086
        .size:           2
        .value_kind:     hidden_remainder_z
      - .offset:         3104
        .size:           8
        .value_kind:     hidden_global_offset_x
      - .offset:         3112
        .size:           8
        .value_kind:     hidden_global_offset_y
      - .offset:         3120
        .size:           8
        .value_kind:     hidden_global_offset_z
      - .offset:         3128
        .size:           2
        .value_kind:     hidden_grid_dims
    .group_segment_fixed_size: 0
    .kernarg_segment_align: 8
    .kernarg_segment_size: 3320
    .language:       OpenCL C
    .language_version:
      - 2
      - 0
    .max_flat_workgroup_size: 512
    .name:           _ZN2at6native12_GLOBAL__N_125multi_tensor_apply_kernelINS1_18TensorListMetadataILi4EEENS1_24PointwiseOpScalarFunctorIN3c107complexIfEELi4ELi3ELi3EEEJSt10multipliesIS8_ES8_EEEvT_T0_DpT1_
    .private_segment_fixed_size: 0
    .sgpr_count:     41
    .sgpr_spill_count: 0
    .symbol:         _ZN2at6native12_GLOBAL__N_125multi_tensor_apply_kernelINS1_18TensorListMetadataILi4EEENS1_24PointwiseOpScalarFunctorIN3c107complexIfEELi4ELi3ELi3EEEJSt10multipliesIS8_ES8_EEEvT_T0_DpT1_.kd
    .uniform_work_group_size: 1
    .uses_dynamic_stack: false
    .vgpr_count:     34
    .vgpr_spill_count: 0
    .wavefront_size: 64
  - .args:
      - .offset:         0
        .size:           3048
        .value_kind:     by_value
      - .offset:         3048
        .size:           1
        .value_kind:     by_value
      - .offset:         3049
        .size:           1
        .value_kind:     by_value
      - .offset:         3052
        .size:           4
        .value_kind:     by_value
      - .offset:         3056
        .size:           4
        .value_kind:     hidden_block_count_x
      - .offset:         3060
        .size:           4
        .value_kind:     hidden_block_count_y
      - .offset:         3064
        .size:           4
        .value_kind:     hidden_block_count_z
      - .offset:         3068
        .size:           2
        .value_kind:     hidden_group_size_x
      - .offset:         3070
        .size:           2
        .value_kind:     hidden_group_size_y
      - .offset:         3072
        .size:           2
        .value_kind:     hidden_group_size_z
      - .offset:         3074
        .size:           2
        .value_kind:     hidden_remainder_x
      - .offset:         3076
        .size:           2
        .value_kind:     hidden_remainder_y
      - .offset:         3078
        .size:           2
        .value_kind:     hidden_remainder_z
      - .offset:         3096
        .size:           8
        .value_kind:     hidden_global_offset_x
      - .offset:         3104
        .size:           8
        .value_kind:     hidden_global_offset_y
      - .offset:         3112
        .size:           8
        .value_kind:     hidden_global_offset_z
      - .offset:         3120
        .size:           2
        .value_kind:     hidden_grid_dims
    .group_segment_fixed_size: 0
    .kernarg_segment_align: 8
    .kernarg_segment_size: 3312
    .language:       OpenCL C
    .language_version:
      - 2
      - 0
    .max_flat_workgroup_size: 512
    .name:           _ZN2at6native12_GLOBAL__N_125multi_tensor_apply_kernelINS1_18TensorListMetadataILi4EEENS1_24PointwiseOpScalarFunctorIN3c104HalfELi4ELi3ELi3EEEJSt10multipliesIfEfEEEvT_T0_DpT1_
    .private_segment_fixed_size: 0
    .sgpr_count:     40
    .sgpr_spill_count: 0
    .symbol:         _ZN2at6native12_GLOBAL__N_125multi_tensor_apply_kernelINS1_18TensorListMetadataILi4EEENS1_24PointwiseOpScalarFunctorIN3c104HalfELi4ELi3ELi3EEEJSt10multipliesIfEfEEEvT_T0_DpT1_.kd
    .uniform_work_group_size: 1
    .uses_dynamic_stack: false
    .vgpr_count:     54
    .vgpr_spill_count: 0
    .wavefront_size: 64
  - .args:
      - .offset:         0
        .size:           3048
        .value_kind:     by_value
      - .offset:         3048
        .size:           1
        .value_kind:     by_value
      - .offset:         3049
        .size:           1
        .value_kind:     by_value
      - .offset:         3052
        .size:           4
        .value_kind:     by_value
      - .offset:         3056
        .size:           4
        .value_kind:     hidden_block_count_x
      - .offset:         3060
        .size:           4
        .value_kind:     hidden_block_count_y
      - .offset:         3064
        .size:           4
        .value_kind:     hidden_block_count_z
      - .offset:         3068
        .size:           2
        .value_kind:     hidden_group_size_x
      - .offset:         3070
        .size:           2
        .value_kind:     hidden_group_size_y
      - .offset:         3072
        .size:           2
        .value_kind:     hidden_group_size_z
      - .offset:         3074
        .size:           2
        .value_kind:     hidden_remainder_x
      - .offset:         3076
        .size:           2
        .value_kind:     hidden_remainder_y
      - .offset:         3078
        .size:           2
        .value_kind:     hidden_remainder_z
      - .offset:         3096
        .size:           8
        .value_kind:     hidden_global_offset_x
      - .offset:         3104
        .size:           8
        .value_kind:     hidden_global_offset_y
      - .offset:         3112
        .size:           8
        .value_kind:     hidden_global_offset_z
      - .offset:         3120
        .size:           2
        .value_kind:     hidden_grid_dims
    .group_segment_fixed_size: 0
    .kernarg_segment_align: 8
    .kernarg_segment_size: 3312
    .language:       OpenCL C
    .language_version:
      - 2
      - 0
    .max_flat_workgroup_size: 512
    .name:           _ZN2at6native12_GLOBAL__N_125multi_tensor_apply_kernelINS1_18TensorListMetadataILi4EEENS1_24PointwiseOpScalarFunctorIN3c108BFloat16ELi4ELi3ELi3EEEJSt10multipliesIfEfEEEvT_T0_DpT1_
    .private_segment_fixed_size: 0
    .sgpr_count:     41
    .sgpr_spill_count: 0
    .symbol:         _ZN2at6native12_GLOBAL__N_125multi_tensor_apply_kernelINS1_18TensorListMetadataILi4EEENS1_24PointwiseOpScalarFunctorIN3c108BFloat16ELi4ELi3ELi3EEEJSt10multipliesIfEfEEEvT_T0_DpT1_.kd
    .uniform_work_group_size: 1
    .uses_dynamic_stack: false
    .vgpr_count:     55
    .vgpr_spill_count: 0
    .wavefront_size: 64
  - .args:
      - .offset:         0
        .size:           3048
        .value_kind:     by_value
      - .offset:         3048
        .size:           1
        .value_kind:     by_value
      - .offset:         3049
        .size:           1
        .value_kind:     by_value
      - .offset:         3050
        .size:           1
        .value_kind:     by_value
      - .offset:         3056
        .size:           4
        .value_kind:     hidden_block_count_x
      - .offset:         3060
        .size:           4
        .value_kind:     hidden_block_count_y
      - .offset:         3064
        .size:           4
        .value_kind:     hidden_block_count_z
      - .offset:         3068
        .size:           2
        .value_kind:     hidden_group_size_x
      - .offset:         3070
        .size:           2
        .value_kind:     hidden_group_size_y
      - .offset:         3072
        .size:           2
        .value_kind:     hidden_group_size_z
      - .offset:         3074
        .size:           2
        .value_kind:     hidden_remainder_x
      - .offset:         3076
        .size:           2
        .value_kind:     hidden_remainder_y
      - .offset:         3078
        .size:           2
        .value_kind:     hidden_remainder_z
      - .offset:         3096
        .size:           8
        .value_kind:     hidden_global_offset_x
      - .offset:         3104
        .size:           8
        .value_kind:     hidden_global_offset_y
      - .offset:         3112
        .size:           8
        .value_kind:     hidden_global_offset_z
      - .offset:         3120
        .size:           2
        .value_kind:     hidden_grid_dims
    .group_segment_fixed_size: 0
    .kernarg_segment_align: 8
    .kernarg_segment_size: 3312
    .language:       OpenCL C
    .language_version:
      - 2
      - 0
    .max_flat_workgroup_size: 512
    .name:           _ZN2at6native12_GLOBAL__N_125multi_tensor_apply_kernelINS1_18TensorListMetadataILi4EEENS1_32PointwiseOpScalar0dTensorFunctorIhLi4ELi2ELi3EEEJSt10multipliesIhEhEEEvT_T0_DpT1_
    .private_segment_fixed_size: 0
    .sgpr_count:     26
    .sgpr_spill_count: 0
    .symbol:         _ZN2at6native12_GLOBAL__N_125multi_tensor_apply_kernelINS1_18TensorListMetadataILi4EEENS1_32PointwiseOpScalar0dTensorFunctorIhLi4ELi2ELi3EEEJSt10multipliesIhEhEEEvT_T0_DpT1_.kd
    .uniform_work_group_size: 1
    .uses_dynamic_stack: false
    .vgpr_count:     48
    .vgpr_spill_count: 0
    .wavefront_size: 64
  - .args:
      - .offset:         0
        .size:           3048
        .value_kind:     by_value
      - .offset:         3048
        .size:           1
        .value_kind:     by_value
      - .offset:         3049
        .size:           1
        .value_kind:     by_value
      - .offset:         3050
        .size:           1
        .value_kind:     by_value
      - .offset:         3056
        .size:           4
        .value_kind:     hidden_block_count_x
      - .offset:         3060
        .size:           4
        .value_kind:     hidden_block_count_y
      - .offset:         3064
        .size:           4
        .value_kind:     hidden_block_count_z
      - .offset:         3068
        .size:           2
        .value_kind:     hidden_group_size_x
      - .offset:         3070
        .size:           2
        .value_kind:     hidden_group_size_y
      - .offset:         3072
        .size:           2
        .value_kind:     hidden_group_size_z
      - .offset:         3074
        .size:           2
        .value_kind:     hidden_remainder_x
      - .offset:         3076
        .size:           2
        .value_kind:     hidden_remainder_y
      - .offset:         3078
        .size:           2
        .value_kind:     hidden_remainder_z
      - .offset:         3096
        .size:           8
        .value_kind:     hidden_global_offset_x
      - .offset:         3104
        .size:           8
        .value_kind:     hidden_global_offset_y
      - .offset:         3112
        .size:           8
        .value_kind:     hidden_global_offset_z
      - .offset:         3120
        .size:           2
        .value_kind:     hidden_grid_dims
    .group_segment_fixed_size: 0
    .kernarg_segment_align: 8
    .kernarg_segment_size: 3312
    .language:       OpenCL C
    .language_version:
      - 2
      - 0
    .max_flat_workgroup_size: 512
    .name:           _ZN2at6native12_GLOBAL__N_125multi_tensor_apply_kernelINS1_18TensorListMetadataILi4EEENS1_32PointwiseOpScalar0dTensorFunctorIaLi4ELi2ELi3EEEJSt10multipliesIaEaEEEvT_T0_DpT1_
    .private_segment_fixed_size: 0
    .sgpr_count:     26
    .sgpr_spill_count: 0
    .symbol:         _ZN2at6native12_GLOBAL__N_125multi_tensor_apply_kernelINS1_18TensorListMetadataILi4EEENS1_32PointwiseOpScalar0dTensorFunctorIaLi4ELi2ELi3EEEJSt10multipliesIaEaEEEvT_T0_DpT1_.kd
    .uniform_work_group_size: 1
    .uses_dynamic_stack: false
    .vgpr_count:     48
    .vgpr_spill_count: 0
    .wavefront_size: 64
  - .args:
      - .offset:         0
        .size:           3048
        .value_kind:     by_value
      - .offset:         3048
        .size:           1
        .value_kind:     by_value
      - .offset:         3049
        .size:           1
        .value_kind:     by_value
      - .offset:         3052
        .size:           4
        .value_kind:     by_value
      - .offset:         3056
        .size:           4
        .value_kind:     hidden_block_count_x
      - .offset:         3060
        .size:           4
        .value_kind:     hidden_block_count_y
      - .offset:         3064
        .size:           4
        .value_kind:     hidden_block_count_z
      - .offset:         3068
        .size:           2
        .value_kind:     hidden_group_size_x
      - .offset:         3070
        .size:           2
        .value_kind:     hidden_group_size_y
      - .offset:         3072
        .size:           2
        .value_kind:     hidden_group_size_z
      - .offset:         3074
        .size:           2
        .value_kind:     hidden_remainder_x
      - .offset:         3076
        .size:           2
        .value_kind:     hidden_remainder_y
      - .offset:         3078
        .size:           2
        .value_kind:     hidden_remainder_z
      - .offset:         3096
        .size:           8
        .value_kind:     hidden_global_offset_x
      - .offset:         3104
        .size:           8
        .value_kind:     hidden_global_offset_y
      - .offset:         3112
        .size:           8
        .value_kind:     hidden_global_offset_z
      - .offset:         3120
        .size:           2
        .value_kind:     hidden_grid_dims
    .group_segment_fixed_size: 0
    .kernarg_segment_align: 8
    .kernarg_segment_size: 3312
    .language:       OpenCL C
    .language_version:
      - 2
      - 0
    .max_flat_workgroup_size: 512
    .name:           _ZN2at6native12_GLOBAL__N_125multi_tensor_apply_kernelINS1_18TensorListMetadataILi4EEENS1_32PointwiseOpScalar0dTensorFunctorIiLi4ELi2ELi3EEEJSt10multipliesIiEiEEEvT_T0_DpT1_
    .private_segment_fixed_size: 0
    .sgpr_count:     33
    .sgpr_spill_count: 0
    .symbol:         _ZN2at6native12_GLOBAL__N_125multi_tensor_apply_kernelINS1_18TensorListMetadataILi4EEENS1_32PointwiseOpScalar0dTensorFunctorIiLi4ELi2ELi3EEEJSt10multipliesIiEiEEEvT_T0_DpT1_.kd
    .uniform_work_group_size: 1
    .uses_dynamic_stack: false
    .vgpr_count:     22
    .vgpr_spill_count: 0
    .wavefront_size: 64
  - .args:
      - .offset:         0
        .size:           3048
        .value_kind:     by_value
      - .offset:         3048
        .size:           1
        .value_kind:     by_value
      - .offset:         3049
        .size:           1
        .value_kind:     by_value
      - .offset:         3056
        .size:           8
        .value_kind:     by_value
      - .offset:         3064
        .size:           4
        .value_kind:     hidden_block_count_x
      - .offset:         3068
        .size:           4
        .value_kind:     hidden_block_count_y
      - .offset:         3072
        .size:           4
        .value_kind:     hidden_block_count_z
      - .offset:         3076
        .size:           2
        .value_kind:     hidden_group_size_x
      - .offset:         3078
        .size:           2
        .value_kind:     hidden_group_size_y
      - .offset:         3080
        .size:           2
        .value_kind:     hidden_group_size_z
      - .offset:         3082
        .size:           2
        .value_kind:     hidden_remainder_x
      - .offset:         3084
        .size:           2
        .value_kind:     hidden_remainder_y
      - .offset:         3086
        .size:           2
        .value_kind:     hidden_remainder_z
      - .offset:         3104
        .size:           8
        .value_kind:     hidden_global_offset_x
      - .offset:         3112
        .size:           8
        .value_kind:     hidden_global_offset_y
      - .offset:         3120
        .size:           8
        .value_kind:     hidden_global_offset_z
      - .offset:         3128
        .size:           2
        .value_kind:     hidden_grid_dims
    .group_segment_fixed_size: 0
    .kernarg_segment_align: 8
    .kernarg_segment_size: 3320
    .language:       OpenCL C
    .language_version:
      - 2
      - 0
    .max_flat_workgroup_size: 512
    .name:           _ZN2at6native12_GLOBAL__N_125multi_tensor_apply_kernelINS1_18TensorListMetadataILi4EEENS1_32PointwiseOpScalar0dTensorFunctorIlLi4ELi2ELi3EEEJSt10multipliesIlElEEEvT_T0_DpT1_
    .private_segment_fixed_size: 0
    .sgpr_count:     36
    .sgpr_spill_count: 0
    .symbol:         _ZN2at6native12_GLOBAL__N_125multi_tensor_apply_kernelINS1_18TensorListMetadataILi4EEENS1_32PointwiseOpScalar0dTensorFunctorIlLi4ELi2ELi3EEEJSt10multipliesIlElEEEvT_T0_DpT1_.kd
    .uniform_work_group_size: 1
    .uses_dynamic_stack: false
    .vgpr_count:     26
    .vgpr_spill_count: 0
    .wavefront_size: 64
  - .args:
      - .offset:         0
        .size:           3048
        .value_kind:     by_value
      - .offset:         3048
        .size:           1
        .value_kind:     by_value
      - .offset:         3049
        .size:           1
        .value_kind:     by_value
      - .offset:         3050
        .size:           2
        .value_kind:     by_value
      - .offset:         3056
        .size:           4
        .value_kind:     hidden_block_count_x
      - .offset:         3060
        .size:           4
        .value_kind:     hidden_block_count_y
      - .offset:         3064
        .size:           4
        .value_kind:     hidden_block_count_z
      - .offset:         3068
        .size:           2
        .value_kind:     hidden_group_size_x
      - .offset:         3070
        .size:           2
        .value_kind:     hidden_group_size_y
      - .offset:         3072
        .size:           2
        .value_kind:     hidden_group_size_z
      - .offset:         3074
        .size:           2
        .value_kind:     hidden_remainder_x
      - .offset:         3076
        .size:           2
        .value_kind:     hidden_remainder_y
      - .offset:         3078
        .size:           2
        .value_kind:     hidden_remainder_z
      - .offset:         3096
        .size:           8
        .value_kind:     hidden_global_offset_x
      - .offset:         3104
        .size:           8
        .value_kind:     hidden_global_offset_y
      - .offset:         3112
        .size:           8
        .value_kind:     hidden_global_offset_z
      - .offset:         3120
        .size:           2
        .value_kind:     hidden_grid_dims
    .group_segment_fixed_size: 0
    .kernarg_segment_align: 8
    .kernarg_segment_size: 3312
    .language:       OpenCL C
    .language_version:
      - 2
      - 0
    .max_flat_workgroup_size: 512
    .name:           _ZN2at6native12_GLOBAL__N_125multi_tensor_apply_kernelINS1_18TensorListMetadataILi4EEENS1_32PointwiseOpScalar0dTensorFunctorIsLi4ELi2ELi3EEEJSt10multipliesIsEsEEEvT_T0_DpT1_
    .private_segment_fixed_size: 0
    .sgpr_count:     32
    .sgpr_spill_count: 0
    .symbol:         _ZN2at6native12_GLOBAL__N_125multi_tensor_apply_kernelINS1_18TensorListMetadataILi4EEENS1_32PointwiseOpScalar0dTensorFunctorIsLi4ELi2ELi3EEEJSt10multipliesIsEsEEEvT_T0_DpT1_.kd
    .uniform_work_group_size: 1
    .uses_dynamic_stack: false
    .vgpr_count:     20
    .vgpr_spill_count: 0
    .wavefront_size: 64
  - .args:
      - .offset:         0
        .size:           3048
        .value_kind:     by_value
      - .offset:         3048
        .size:           1
        .value_kind:     by_value
      - .offset:         3049
        .size:           1
        .value_kind:     by_value
      - .offset:         3056
        .size:           8
        .value_kind:     by_value
      - .offset:         3064
        .size:           4
        .value_kind:     hidden_block_count_x
      - .offset:         3068
        .size:           4
        .value_kind:     hidden_block_count_y
      - .offset:         3072
        .size:           4
        .value_kind:     hidden_block_count_z
      - .offset:         3076
        .size:           2
        .value_kind:     hidden_group_size_x
      - .offset:         3078
        .size:           2
        .value_kind:     hidden_group_size_y
      - .offset:         3080
        .size:           2
        .value_kind:     hidden_group_size_z
      - .offset:         3082
        .size:           2
        .value_kind:     hidden_remainder_x
      - .offset:         3084
        .size:           2
        .value_kind:     hidden_remainder_y
      - .offset:         3086
        .size:           2
        .value_kind:     hidden_remainder_z
      - .offset:         3104
        .size:           8
        .value_kind:     hidden_global_offset_x
      - .offset:         3112
        .size:           8
        .value_kind:     hidden_global_offset_y
      - .offset:         3120
        .size:           8
        .value_kind:     hidden_global_offset_z
      - .offset:         3128
        .size:           2
        .value_kind:     hidden_grid_dims
    .group_segment_fixed_size: 0
    .kernarg_segment_align: 8
    .kernarg_segment_size: 3320
    .language:       OpenCL C
    .language_version:
      - 2
      - 0
    .max_flat_workgroup_size: 512
    .name:           _ZN2at6native12_GLOBAL__N_125multi_tensor_apply_kernelINS1_18TensorListMetadataILi4EEENS1_32PointwiseOpScalar0dTensorFunctorIdLi4ELi2ELi3EEEJSt10multipliesIdEdEEEvT_T0_DpT1_
    .private_segment_fixed_size: 0
    .sgpr_count:     39
    .sgpr_spill_count: 0
    .symbol:         _ZN2at6native12_GLOBAL__N_125multi_tensor_apply_kernelINS1_18TensorListMetadataILi4EEENS1_32PointwiseOpScalar0dTensorFunctorIdLi4ELi2ELi3EEEJSt10multipliesIdEdEEEvT_T0_DpT1_.kd
    .uniform_work_group_size: 1
    .uses_dynamic_stack: false
    .vgpr_count:     29
    .vgpr_spill_count: 0
    .wavefront_size: 64
  - .args:
      - .offset:         0
        .size:           3048
        .value_kind:     by_value
      - .offset:         3048
        .size:           1
        .value_kind:     by_value
      - .offset:         3049
        .size:           1
        .value_kind:     by_value
      - .offset:         3052
        .size:           4
        .value_kind:     by_value
      - .offset:         3056
        .size:           4
        .value_kind:     hidden_block_count_x
      - .offset:         3060
        .size:           4
        .value_kind:     hidden_block_count_y
      - .offset:         3064
        .size:           4
        .value_kind:     hidden_block_count_z
      - .offset:         3068
        .size:           2
        .value_kind:     hidden_group_size_x
      - .offset:         3070
        .size:           2
        .value_kind:     hidden_group_size_y
      - .offset:         3072
        .size:           2
        .value_kind:     hidden_group_size_z
      - .offset:         3074
        .size:           2
        .value_kind:     hidden_remainder_x
      - .offset:         3076
        .size:           2
        .value_kind:     hidden_remainder_y
      - .offset:         3078
        .size:           2
        .value_kind:     hidden_remainder_z
      - .offset:         3096
        .size:           8
        .value_kind:     hidden_global_offset_x
      - .offset:         3104
        .size:           8
        .value_kind:     hidden_global_offset_y
      - .offset:         3112
        .size:           8
        .value_kind:     hidden_global_offset_z
      - .offset:         3120
        .size:           2
        .value_kind:     hidden_grid_dims
    .group_segment_fixed_size: 0
    .kernarg_segment_align: 8
    .kernarg_segment_size: 3312
    .language:       OpenCL C
    .language_version:
      - 2
      - 0
    .max_flat_workgroup_size: 512
    .name:           _ZN2at6native12_GLOBAL__N_125multi_tensor_apply_kernelINS1_18TensorListMetadataILi4EEENS1_32PointwiseOpScalar0dTensorFunctorIfLi4ELi2ELi3EEEJSt10multipliesIfEfEEEvT_T0_DpT1_
    .private_segment_fixed_size: 0
    .sgpr_count:     34
    .sgpr_spill_count: 0
    .symbol:         _ZN2at6native12_GLOBAL__N_125multi_tensor_apply_kernelINS1_18TensorListMetadataILi4EEENS1_32PointwiseOpScalar0dTensorFunctorIfLi4ELi2ELi3EEEJSt10multipliesIfEfEEEvT_T0_DpT1_.kd
    .uniform_work_group_size: 1
    .uses_dynamic_stack: false
    .vgpr_count:     21
    .vgpr_spill_count: 0
    .wavefront_size: 64
  - .args:
      - .offset:         0
        .size:           3048
        .value_kind:     by_value
      - .offset:         3048
        .size:           1
        .value_kind:     by_value
      - .offset:         3049
        .size:           1
        .value_kind:     by_value
      - .offset:         3056
        .size:           16
        .value_kind:     by_value
      - .offset:         3072
        .size:           4
        .value_kind:     hidden_block_count_x
      - .offset:         3076
        .size:           4
        .value_kind:     hidden_block_count_y
      - .offset:         3080
        .size:           4
        .value_kind:     hidden_block_count_z
      - .offset:         3084
        .size:           2
        .value_kind:     hidden_group_size_x
      - .offset:         3086
        .size:           2
        .value_kind:     hidden_group_size_y
      - .offset:         3088
        .size:           2
        .value_kind:     hidden_group_size_z
      - .offset:         3090
        .size:           2
        .value_kind:     hidden_remainder_x
      - .offset:         3092
        .size:           2
        .value_kind:     hidden_remainder_y
      - .offset:         3094
        .size:           2
        .value_kind:     hidden_remainder_z
      - .offset:         3112
        .size:           8
        .value_kind:     hidden_global_offset_x
      - .offset:         3120
        .size:           8
        .value_kind:     hidden_global_offset_y
      - .offset:         3128
        .size:           8
        .value_kind:     hidden_global_offset_z
      - .offset:         3136
        .size:           2
        .value_kind:     hidden_grid_dims
    .group_segment_fixed_size: 0
    .kernarg_segment_align: 16
    .kernarg_segment_size: 3328
    .language:       OpenCL C
    .language_version:
      - 2
      - 0
    .max_flat_workgroup_size: 512
    .name:           _ZN2at6native12_GLOBAL__N_125multi_tensor_apply_kernelINS1_18TensorListMetadataILi4EEENS1_32PointwiseOpScalar0dTensorFunctorIN3c107complexIdEELi4ELi2ELi3EEEJSt10multipliesIS8_ES8_EEEvT_T0_DpT1_
    .private_segment_fixed_size: 0
    .sgpr_count:     43
    .sgpr_spill_count: 0
    .symbol:         _ZN2at6native12_GLOBAL__N_125multi_tensor_apply_kernelINS1_18TensorListMetadataILi4EEENS1_32PointwiseOpScalar0dTensorFunctorIN3c107complexIdEELi4ELi2ELi3EEEJSt10multipliesIS8_ES8_EEEvT_T0_DpT1_.kd
    .uniform_work_group_size: 1
    .uses_dynamic_stack: false
    .vgpr_count:     46
    .vgpr_spill_count: 0
    .wavefront_size: 64
  - .args:
      - .offset:         0
        .size:           3048
        .value_kind:     by_value
      - .offset:         3048
        .size:           1
        .value_kind:     by_value
      - .offset:         3049
        .size:           1
        .value_kind:     by_value
      - .offset:         3056
        .size:           8
        .value_kind:     by_value
      - .offset:         3064
        .size:           4
        .value_kind:     hidden_block_count_x
      - .offset:         3068
        .size:           4
        .value_kind:     hidden_block_count_y
      - .offset:         3072
        .size:           4
        .value_kind:     hidden_block_count_z
      - .offset:         3076
        .size:           2
        .value_kind:     hidden_group_size_x
      - .offset:         3078
        .size:           2
        .value_kind:     hidden_group_size_y
      - .offset:         3080
        .size:           2
        .value_kind:     hidden_group_size_z
      - .offset:         3082
        .size:           2
        .value_kind:     hidden_remainder_x
      - .offset:         3084
        .size:           2
        .value_kind:     hidden_remainder_y
      - .offset:         3086
        .size:           2
        .value_kind:     hidden_remainder_z
      - .offset:         3104
        .size:           8
        .value_kind:     hidden_global_offset_x
      - .offset:         3112
        .size:           8
        .value_kind:     hidden_global_offset_y
      - .offset:         3120
        .size:           8
        .value_kind:     hidden_global_offset_z
      - .offset:         3128
        .size:           2
        .value_kind:     hidden_grid_dims
    .group_segment_fixed_size: 0
    .kernarg_segment_align: 8
    .kernarg_segment_size: 3320
    .language:       OpenCL C
    .language_version:
      - 2
      - 0
    .max_flat_workgroup_size: 512
    .name:           _ZN2at6native12_GLOBAL__N_125multi_tensor_apply_kernelINS1_18TensorListMetadataILi4EEENS1_32PointwiseOpScalar0dTensorFunctorIN3c107complexIfEELi4ELi2ELi3EEEJSt10multipliesIS8_ES8_EEEvT_T0_DpT1_
    .private_segment_fixed_size: 0
    .sgpr_count:     36
    .sgpr_spill_count: 0
    .symbol:         _ZN2at6native12_GLOBAL__N_125multi_tensor_apply_kernelINS1_18TensorListMetadataILi4EEENS1_32PointwiseOpScalar0dTensorFunctorIN3c107complexIfEELi4ELi2ELi3EEEJSt10multipliesIS8_ES8_EEEvT_T0_DpT1_.kd
    .uniform_work_group_size: 1
    .uses_dynamic_stack: false
    .vgpr_count:     26
    .vgpr_spill_count: 0
    .wavefront_size: 64
  - .args:
      - .offset:         0
        .size:           3048
        .value_kind:     by_value
      - .offset:         3048
        .size:           1
        .value_kind:     by_value
      - .offset:         3049
        .size:           1
        .value_kind:     by_value
      - .offset:         3052
        .size:           4
        .value_kind:     by_value
      - .offset:         3056
        .size:           4
        .value_kind:     hidden_block_count_x
      - .offset:         3060
        .size:           4
        .value_kind:     hidden_block_count_y
      - .offset:         3064
        .size:           4
        .value_kind:     hidden_block_count_z
      - .offset:         3068
        .size:           2
        .value_kind:     hidden_group_size_x
      - .offset:         3070
        .size:           2
        .value_kind:     hidden_group_size_y
      - .offset:         3072
        .size:           2
        .value_kind:     hidden_group_size_z
      - .offset:         3074
        .size:           2
        .value_kind:     hidden_remainder_x
      - .offset:         3076
        .size:           2
        .value_kind:     hidden_remainder_y
      - .offset:         3078
        .size:           2
        .value_kind:     hidden_remainder_z
      - .offset:         3096
        .size:           8
        .value_kind:     hidden_global_offset_x
      - .offset:         3104
        .size:           8
        .value_kind:     hidden_global_offset_y
      - .offset:         3112
        .size:           8
        .value_kind:     hidden_global_offset_z
      - .offset:         3120
        .size:           2
        .value_kind:     hidden_grid_dims
    .group_segment_fixed_size: 0
    .kernarg_segment_align: 8
    .kernarg_segment_size: 3312
    .language:       OpenCL C
    .language_version:
      - 2
      - 0
    .max_flat_workgroup_size: 512
    .name:           _ZN2at6native12_GLOBAL__N_125multi_tensor_apply_kernelINS1_18TensorListMetadataILi4EEENS1_32PointwiseOpScalar0dTensorFunctorIN3c104HalfELi4ELi2ELi3EEEJSt10multipliesIfEfEEEvT_T0_DpT1_
    .private_segment_fixed_size: 0
    .sgpr_count:     33
    .sgpr_spill_count: 0
    .symbol:         _ZN2at6native12_GLOBAL__N_125multi_tensor_apply_kernelINS1_18TensorListMetadataILi4EEENS1_32PointwiseOpScalar0dTensorFunctorIN3c104HalfELi4ELi2ELi3EEEJSt10multipliesIfEfEEEvT_T0_DpT1_.kd
    .uniform_work_group_size: 1
    .uses_dynamic_stack: false
    .vgpr_count:     22
    .vgpr_spill_count: 0
    .wavefront_size: 64
  - .args:
      - .offset:         0
        .size:           3048
        .value_kind:     by_value
      - .offset:         3048
        .size:           1
        .value_kind:     by_value
      - .offset:         3049
        .size:           1
        .value_kind:     by_value
      - .offset:         3052
        .size:           4
        .value_kind:     by_value
      - .offset:         3056
        .size:           4
        .value_kind:     hidden_block_count_x
      - .offset:         3060
        .size:           4
        .value_kind:     hidden_block_count_y
      - .offset:         3064
        .size:           4
        .value_kind:     hidden_block_count_z
      - .offset:         3068
        .size:           2
        .value_kind:     hidden_group_size_x
      - .offset:         3070
        .size:           2
        .value_kind:     hidden_group_size_y
      - .offset:         3072
        .size:           2
        .value_kind:     hidden_group_size_z
      - .offset:         3074
        .size:           2
        .value_kind:     hidden_remainder_x
      - .offset:         3076
        .size:           2
        .value_kind:     hidden_remainder_y
      - .offset:         3078
        .size:           2
        .value_kind:     hidden_remainder_z
      - .offset:         3096
        .size:           8
        .value_kind:     hidden_global_offset_x
      - .offset:         3104
        .size:           8
        .value_kind:     hidden_global_offset_y
      - .offset:         3112
        .size:           8
        .value_kind:     hidden_global_offset_z
      - .offset:         3120
        .size:           2
        .value_kind:     hidden_grid_dims
    .group_segment_fixed_size: 0
    .kernarg_segment_align: 8
    .kernarg_segment_size: 3312
    .language:       OpenCL C
    .language_version:
      - 2
      - 0
    .max_flat_workgroup_size: 512
    .name:           _ZN2at6native12_GLOBAL__N_125multi_tensor_apply_kernelINS1_18TensorListMetadataILi4EEENS1_32PointwiseOpScalar0dTensorFunctorIN3c108BFloat16ELi4ELi2ELi3EEEJSt10multipliesIfEfEEEvT_T0_DpT1_
    .private_segment_fixed_size: 0
    .sgpr_count:     35
    .sgpr_spill_count: 0
    .symbol:         _ZN2at6native12_GLOBAL__N_125multi_tensor_apply_kernelINS1_18TensorListMetadataILi4EEENS1_32PointwiseOpScalar0dTensorFunctorIN3c108BFloat16ELi4ELi2ELi3EEEJSt10multipliesIfEfEEEvT_T0_DpT1_.kd
    .uniform_work_group_size: 1
    .uses_dynamic_stack: false
    .vgpr_count:     22
    .vgpr_spill_count: 0
    .wavefront_size: 64
  - .args:
      - .offset:         0
        .size:           3144
        .value_kind:     by_value
      - .offset:         3144
        .size:           1
        .value_kind:     by_value
      - .offset:         3145
        .size:           1
        .value_kind:     by_value
      - .offset:         3146
        .size:           1
        .value_kind:     by_value
      - .offset:         3152
        .size:           4
        .value_kind:     hidden_block_count_x
      - .offset:         3156
        .size:           4
        .value_kind:     hidden_block_count_y
      - .offset:         3160
        .size:           4
        .value_kind:     hidden_block_count_z
      - .offset:         3164
        .size:           2
        .value_kind:     hidden_group_size_x
      - .offset:         3166
        .size:           2
        .value_kind:     hidden_group_size_y
      - .offset:         3168
        .size:           2
        .value_kind:     hidden_group_size_z
      - .offset:         3170
        .size:           2
        .value_kind:     hidden_remainder_x
      - .offset:         3172
        .size:           2
        .value_kind:     hidden_remainder_y
      - .offset:         3174
        .size:           2
        .value_kind:     hidden_remainder_z
      - .offset:         3192
        .size:           8
        .value_kind:     hidden_global_offset_x
      - .offset:         3200
        .size:           8
        .value_kind:     hidden_global_offset_y
      - .offset:         3208
        .size:           8
        .value_kind:     hidden_global_offset_z
      - .offset:         3216
        .size:           2
        .value_kind:     hidden_grid_dims
    .group_segment_fixed_size: 0
    .kernarg_segment_align: 8
    .kernarg_segment_size: 3408
    .language:       OpenCL C
    .language_version:
      - 2
      - 0
    .max_flat_workgroup_size: 512
    .name:           _ZN2at6native12_GLOBAL__N_125multi_tensor_apply_kernelINS1_18TensorListMetadataILi3EEENS1_24PointwiseOpScalarFunctorIhLi3ELi3ELi0EEEJSt10multipliesIhEhEEEvT_T0_DpT1_
    .private_segment_fixed_size: 0
    .sgpr_count:     35
    .sgpr_spill_count: 0
    .symbol:         _ZN2at6native12_GLOBAL__N_125multi_tensor_apply_kernelINS1_18TensorListMetadataILi3EEENS1_24PointwiseOpScalarFunctorIhLi3ELi3ELi0EEEJSt10multipliesIhEhEEEvT_T0_DpT1_.kd
    .uniform_work_group_size: 1
    .uses_dynamic_stack: false
    .vgpr_count:     46
    .vgpr_spill_count: 0
    .wavefront_size: 64
  - .args:
      - .offset:         0
        .size:           3144
        .value_kind:     by_value
      - .offset:         3144
        .size:           1
        .value_kind:     by_value
      - .offset:         3145
        .size:           1
        .value_kind:     by_value
      - .offset:         3146
        .size:           1
        .value_kind:     by_value
      - .offset:         3152
        .size:           4
        .value_kind:     hidden_block_count_x
      - .offset:         3156
        .size:           4
        .value_kind:     hidden_block_count_y
      - .offset:         3160
        .size:           4
        .value_kind:     hidden_block_count_z
      - .offset:         3164
        .size:           2
        .value_kind:     hidden_group_size_x
      - .offset:         3166
        .size:           2
        .value_kind:     hidden_group_size_y
      - .offset:         3168
        .size:           2
        .value_kind:     hidden_group_size_z
      - .offset:         3170
        .size:           2
        .value_kind:     hidden_remainder_x
      - .offset:         3172
        .size:           2
        .value_kind:     hidden_remainder_y
      - .offset:         3174
        .size:           2
        .value_kind:     hidden_remainder_z
      - .offset:         3192
        .size:           8
        .value_kind:     hidden_global_offset_x
      - .offset:         3200
        .size:           8
        .value_kind:     hidden_global_offset_y
      - .offset:         3208
        .size:           8
        .value_kind:     hidden_global_offset_z
      - .offset:         3216
        .size:           2
        .value_kind:     hidden_grid_dims
    .group_segment_fixed_size: 0
    .kernarg_segment_align: 8
    .kernarg_segment_size: 3408
    .language:       OpenCL C
    .language_version:
      - 2
      - 0
    .max_flat_workgroup_size: 512
    .name:           _ZN2at6native12_GLOBAL__N_125multi_tensor_apply_kernelINS1_18TensorListMetadataILi3EEENS1_24PointwiseOpScalarFunctorIaLi3ELi3ELi0EEEJSt10multipliesIaEaEEEvT_T0_DpT1_
    .private_segment_fixed_size: 0
    .sgpr_count:     35
    .sgpr_spill_count: 0
    .symbol:         _ZN2at6native12_GLOBAL__N_125multi_tensor_apply_kernelINS1_18TensorListMetadataILi3EEENS1_24PointwiseOpScalarFunctorIaLi3ELi3ELi0EEEJSt10multipliesIaEaEEEvT_T0_DpT1_.kd
    .uniform_work_group_size: 1
    .uses_dynamic_stack: false
    .vgpr_count:     46
    .vgpr_spill_count: 0
    .wavefront_size: 64
  - .args:
      - .offset:         0
        .size:           3144
        .value_kind:     by_value
      - .offset:         3144
        .size:           1
        .value_kind:     by_value
      - .offset:         3145
        .size:           1
        .value_kind:     by_value
      - .offset:         3148
        .size:           4
        .value_kind:     by_value
      - .offset:         3152
        .size:           4
        .value_kind:     hidden_block_count_x
      - .offset:         3156
        .size:           4
        .value_kind:     hidden_block_count_y
      - .offset:         3160
        .size:           4
        .value_kind:     hidden_block_count_z
      - .offset:         3164
        .size:           2
        .value_kind:     hidden_group_size_x
      - .offset:         3166
        .size:           2
        .value_kind:     hidden_group_size_y
      - .offset:         3168
        .size:           2
        .value_kind:     hidden_group_size_z
      - .offset:         3170
        .size:           2
        .value_kind:     hidden_remainder_x
      - .offset:         3172
        .size:           2
        .value_kind:     hidden_remainder_y
      - .offset:         3174
        .size:           2
        .value_kind:     hidden_remainder_z
      - .offset:         3192
        .size:           8
        .value_kind:     hidden_global_offset_x
      - .offset:         3200
        .size:           8
        .value_kind:     hidden_global_offset_y
      - .offset:         3208
        .size:           8
        .value_kind:     hidden_global_offset_z
      - .offset:         3216
        .size:           2
        .value_kind:     hidden_grid_dims
    .group_segment_fixed_size: 0
    .kernarg_segment_align: 8
    .kernarg_segment_size: 3408
    .language:       OpenCL C
    .language_version:
      - 2
      - 0
    .max_flat_workgroup_size: 512
    .name:           _ZN2at6native12_GLOBAL__N_125multi_tensor_apply_kernelINS1_18TensorListMetadataILi3EEENS1_24PointwiseOpScalarFunctorIiLi3ELi3ELi0EEEJSt10multipliesIiEiEEEvT_T0_DpT1_
    .private_segment_fixed_size: 0
    .sgpr_count:     35
    .sgpr_spill_count: 0
    .symbol:         _ZN2at6native12_GLOBAL__N_125multi_tensor_apply_kernelINS1_18TensorListMetadataILi3EEENS1_24PointwiseOpScalarFunctorIiLi3ELi3ELi0EEEJSt10multipliesIiEiEEEvT_T0_DpT1_.kd
    .uniform_work_group_size: 1
    .uses_dynamic_stack: false
    .vgpr_count:     46
    .vgpr_spill_count: 0
    .wavefront_size: 64
  - .args:
      - .offset:         0
        .size:           3144
        .value_kind:     by_value
      - .offset:         3144
        .size:           1
        .value_kind:     by_value
      - .offset:         3145
        .size:           1
        .value_kind:     by_value
      - .offset:         3152
        .size:           8
        .value_kind:     by_value
      - .offset:         3160
        .size:           4
        .value_kind:     hidden_block_count_x
      - .offset:         3164
        .size:           4
        .value_kind:     hidden_block_count_y
      - .offset:         3168
        .size:           4
        .value_kind:     hidden_block_count_z
      - .offset:         3172
        .size:           2
        .value_kind:     hidden_group_size_x
      - .offset:         3174
        .size:           2
        .value_kind:     hidden_group_size_y
      - .offset:         3176
        .size:           2
        .value_kind:     hidden_group_size_z
      - .offset:         3178
        .size:           2
        .value_kind:     hidden_remainder_x
      - .offset:         3180
        .size:           2
        .value_kind:     hidden_remainder_y
      - .offset:         3182
        .size:           2
        .value_kind:     hidden_remainder_z
      - .offset:         3200
        .size:           8
        .value_kind:     hidden_global_offset_x
      - .offset:         3208
        .size:           8
        .value_kind:     hidden_global_offset_y
      - .offset:         3216
        .size:           8
        .value_kind:     hidden_global_offset_z
      - .offset:         3224
        .size:           2
        .value_kind:     hidden_grid_dims
    .group_segment_fixed_size: 0
    .kernarg_segment_align: 8
    .kernarg_segment_size: 3416
    .language:       OpenCL C
    .language_version:
      - 2
      - 0
    .max_flat_workgroup_size: 512
    .name:           _ZN2at6native12_GLOBAL__N_125multi_tensor_apply_kernelINS1_18TensorListMetadataILi3EEENS1_24PointwiseOpScalarFunctorIlLi3ELi3ELi0EEEJSt10multipliesIlElEEEvT_T0_DpT1_
    .private_segment_fixed_size: 0
    .sgpr_count:     36
    .sgpr_spill_count: 0
    .symbol:         _ZN2at6native12_GLOBAL__N_125multi_tensor_apply_kernelINS1_18TensorListMetadataILi3EEENS1_24PointwiseOpScalarFunctorIlLi3ELi3ELi0EEEJSt10multipliesIlElEEEvT_T0_DpT1_.kd
    .uniform_work_group_size: 1
    .uses_dynamic_stack: false
    .vgpr_count:     59
    .vgpr_spill_count: 0
    .wavefront_size: 64
  - .args:
      - .offset:         0
        .size:           3144
        .value_kind:     by_value
      - .offset:         3144
        .size:           1
        .value_kind:     by_value
      - .offset:         3145
        .size:           1
        .value_kind:     by_value
      - .offset:         3146
        .size:           2
        .value_kind:     by_value
      - .offset:         3152
        .size:           4
        .value_kind:     hidden_block_count_x
      - .offset:         3156
        .size:           4
        .value_kind:     hidden_block_count_y
      - .offset:         3160
        .size:           4
        .value_kind:     hidden_block_count_z
      - .offset:         3164
        .size:           2
        .value_kind:     hidden_group_size_x
      - .offset:         3166
        .size:           2
        .value_kind:     hidden_group_size_y
      - .offset:         3168
        .size:           2
        .value_kind:     hidden_group_size_z
      - .offset:         3170
        .size:           2
        .value_kind:     hidden_remainder_x
      - .offset:         3172
        .size:           2
        .value_kind:     hidden_remainder_y
      - .offset:         3174
        .size:           2
        .value_kind:     hidden_remainder_z
      - .offset:         3192
        .size:           8
        .value_kind:     hidden_global_offset_x
      - .offset:         3200
        .size:           8
        .value_kind:     hidden_global_offset_y
      - .offset:         3208
        .size:           8
        .value_kind:     hidden_global_offset_z
      - .offset:         3216
        .size:           2
        .value_kind:     hidden_grid_dims
    .group_segment_fixed_size: 0
    .kernarg_segment_align: 8
    .kernarg_segment_size: 3408
    .language:       OpenCL C
    .language_version:
      - 2
      - 0
    .max_flat_workgroup_size: 512
    .name:           _ZN2at6native12_GLOBAL__N_125multi_tensor_apply_kernelINS1_18TensorListMetadataILi3EEENS1_24PointwiseOpScalarFunctorIsLi3ELi3ELi0EEEJSt10multipliesIsEsEEEvT_T0_DpT1_
    .private_segment_fixed_size: 0
    .sgpr_count:     35
    .sgpr_spill_count: 0
    .symbol:         _ZN2at6native12_GLOBAL__N_125multi_tensor_apply_kernelINS1_18TensorListMetadataILi3EEENS1_24PointwiseOpScalarFunctorIsLi3ELi3ELi0EEEJSt10multipliesIsEsEEEvT_T0_DpT1_.kd
    .uniform_work_group_size: 1
    .uses_dynamic_stack: false
    .vgpr_count:     46
    .vgpr_spill_count: 0
    .wavefront_size: 64
  - .args:
      - .offset:         0
        .size:           3144
        .value_kind:     by_value
      - .offset:         3144
        .size:           1
        .value_kind:     by_value
      - .offset:         3145
        .size:           1
        .value_kind:     by_value
      - .offset:         3152
        .size:           8
        .value_kind:     by_value
      - .offset:         3160
        .size:           4
        .value_kind:     hidden_block_count_x
      - .offset:         3164
        .size:           4
        .value_kind:     hidden_block_count_y
      - .offset:         3168
        .size:           4
        .value_kind:     hidden_block_count_z
      - .offset:         3172
        .size:           2
        .value_kind:     hidden_group_size_x
      - .offset:         3174
        .size:           2
        .value_kind:     hidden_group_size_y
      - .offset:         3176
        .size:           2
        .value_kind:     hidden_group_size_z
      - .offset:         3178
        .size:           2
        .value_kind:     hidden_remainder_x
      - .offset:         3180
        .size:           2
        .value_kind:     hidden_remainder_y
      - .offset:         3182
        .size:           2
        .value_kind:     hidden_remainder_z
      - .offset:         3200
        .size:           8
        .value_kind:     hidden_global_offset_x
      - .offset:         3208
        .size:           8
        .value_kind:     hidden_global_offset_y
      - .offset:         3216
        .size:           8
        .value_kind:     hidden_global_offset_z
      - .offset:         3224
        .size:           2
        .value_kind:     hidden_grid_dims
    .group_segment_fixed_size: 0
    .kernarg_segment_align: 8
    .kernarg_segment_size: 3416
    .language:       OpenCL C
    .language_version:
      - 2
      - 0
    .max_flat_workgroup_size: 512
    .name:           _ZN2at6native12_GLOBAL__N_125multi_tensor_apply_kernelINS1_18TensorListMetadataILi3EEENS1_24PointwiseOpScalarFunctorIdLi3ELi3ELi0EEEJSt10multipliesIdEdEEEvT_T0_DpT1_
    .private_segment_fixed_size: 0
    .sgpr_count:     41
    .sgpr_spill_count: 0
    .symbol:         _ZN2at6native12_GLOBAL__N_125multi_tensor_apply_kernelINS1_18TensorListMetadataILi3EEENS1_24PointwiseOpScalarFunctorIdLi3ELi3ELi0EEEJSt10multipliesIdEdEEEvT_T0_DpT1_.kd
    .uniform_work_group_size: 1
    .uses_dynamic_stack: false
    .vgpr_count:     59
    .vgpr_spill_count: 0
    .wavefront_size: 64
  - .args:
      - .offset:         0
        .size:           3144
        .value_kind:     by_value
      - .offset:         3144
        .size:           1
        .value_kind:     by_value
      - .offset:         3145
        .size:           1
        .value_kind:     by_value
      - .offset:         3148
        .size:           4
        .value_kind:     by_value
      - .offset:         3152
        .size:           4
        .value_kind:     hidden_block_count_x
      - .offset:         3156
        .size:           4
        .value_kind:     hidden_block_count_y
      - .offset:         3160
        .size:           4
        .value_kind:     hidden_block_count_z
      - .offset:         3164
        .size:           2
        .value_kind:     hidden_group_size_x
      - .offset:         3166
        .size:           2
        .value_kind:     hidden_group_size_y
      - .offset:         3168
        .size:           2
        .value_kind:     hidden_group_size_z
      - .offset:         3170
        .size:           2
        .value_kind:     hidden_remainder_x
      - .offset:         3172
        .size:           2
        .value_kind:     hidden_remainder_y
      - .offset:         3174
        .size:           2
        .value_kind:     hidden_remainder_z
      - .offset:         3192
        .size:           8
        .value_kind:     hidden_global_offset_x
      - .offset:         3200
        .size:           8
        .value_kind:     hidden_global_offset_y
      - .offset:         3208
        .size:           8
        .value_kind:     hidden_global_offset_z
      - .offset:         3216
        .size:           2
        .value_kind:     hidden_grid_dims
    .group_segment_fixed_size: 0
    .kernarg_segment_align: 8
    .kernarg_segment_size: 3408
    .language:       OpenCL C
    .language_version:
      - 2
      - 0
    .max_flat_workgroup_size: 512
    .name:           _ZN2at6native12_GLOBAL__N_125multi_tensor_apply_kernelINS1_18TensorListMetadataILi3EEENS1_24PointwiseOpScalarFunctorIfLi3ELi3ELi0EEEJSt10multipliesIfEfEEEvT_T0_DpT1_
    .private_segment_fixed_size: 0
    .sgpr_count:     38
    .sgpr_spill_count: 0
    .symbol:         _ZN2at6native12_GLOBAL__N_125multi_tensor_apply_kernelINS1_18TensorListMetadataILi3EEENS1_24PointwiseOpScalarFunctorIfLi3ELi3ELi0EEEJSt10multipliesIfEfEEEvT_T0_DpT1_.kd
    .uniform_work_group_size: 1
    .uses_dynamic_stack: false
    .vgpr_count:     46
    .vgpr_spill_count: 0
    .wavefront_size: 64
  - .args:
      - .offset:         0
        .size:           3144
        .value_kind:     by_value
      - .offset:         3144
        .size:           1
        .value_kind:     by_value
      - .offset:         3145
        .size:           1
        .value_kind:     by_value
      - .offset:         3152
        .size:           16
        .value_kind:     by_value
      - .offset:         3168
        .size:           4
        .value_kind:     hidden_block_count_x
      - .offset:         3172
        .size:           4
        .value_kind:     hidden_block_count_y
      - .offset:         3176
        .size:           4
        .value_kind:     hidden_block_count_z
      - .offset:         3180
        .size:           2
        .value_kind:     hidden_group_size_x
      - .offset:         3182
        .size:           2
        .value_kind:     hidden_group_size_y
      - .offset:         3184
        .size:           2
        .value_kind:     hidden_group_size_z
      - .offset:         3186
        .size:           2
        .value_kind:     hidden_remainder_x
      - .offset:         3188
        .size:           2
        .value_kind:     hidden_remainder_y
      - .offset:         3190
        .size:           2
        .value_kind:     hidden_remainder_z
      - .offset:         3208
        .size:           8
        .value_kind:     hidden_global_offset_x
      - .offset:         3216
        .size:           8
        .value_kind:     hidden_global_offset_y
      - .offset:         3224
        .size:           8
        .value_kind:     hidden_global_offset_z
      - .offset:         3232
        .size:           2
        .value_kind:     hidden_grid_dims
    .group_segment_fixed_size: 0
    .kernarg_segment_align: 16
    .kernarg_segment_size: 3424
    .language:       OpenCL C
    .language_version:
      - 2
      - 0
    .max_flat_workgroup_size: 512
    .name:           _ZN2at6native12_GLOBAL__N_125multi_tensor_apply_kernelINS1_18TensorListMetadataILi3EEENS1_24PointwiseOpScalarFunctorIN3c107complexIdEELi3ELi3ELi0EEEJSt10multipliesIS8_ES8_EEEvT_T0_DpT1_
    .private_segment_fixed_size: 0
    .sgpr_count:     41
    .sgpr_spill_count: 0
    .symbol:         _ZN2at6native12_GLOBAL__N_125multi_tensor_apply_kernelINS1_18TensorListMetadataILi3EEENS1_24PointwiseOpScalarFunctorIN3c107complexIdEELi3ELi3ELi0EEEJSt10multipliesIS8_ES8_EEEvT_T0_DpT1_.kd
    .uniform_work_group_size: 1
    .uses_dynamic_stack: false
    .vgpr_count:     59
    .vgpr_spill_count: 0
    .wavefront_size: 64
  - .args:
      - .offset:         0
        .size:           3144
        .value_kind:     by_value
      - .offset:         3144
        .size:           1
        .value_kind:     by_value
      - .offset:         3145
        .size:           1
        .value_kind:     by_value
      - .offset:         3152
        .size:           8
        .value_kind:     by_value
      - .offset:         3160
        .size:           4
        .value_kind:     hidden_block_count_x
      - .offset:         3164
        .size:           4
        .value_kind:     hidden_block_count_y
      - .offset:         3168
        .size:           4
        .value_kind:     hidden_block_count_z
      - .offset:         3172
        .size:           2
        .value_kind:     hidden_group_size_x
      - .offset:         3174
        .size:           2
        .value_kind:     hidden_group_size_y
      - .offset:         3176
        .size:           2
        .value_kind:     hidden_group_size_z
      - .offset:         3178
        .size:           2
        .value_kind:     hidden_remainder_x
      - .offset:         3180
        .size:           2
        .value_kind:     hidden_remainder_y
      - .offset:         3182
        .size:           2
        .value_kind:     hidden_remainder_z
      - .offset:         3200
        .size:           8
        .value_kind:     hidden_global_offset_x
      - .offset:         3208
        .size:           8
        .value_kind:     hidden_global_offset_y
      - .offset:         3216
        .size:           8
        .value_kind:     hidden_global_offset_z
      - .offset:         3224
        .size:           2
        .value_kind:     hidden_grid_dims
    .group_segment_fixed_size: 0
    .kernarg_segment_align: 8
    .kernarg_segment_size: 3416
    .language:       OpenCL C
    .language_version:
      - 2
      - 0
    .max_flat_workgroup_size: 512
    .name:           _ZN2at6native12_GLOBAL__N_125multi_tensor_apply_kernelINS1_18TensorListMetadataILi3EEENS1_24PointwiseOpScalarFunctorIN3c107complexIfEELi3ELi3ELi0EEEJSt10multipliesIS8_ES8_EEEvT_T0_DpT1_
    .private_segment_fixed_size: 0
    .sgpr_count:     39
    .sgpr_spill_count: 0
    .symbol:         _ZN2at6native12_GLOBAL__N_125multi_tensor_apply_kernelINS1_18TensorListMetadataILi3EEENS1_24PointwiseOpScalarFunctorIN3c107complexIfEELi3ELi3ELi0EEEJSt10multipliesIS8_ES8_EEEvT_T0_DpT1_.kd
    .uniform_work_group_size: 1
    .uses_dynamic_stack: false
    .vgpr_count:     56
    .vgpr_spill_count: 0
    .wavefront_size: 64
  - .args:
      - .offset:         0
        .size:           3144
        .value_kind:     by_value
      - .offset:         3144
        .size:           1
        .value_kind:     by_value
      - .offset:         3145
        .size:           1
        .value_kind:     by_value
      - .offset:         3148
        .size:           4
        .value_kind:     by_value
      - .offset:         3152
        .size:           4
        .value_kind:     hidden_block_count_x
      - .offset:         3156
        .size:           4
        .value_kind:     hidden_block_count_y
      - .offset:         3160
        .size:           4
        .value_kind:     hidden_block_count_z
      - .offset:         3164
        .size:           2
        .value_kind:     hidden_group_size_x
      - .offset:         3166
        .size:           2
        .value_kind:     hidden_group_size_y
      - .offset:         3168
        .size:           2
        .value_kind:     hidden_group_size_z
      - .offset:         3170
        .size:           2
        .value_kind:     hidden_remainder_x
      - .offset:         3172
        .size:           2
        .value_kind:     hidden_remainder_y
      - .offset:         3174
        .size:           2
        .value_kind:     hidden_remainder_z
      - .offset:         3192
        .size:           8
        .value_kind:     hidden_global_offset_x
      - .offset:         3200
        .size:           8
        .value_kind:     hidden_global_offset_y
      - .offset:         3208
        .size:           8
        .value_kind:     hidden_global_offset_z
      - .offset:         3216
        .size:           2
        .value_kind:     hidden_grid_dims
    .group_segment_fixed_size: 0
    .kernarg_segment_align: 8
    .kernarg_segment_size: 3408
    .language:       OpenCL C
    .language_version:
      - 2
      - 0
    .max_flat_workgroup_size: 512
    .name:           _ZN2at6native12_GLOBAL__N_125multi_tensor_apply_kernelINS1_18TensorListMetadataILi3EEENS1_24PointwiseOpScalarFunctorIN3c104HalfELi3ELi3ELi0EEEJSt10multipliesIfEfEEEvT_T0_DpT1_
    .private_segment_fixed_size: 0
    .sgpr_count:     38
    .sgpr_spill_count: 0
    .symbol:         _ZN2at6native12_GLOBAL__N_125multi_tensor_apply_kernelINS1_18TensorListMetadataILi3EEENS1_24PointwiseOpScalarFunctorIN3c104HalfELi3ELi3ELi0EEEJSt10multipliesIfEfEEEvT_T0_DpT1_.kd
    .uniform_work_group_size: 1
    .uses_dynamic_stack: false
    .vgpr_count:     46
    .vgpr_spill_count: 0
    .wavefront_size: 64
  - .args:
      - .offset:         0
        .size:           3144
        .value_kind:     by_value
      - .offset:         3144
        .size:           1
        .value_kind:     by_value
      - .offset:         3145
        .size:           1
        .value_kind:     by_value
      - .offset:         3148
        .size:           4
        .value_kind:     by_value
      - .offset:         3152
        .size:           4
        .value_kind:     hidden_block_count_x
      - .offset:         3156
        .size:           4
        .value_kind:     hidden_block_count_y
      - .offset:         3160
        .size:           4
        .value_kind:     hidden_block_count_z
      - .offset:         3164
        .size:           2
        .value_kind:     hidden_group_size_x
      - .offset:         3166
        .size:           2
        .value_kind:     hidden_group_size_y
      - .offset:         3168
        .size:           2
        .value_kind:     hidden_group_size_z
      - .offset:         3170
        .size:           2
        .value_kind:     hidden_remainder_x
      - .offset:         3172
        .size:           2
        .value_kind:     hidden_remainder_y
      - .offset:         3174
        .size:           2
        .value_kind:     hidden_remainder_z
      - .offset:         3192
        .size:           8
        .value_kind:     hidden_global_offset_x
      - .offset:         3200
        .size:           8
        .value_kind:     hidden_global_offset_y
      - .offset:         3208
        .size:           8
        .value_kind:     hidden_global_offset_z
      - .offset:         3216
        .size:           2
        .value_kind:     hidden_grid_dims
    .group_segment_fixed_size: 0
    .kernarg_segment_align: 8
    .kernarg_segment_size: 3408
    .language:       OpenCL C
    .language_version:
      - 2
      - 0
    .max_flat_workgroup_size: 512
    .name:           _ZN2at6native12_GLOBAL__N_125multi_tensor_apply_kernelINS1_18TensorListMetadataILi3EEENS1_24PointwiseOpScalarFunctorIN3c108BFloat16ELi3ELi3ELi0EEEJSt10multipliesIfEfEEEvT_T0_DpT1_
    .private_segment_fixed_size: 0
    .sgpr_count:     39
    .sgpr_spill_count: 0
    .symbol:         _ZN2at6native12_GLOBAL__N_125multi_tensor_apply_kernelINS1_18TensorListMetadataILi3EEENS1_24PointwiseOpScalarFunctorIN3c108BFloat16ELi3ELi3ELi0EEEJSt10multipliesIfEfEEEvT_T0_DpT1_.kd
    .uniform_work_group_size: 1
    .uses_dynamic_stack: false
    .vgpr_count:     47
    .vgpr_spill_count: 0
    .wavefront_size: 64
  - .args:
      - .offset:         0
        .size:           3144
        .value_kind:     by_value
      - .offset:         3144
        .size:           1
        .value_kind:     by_value
      - .offset:         3145
        .size:           1
        .value_kind:     by_value
      - .offset:         3146
        .size:           1
        .value_kind:     by_value
      - .offset:         3152
        .size:           4
        .value_kind:     hidden_block_count_x
      - .offset:         3156
        .size:           4
        .value_kind:     hidden_block_count_y
      - .offset:         3160
        .size:           4
        .value_kind:     hidden_block_count_z
      - .offset:         3164
        .size:           2
        .value_kind:     hidden_group_size_x
      - .offset:         3166
        .size:           2
        .value_kind:     hidden_group_size_y
      - .offset:         3168
        .size:           2
        .value_kind:     hidden_group_size_z
      - .offset:         3170
        .size:           2
        .value_kind:     hidden_remainder_x
      - .offset:         3172
        .size:           2
        .value_kind:     hidden_remainder_y
      - .offset:         3174
        .size:           2
        .value_kind:     hidden_remainder_z
      - .offset:         3192
        .size:           8
        .value_kind:     hidden_global_offset_x
      - .offset:         3200
        .size:           8
        .value_kind:     hidden_global_offset_y
      - .offset:         3208
        .size:           8
        .value_kind:     hidden_global_offset_z
      - .offset:         3216
        .size:           2
        .value_kind:     hidden_grid_dims
    .group_segment_fixed_size: 0
    .kernarg_segment_align: 8
    .kernarg_segment_size: 3408
    .language:       OpenCL C
    .language_version:
      - 2
      - 0
    .max_flat_workgroup_size: 512
    .name:           _ZN2at6native12_GLOBAL__N_125multi_tensor_apply_kernelINS1_18TensorListMetadataILi3EEENS1_32PointwiseOpScalar0dTensorFunctorIhLi3ELi2ELi0EEEJSt10multipliesIhEhEEEvT_T0_DpT1_
    .private_segment_fixed_size: 0
    .sgpr_count:     24
    .sgpr_spill_count: 0
    .symbol:         _ZN2at6native12_GLOBAL__N_125multi_tensor_apply_kernelINS1_18TensorListMetadataILi3EEENS1_32PointwiseOpScalar0dTensorFunctorIhLi3ELi2ELi0EEEJSt10multipliesIhEhEEEvT_T0_DpT1_.kd
    .uniform_work_group_size: 1
    .uses_dynamic_stack: false
    .vgpr_count:     40
    .vgpr_spill_count: 0
    .wavefront_size: 64
  - .args:
      - .offset:         0
        .size:           3144
        .value_kind:     by_value
      - .offset:         3144
        .size:           1
        .value_kind:     by_value
      - .offset:         3145
        .size:           1
        .value_kind:     by_value
      - .offset:         3146
        .size:           1
        .value_kind:     by_value
      - .offset:         3152
        .size:           4
        .value_kind:     hidden_block_count_x
      - .offset:         3156
        .size:           4
        .value_kind:     hidden_block_count_y
      - .offset:         3160
        .size:           4
        .value_kind:     hidden_block_count_z
      - .offset:         3164
        .size:           2
        .value_kind:     hidden_group_size_x
      - .offset:         3166
        .size:           2
        .value_kind:     hidden_group_size_y
      - .offset:         3168
        .size:           2
        .value_kind:     hidden_group_size_z
      - .offset:         3170
        .size:           2
        .value_kind:     hidden_remainder_x
      - .offset:         3172
        .size:           2
        .value_kind:     hidden_remainder_y
      - .offset:         3174
        .size:           2
        .value_kind:     hidden_remainder_z
      - .offset:         3192
        .size:           8
        .value_kind:     hidden_global_offset_x
      - .offset:         3200
        .size:           8
        .value_kind:     hidden_global_offset_y
      - .offset:         3208
        .size:           8
        .value_kind:     hidden_global_offset_z
      - .offset:         3216
        .size:           2
        .value_kind:     hidden_grid_dims
    .group_segment_fixed_size: 0
    .kernarg_segment_align: 8
    .kernarg_segment_size: 3408
    .language:       OpenCL C
    .language_version:
      - 2
      - 0
    .max_flat_workgroup_size: 512
    .name:           _ZN2at6native12_GLOBAL__N_125multi_tensor_apply_kernelINS1_18TensorListMetadataILi3EEENS1_32PointwiseOpScalar0dTensorFunctorIaLi3ELi2ELi0EEEJSt10multipliesIaEaEEEvT_T0_DpT1_
    .private_segment_fixed_size: 0
    .sgpr_count:     24
    .sgpr_spill_count: 0
    .symbol:         _ZN2at6native12_GLOBAL__N_125multi_tensor_apply_kernelINS1_18TensorListMetadataILi3EEENS1_32PointwiseOpScalar0dTensorFunctorIaLi3ELi2ELi0EEEJSt10multipliesIaEaEEEvT_T0_DpT1_.kd
    .uniform_work_group_size: 1
    .uses_dynamic_stack: false
    .vgpr_count:     40
    .vgpr_spill_count: 0
    .wavefront_size: 64
  - .args:
      - .offset:         0
        .size:           3144
        .value_kind:     by_value
      - .offset:         3144
        .size:           1
        .value_kind:     by_value
      - .offset:         3145
        .size:           1
        .value_kind:     by_value
      - .offset:         3148
        .size:           4
        .value_kind:     by_value
      - .offset:         3152
        .size:           4
        .value_kind:     hidden_block_count_x
      - .offset:         3156
        .size:           4
        .value_kind:     hidden_block_count_y
      - .offset:         3160
        .size:           4
        .value_kind:     hidden_block_count_z
      - .offset:         3164
        .size:           2
        .value_kind:     hidden_group_size_x
      - .offset:         3166
        .size:           2
        .value_kind:     hidden_group_size_y
      - .offset:         3168
        .size:           2
        .value_kind:     hidden_group_size_z
      - .offset:         3170
        .size:           2
        .value_kind:     hidden_remainder_x
      - .offset:         3172
        .size:           2
        .value_kind:     hidden_remainder_y
      - .offset:         3174
        .size:           2
        .value_kind:     hidden_remainder_z
      - .offset:         3192
        .size:           8
        .value_kind:     hidden_global_offset_x
      - .offset:         3200
        .size:           8
        .value_kind:     hidden_global_offset_y
      - .offset:         3208
        .size:           8
        .value_kind:     hidden_global_offset_z
      - .offset:         3216
        .size:           2
        .value_kind:     hidden_grid_dims
    .group_segment_fixed_size: 0
    .kernarg_segment_align: 8
    .kernarg_segment_size: 3408
    .language:       OpenCL C
    .language_version:
      - 2
      - 0
    .max_flat_workgroup_size: 512
    .name:           _ZN2at6native12_GLOBAL__N_125multi_tensor_apply_kernelINS1_18TensorListMetadataILi3EEENS1_32PointwiseOpScalar0dTensorFunctorIiLi3ELi2ELi0EEEJSt10multipliesIiEiEEEvT_T0_DpT1_
    .private_segment_fixed_size: 0
    .sgpr_count:     30
    .sgpr_spill_count: 0
    .symbol:         _ZN2at6native12_GLOBAL__N_125multi_tensor_apply_kernelINS1_18TensorListMetadataILi3EEENS1_32PointwiseOpScalar0dTensorFunctorIiLi3ELi2ELi0EEEJSt10multipliesIiEiEEEvT_T0_DpT1_.kd
    .uniform_work_group_size: 1
    .uses_dynamic_stack: false
    .vgpr_count:     22
    .vgpr_spill_count: 0
    .wavefront_size: 64
  - .args:
      - .offset:         0
        .size:           3144
        .value_kind:     by_value
      - .offset:         3144
        .size:           1
        .value_kind:     by_value
      - .offset:         3145
        .size:           1
        .value_kind:     by_value
      - .offset:         3152
        .size:           8
        .value_kind:     by_value
      - .offset:         3160
        .size:           4
        .value_kind:     hidden_block_count_x
      - .offset:         3164
        .size:           4
        .value_kind:     hidden_block_count_y
      - .offset:         3168
        .size:           4
        .value_kind:     hidden_block_count_z
      - .offset:         3172
        .size:           2
        .value_kind:     hidden_group_size_x
      - .offset:         3174
        .size:           2
        .value_kind:     hidden_group_size_y
      - .offset:         3176
        .size:           2
        .value_kind:     hidden_group_size_z
      - .offset:         3178
        .size:           2
        .value_kind:     hidden_remainder_x
      - .offset:         3180
        .size:           2
        .value_kind:     hidden_remainder_y
      - .offset:         3182
        .size:           2
        .value_kind:     hidden_remainder_z
      - .offset:         3200
        .size:           8
        .value_kind:     hidden_global_offset_x
      - .offset:         3208
        .size:           8
        .value_kind:     hidden_global_offset_y
      - .offset:         3216
        .size:           8
        .value_kind:     hidden_global_offset_z
      - .offset:         3224
        .size:           2
        .value_kind:     hidden_grid_dims
    .group_segment_fixed_size: 0
    .kernarg_segment_align: 8
    .kernarg_segment_size: 3416
    .language:       OpenCL C
    .language_version:
      - 2
      - 0
    .max_flat_workgroup_size: 512
    .name:           _ZN2at6native12_GLOBAL__N_125multi_tensor_apply_kernelINS1_18TensorListMetadataILi3EEENS1_32PointwiseOpScalar0dTensorFunctorIlLi3ELi2ELi0EEEJSt10multipliesIlElEEEvT_T0_DpT1_
    .private_segment_fixed_size: 0
    .sgpr_count:     32
    .sgpr_spill_count: 0
    .symbol:         _ZN2at6native12_GLOBAL__N_125multi_tensor_apply_kernelINS1_18TensorListMetadataILi3EEENS1_32PointwiseOpScalar0dTensorFunctorIlLi3ELi2ELi0EEEJSt10multipliesIlElEEEvT_T0_DpT1_.kd
    .uniform_work_group_size: 1
    .uses_dynamic_stack: false
    .vgpr_count:     27
    .vgpr_spill_count: 0
    .wavefront_size: 64
  - .args:
      - .offset:         0
        .size:           3144
        .value_kind:     by_value
      - .offset:         3144
        .size:           1
        .value_kind:     by_value
      - .offset:         3145
        .size:           1
        .value_kind:     by_value
      - .offset:         3146
        .size:           2
        .value_kind:     by_value
      - .offset:         3152
        .size:           4
        .value_kind:     hidden_block_count_x
      - .offset:         3156
        .size:           4
        .value_kind:     hidden_block_count_y
      - .offset:         3160
        .size:           4
        .value_kind:     hidden_block_count_z
      - .offset:         3164
        .size:           2
        .value_kind:     hidden_group_size_x
      - .offset:         3166
        .size:           2
        .value_kind:     hidden_group_size_y
      - .offset:         3168
        .size:           2
        .value_kind:     hidden_group_size_z
      - .offset:         3170
        .size:           2
        .value_kind:     hidden_remainder_x
      - .offset:         3172
        .size:           2
        .value_kind:     hidden_remainder_y
      - .offset:         3174
        .size:           2
        .value_kind:     hidden_remainder_z
      - .offset:         3192
        .size:           8
        .value_kind:     hidden_global_offset_x
      - .offset:         3200
        .size:           8
        .value_kind:     hidden_global_offset_y
      - .offset:         3208
        .size:           8
        .value_kind:     hidden_global_offset_z
      - .offset:         3216
        .size:           2
        .value_kind:     hidden_grid_dims
    .group_segment_fixed_size: 0
    .kernarg_segment_align: 8
    .kernarg_segment_size: 3408
    .language:       OpenCL C
    .language_version:
      - 2
      - 0
    .max_flat_workgroup_size: 512
    .name:           _ZN2at6native12_GLOBAL__N_125multi_tensor_apply_kernelINS1_18TensorListMetadataILi3EEENS1_32PointwiseOpScalar0dTensorFunctorIsLi3ELi2ELi0EEEJSt10multipliesIsEsEEEvT_T0_DpT1_
    .private_segment_fixed_size: 0
    .sgpr_count:     28
    .sgpr_spill_count: 0
    .symbol:         _ZN2at6native12_GLOBAL__N_125multi_tensor_apply_kernelINS1_18TensorListMetadataILi3EEENS1_32PointwiseOpScalar0dTensorFunctorIsLi3ELi2ELi0EEEJSt10multipliesIsEsEEEvT_T0_DpT1_.kd
    .uniform_work_group_size: 1
    .uses_dynamic_stack: false
    .vgpr_count:     20
    .vgpr_spill_count: 0
    .wavefront_size: 64
  - .args:
      - .offset:         0
        .size:           3144
        .value_kind:     by_value
      - .offset:         3144
        .size:           1
        .value_kind:     by_value
      - .offset:         3145
        .size:           1
        .value_kind:     by_value
      - .offset:         3152
        .size:           8
        .value_kind:     by_value
      - .offset:         3160
        .size:           4
        .value_kind:     hidden_block_count_x
      - .offset:         3164
        .size:           4
        .value_kind:     hidden_block_count_y
      - .offset:         3168
        .size:           4
        .value_kind:     hidden_block_count_z
      - .offset:         3172
        .size:           2
        .value_kind:     hidden_group_size_x
      - .offset:         3174
        .size:           2
        .value_kind:     hidden_group_size_y
      - .offset:         3176
        .size:           2
        .value_kind:     hidden_group_size_z
      - .offset:         3178
        .size:           2
        .value_kind:     hidden_remainder_x
      - .offset:         3180
        .size:           2
        .value_kind:     hidden_remainder_y
      - .offset:         3182
        .size:           2
        .value_kind:     hidden_remainder_z
      - .offset:         3200
        .size:           8
        .value_kind:     hidden_global_offset_x
      - .offset:         3208
        .size:           8
        .value_kind:     hidden_global_offset_y
      - .offset:         3216
        .size:           8
        .value_kind:     hidden_global_offset_z
      - .offset:         3224
        .size:           2
        .value_kind:     hidden_grid_dims
    .group_segment_fixed_size: 0
    .kernarg_segment_align: 8
    .kernarg_segment_size: 3416
    .language:       OpenCL C
    .language_version:
      - 2
      - 0
    .max_flat_workgroup_size: 512
    .name:           _ZN2at6native12_GLOBAL__N_125multi_tensor_apply_kernelINS1_18TensorListMetadataILi3EEENS1_32PointwiseOpScalar0dTensorFunctorIdLi3ELi2ELi0EEEJSt10multipliesIdEdEEEvT_T0_DpT1_
    .private_segment_fixed_size: 0
    .sgpr_count:     34
    .sgpr_spill_count: 0
    .symbol:         _ZN2at6native12_GLOBAL__N_125multi_tensor_apply_kernelINS1_18TensorListMetadataILi3EEENS1_32PointwiseOpScalar0dTensorFunctorIdLi3ELi2ELi0EEEJSt10multipliesIdEdEEEvT_T0_DpT1_.kd
    .uniform_work_group_size: 1
    .uses_dynamic_stack: false
    .vgpr_count:     29
    .vgpr_spill_count: 0
    .wavefront_size: 64
  - .args:
      - .offset:         0
        .size:           3144
        .value_kind:     by_value
      - .offset:         3144
        .size:           1
        .value_kind:     by_value
      - .offset:         3145
        .size:           1
        .value_kind:     by_value
      - .offset:         3148
        .size:           4
        .value_kind:     by_value
      - .offset:         3152
        .size:           4
        .value_kind:     hidden_block_count_x
      - .offset:         3156
        .size:           4
        .value_kind:     hidden_block_count_y
      - .offset:         3160
        .size:           4
        .value_kind:     hidden_block_count_z
      - .offset:         3164
        .size:           2
        .value_kind:     hidden_group_size_x
      - .offset:         3166
        .size:           2
        .value_kind:     hidden_group_size_y
      - .offset:         3168
        .size:           2
        .value_kind:     hidden_group_size_z
      - .offset:         3170
        .size:           2
        .value_kind:     hidden_remainder_x
      - .offset:         3172
        .size:           2
        .value_kind:     hidden_remainder_y
      - .offset:         3174
        .size:           2
        .value_kind:     hidden_remainder_z
      - .offset:         3192
        .size:           8
        .value_kind:     hidden_global_offset_x
      - .offset:         3200
        .size:           8
        .value_kind:     hidden_global_offset_y
      - .offset:         3208
        .size:           8
        .value_kind:     hidden_global_offset_z
      - .offset:         3216
        .size:           2
        .value_kind:     hidden_grid_dims
    .group_segment_fixed_size: 0
    .kernarg_segment_align: 8
    .kernarg_segment_size: 3408
    .language:       OpenCL C
    .language_version:
      - 2
      - 0
    .max_flat_workgroup_size: 512
    .name:           _ZN2at6native12_GLOBAL__N_125multi_tensor_apply_kernelINS1_18TensorListMetadataILi3EEENS1_32PointwiseOpScalar0dTensorFunctorIfLi3ELi2ELi0EEEJSt10multipliesIfEfEEEvT_T0_DpT1_
    .private_segment_fixed_size: 0
    .sgpr_count:     30
    .sgpr_spill_count: 0
    .symbol:         _ZN2at6native12_GLOBAL__N_125multi_tensor_apply_kernelINS1_18TensorListMetadataILi3EEENS1_32PointwiseOpScalar0dTensorFunctorIfLi3ELi2ELi0EEEJSt10multipliesIfEfEEEvT_T0_DpT1_.kd
    .uniform_work_group_size: 1
    .uses_dynamic_stack: false
    .vgpr_count:     23
    .vgpr_spill_count: 0
    .wavefront_size: 64
  - .args:
      - .offset:         0
        .size:           3144
        .value_kind:     by_value
      - .offset:         3144
        .size:           1
        .value_kind:     by_value
      - .offset:         3145
        .size:           1
        .value_kind:     by_value
      - .offset:         3152
        .size:           16
        .value_kind:     by_value
      - .offset:         3168
        .size:           4
        .value_kind:     hidden_block_count_x
      - .offset:         3172
        .size:           4
        .value_kind:     hidden_block_count_y
      - .offset:         3176
        .size:           4
        .value_kind:     hidden_block_count_z
      - .offset:         3180
        .size:           2
        .value_kind:     hidden_group_size_x
      - .offset:         3182
        .size:           2
        .value_kind:     hidden_group_size_y
      - .offset:         3184
        .size:           2
        .value_kind:     hidden_group_size_z
      - .offset:         3186
        .size:           2
        .value_kind:     hidden_remainder_x
      - .offset:         3188
        .size:           2
        .value_kind:     hidden_remainder_y
      - .offset:         3190
        .size:           2
        .value_kind:     hidden_remainder_z
      - .offset:         3208
        .size:           8
        .value_kind:     hidden_global_offset_x
      - .offset:         3216
        .size:           8
        .value_kind:     hidden_global_offset_y
      - .offset:         3224
        .size:           8
        .value_kind:     hidden_global_offset_z
      - .offset:         3232
        .size:           2
        .value_kind:     hidden_grid_dims
    .group_segment_fixed_size: 0
    .kernarg_segment_align: 16
    .kernarg_segment_size: 3424
    .language:       OpenCL C
    .language_version:
      - 2
      - 0
    .max_flat_workgroup_size: 512
    .name:           _ZN2at6native12_GLOBAL__N_125multi_tensor_apply_kernelINS1_18TensorListMetadataILi3EEENS1_32PointwiseOpScalar0dTensorFunctorIN3c107complexIdEELi3ELi2ELi0EEEJSt10multipliesIS8_ES8_EEEvT_T0_DpT1_
    .private_segment_fixed_size: 0
    .sgpr_count:     36
    .sgpr_spill_count: 0
    .symbol:         _ZN2at6native12_GLOBAL__N_125multi_tensor_apply_kernelINS1_18TensorListMetadataILi3EEENS1_32PointwiseOpScalar0dTensorFunctorIN3c107complexIdEELi3ELi2ELi0EEEJSt10multipliesIS8_ES8_EEEvT_T0_DpT1_.kd
    .uniform_work_group_size: 1
    .uses_dynamic_stack: false
    .vgpr_count:     46
    .vgpr_spill_count: 0
    .wavefront_size: 64
  - .args:
      - .offset:         0
        .size:           3144
        .value_kind:     by_value
      - .offset:         3144
        .size:           1
        .value_kind:     by_value
      - .offset:         3145
        .size:           1
        .value_kind:     by_value
      - .offset:         3152
        .size:           8
        .value_kind:     by_value
      - .offset:         3160
        .size:           4
        .value_kind:     hidden_block_count_x
      - .offset:         3164
        .size:           4
        .value_kind:     hidden_block_count_y
      - .offset:         3168
        .size:           4
        .value_kind:     hidden_block_count_z
      - .offset:         3172
        .size:           2
        .value_kind:     hidden_group_size_x
      - .offset:         3174
        .size:           2
        .value_kind:     hidden_group_size_y
      - .offset:         3176
        .size:           2
        .value_kind:     hidden_group_size_z
      - .offset:         3178
        .size:           2
        .value_kind:     hidden_remainder_x
      - .offset:         3180
        .size:           2
        .value_kind:     hidden_remainder_y
      - .offset:         3182
        .size:           2
        .value_kind:     hidden_remainder_z
      - .offset:         3200
        .size:           8
        .value_kind:     hidden_global_offset_x
      - .offset:         3208
        .size:           8
        .value_kind:     hidden_global_offset_y
      - .offset:         3216
        .size:           8
        .value_kind:     hidden_global_offset_z
      - .offset:         3224
        .size:           2
        .value_kind:     hidden_grid_dims
    .group_segment_fixed_size: 0
    .kernarg_segment_align: 8
    .kernarg_segment_size: 3416
    .language:       OpenCL C
    .language_version:
      - 2
      - 0
    .max_flat_workgroup_size: 512
    .name:           _ZN2at6native12_GLOBAL__N_125multi_tensor_apply_kernelINS1_18TensorListMetadataILi3EEENS1_32PointwiseOpScalar0dTensorFunctorIN3c107complexIfEELi3ELi2ELi0EEEJSt10multipliesIS8_ES8_EEEvT_T0_DpT1_
    .private_segment_fixed_size: 0
    .sgpr_count:     32
    .sgpr_spill_count: 0
    .symbol:         _ZN2at6native12_GLOBAL__N_125multi_tensor_apply_kernelINS1_18TensorListMetadataILi3EEENS1_32PointwiseOpScalar0dTensorFunctorIN3c107complexIfEELi3ELi2ELi0EEEJSt10multipliesIS8_ES8_EEEvT_T0_DpT1_.kd
    .uniform_work_group_size: 1
    .uses_dynamic_stack: false
    .vgpr_count:     26
    .vgpr_spill_count: 0
    .wavefront_size: 64
  - .args:
      - .offset:         0
        .size:           3144
        .value_kind:     by_value
      - .offset:         3144
        .size:           1
        .value_kind:     by_value
      - .offset:         3145
        .size:           1
        .value_kind:     by_value
      - .offset:         3148
        .size:           4
        .value_kind:     by_value
      - .offset:         3152
        .size:           4
        .value_kind:     hidden_block_count_x
      - .offset:         3156
        .size:           4
        .value_kind:     hidden_block_count_y
      - .offset:         3160
        .size:           4
        .value_kind:     hidden_block_count_z
      - .offset:         3164
        .size:           2
        .value_kind:     hidden_group_size_x
      - .offset:         3166
        .size:           2
        .value_kind:     hidden_group_size_y
      - .offset:         3168
        .size:           2
        .value_kind:     hidden_group_size_z
      - .offset:         3170
        .size:           2
        .value_kind:     hidden_remainder_x
      - .offset:         3172
        .size:           2
        .value_kind:     hidden_remainder_y
      - .offset:         3174
        .size:           2
        .value_kind:     hidden_remainder_z
      - .offset:         3192
        .size:           8
        .value_kind:     hidden_global_offset_x
      - .offset:         3200
        .size:           8
        .value_kind:     hidden_global_offset_y
      - .offset:         3208
        .size:           8
        .value_kind:     hidden_global_offset_z
      - .offset:         3216
        .size:           2
        .value_kind:     hidden_grid_dims
    .group_segment_fixed_size: 0
    .kernarg_segment_align: 8
    .kernarg_segment_size: 3408
    .language:       OpenCL C
    .language_version:
      - 2
      - 0
    .max_flat_workgroup_size: 512
    .name:           _ZN2at6native12_GLOBAL__N_125multi_tensor_apply_kernelINS1_18TensorListMetadataILi3EEENS1_32PointwiseOpScalar0dTensorFunctorIN3c104HalfELi3ELi2ELi0EEEJSt10multipliesIfEfEEEvT_T0_DpT1_
    .private_segment_fixed_size: 0
    .sgpr_count:     28
    .sgpr_spill_count: 0
    .symbol:         _ZN2at6native12_GLOBAL__N_125multi_tensor_apply_kernelINS1_18TensorListMetadataILi3EEENS1_32PointwiseOpScalar0dTensorFunctorIN3c104HalfELi3ELi2ELi0EEEJSt10multipliesIfEfEEEvT_T0_DpT1_.kd
    .uniform_work_group_size: 1
    .uses_dynamic_stack: false
    .vgpr_count:     22
    .vgpr_spill_count: 0
    .wavefront_size: 64
  - .args:
      - .offset:         0
        .size:           3144
        .value_kind:     by_value
      - .offset:         3144
        .size:           1
        .value_kind:     by_value
      - .offset:         3145
        .size:           1
        .value_kind:     by_value
      - .offset:         3148
        .size:           4
        .value_kind:     by_value
      - .offset:         3152
        .size:           4
        .value_kind:     hidden_block_count_x
      - .offset:         3156
        .size:           4
        .value_kind:     hidden_block_count_y
      - .offset:         3160
        .size:           4
        .value_kind:     hidden_block_count_z
      - .offset:         3164
        .size:           2
        .value_kind:     hidden_group_size_x
      - .offset:         3166
        .size:           2
        .value_kind:     hidden_group_size_y
      - .offset:         3168
        .size:           2
        .value_kind:     hidden_group_size_z
      - .offset:         3170
        .size:           2
        .value_kind:     hidden_remainder_x
      - .offset:         3172
        .size:           2
        .value_kind:     hidden_remainder_y
      - .offset:         3174
        .size:           2
        .value_kind:     hidden_remainder_z
      - .offset:         3192
        .size:           8
        .value_kind:     hidden_global_offset_x
      - .offset:         3200
        .size:           8
        .value_kind:     hidden_global_offset_y
      - .offset:         3208
        .size:           8
        .value_kind:     hidden_global_offset_z
      - .offset:         3216
        .size:           2
        .value_kind:     hidden_grid_dims
    .group_segment_fixed_size: 0
    .kernarg_segment_align: 8
    .kernarg_segment_size: 3408
    .language:       OpenCL C
    .language_version:
      - 2
      - 0
    .max_flat_workgroup_size: 512
    .name:           _ZN2at6native12_GLOBAL__N_125multi_tensor_apply_kernelINS1_18TensorListMetadataILi3EEENS1_32PointwiseOpScalar0dTensorFunctorIN3c108BFloat16ELi3ELi2ELi0EEEJSt10multipliesIfEfEEEvT_T0_DpT1_
    .private_segment_fixed_size: 0
    .sgpr_count:     31
    .sgpr_spill_count: 0
    .symbol:         _ZN2at6native12_GLOBAL__N_125multi_tensor_apply_kernelINS1_18TensorListMetadataILi3EEENS1_32PointwiseOpScalar0dTensorFunctorIN3c108BFloat16ELi3ELi2ELi0EEEJSt10multipliesIfEfEEEvT_T0_DpT1_.kd
    .uniform_work_group_size: 1
    .uses_dynamic_stack: false
    .vgpr_count:     21
    .vgpr_spill_count: 0
    .wavefront_size: 64
  - .args:
      - .offset:         0
        .size:           3048
        .value_kind:     by_value
      - .offset:         3048
        .size:           1
        .value_kind:     by_value
      - .offset:         3049
        .size:           1
        .value_kind:     by_value
      - .offset:         3050
        .size:           1
        .value_kind:     by_value
      - .offset:         3056
        .size:           4
        .value_kind:     hidden_block_count_x
      - .offset:         3060
        .size:           4
        .value_kind:     hidden_block_count_y
      - .offset:         3064
        .size:           4
        .value_kind:     hidden_block_count_z
      - .offset:         3068
        .size:           2
        .value_kind:     hidden_group_size_x
      - .offset:         3070
        .size:           2
        .value_kind:     hidden_group_size_y
      - .offset:         3072
        .size:           2
        .value_kind:     hidden_group_size_z
      - .offset:         3074
        .size:           2
        .value_kind:     hidden_remainder_x
      - .offset:         3076
        .size:           2
        .value_kind:     hidden_remainder_y
      - .offset:         3078
        .size:           2
        .value_kind:     hidden_remainder_z
      - .offset:         3096
        .size:           8
        .value_kind:     hidden_global_offset_x
      - .offset:         3104
        .size:           8
        .value_kind:     hidden_global_offset_y
      - .offset:         3112
        .size:           8
        .value_kind:     hidden_global_offset_z
      - .offset:         3120
        .size:           2
        .value_kind:     hidden_grid_dims
    .group_segment_fixed_size: 0
    .kernarg_segment_align: 8
    .kernarg_segment_size: 3312
    .language:       OpenCL C
    .language_version:
      - 2
      - 0
    .max_flat_workgroup_size: 512
    .name:           _ZN2at6native12_GLOBAL__N_125multi_tensor_apply_kernelINS1_18TensorListMetadataILi4EEENS1_24PointwiseOpScalarFunctorIhLi4ELi3ELi3EEEJSt7dividesIhEhEEEvT_T0_DpT1_
    .private_segment_fixed_size: 0
    .sgpr_count:     33
    .sgpr_spill_count: 0
    .symbol:         _ZN2at6native12_GLOBAL__N_125multi_tensor_apply_kernelINS1_18TensorListMetadataILi4EEENS1_24PointwiseOpScalarFunctorIhLi4ELi3ELi3EEEJSt7dividesIhEhEEEvT_T0_DpT1_.kd
    .uniform_work_group_size: 1
    .uses_dynamic_stack: false
    .vgpr_count:     64
    .vgpr_spill_count: 0
    .wavefront_size: 64
  - .args:
      - .offset:         0
        .size:           3048
        .value_kind:     by_value
      - .offset:         3048
        .size:           1
        .value_kind:     by_value
      - .offset:         3049
        .size:           1
        .value_kind:     by_value
      - .offset:         3050
        .size:           1
        .value_kind:     by_value
      - .offset:         3056
        .size:           4
        .value_kind:     hidden_block_count_x
      - .offset:         3060
        .size:           4
        .value_kind:     hidden_block_count_y
      - .offset:         3064
        .size:           4
        .value_kind:     hidden_block_count_z
      - .offset:         3068
        .size:           2
        .value_kind:     hidden_group_size_x
      - .offset:         3070
        .size:           2
        .value_kind:     hidden_group_size_y
      - .offset:         3072
        .size:           2
        .value_kind:     hidden_group_size_z
      - .offset:         3074
        .size:           2
        .value_kind:     hidden_remainder_x
      - .offset:         3076
        .size:           2
        .value_kind:     hidden_remainder_y
      - .offset:         3078
        .size:           2
        .value_kind:     hidden_remainder_z
      - .offset:         3096
        .size:           8
        .value_kind:     hidden_global_offset_x
      - .offset:         3104
        .size:           8
        .value_kind:     hidden_global_offset_y
      - .offset:         3112
        .size:           8
        .value_kind:     hidden_global_offset_z
      - .offset:         3120
        .size:           2
        .value_kind:     hidden_grid_dims
    .group_segment_fixed_size: 0
    .kernarg_segment_align: 8
    .kernarg_segment_size: 3312
    .language:       OpenCL C
    .language_version:
      - 2
      - 0
    .max_flat_workgroup_size: 512
    .name:           _ZN2at6native12_GLOBAL__N_125multi_tensor_apply_kernelINS1_18TensorListMetadataILi4EEENS1_24PointwiseOpScalarFunctorIaLi4ELi3ELi3EEEJSt7dividesIaEaEEEvT_T0_DpT1_
    .private_segment_fixed_size: 0
    .sgpr_count:     42
    .sgpr_spill_count: 0
    .symbol:         _ZN2at6native12_GLOBAL__N_125multi_tensor_apply_kernelINS1_18TensorListMetadataILi4EEENS1_24PointwiseOpScalarFunctorIaLi4ELi3ELi3EEEJSt7dividesIaEaEEEvT_T0_DpT1_.kd
    .uniform_work_group_size: 1
    .uses_dynamic_stack: false
    .vgpr_count:     55
    .vgpr_spill_count: 0
    .wavefront_size: 64
  - .args:
      - .offset:         0
        .size:           3048
        .value_kind:     by_value
      - .offset:         3048
        .size:           1
        .value_kind:     by_value
      - .offset:         3049
        .size:           1
        .value_kind:     by_value
      - .offset:         3052
        .size:           4
        .value_kind:     by_value
      - .offset:         3056
        .size:           4
        .value_kind:     hidden_block_count_x
      - .offset:         3060
        .size:           4
        .value_kind:     hidden_block_count_y
      - .offset:         3064
        .size:           4
        .value_kind:     hidden_block_count_z
      - .offset:         3068
        .size:           2
        .value_kind:     hidden_group_size_x
      - .offset:         3070
        .size:           2
        .value_kind:     hidden_group_size_y
      - .offset:         3072
        .size:           2
        .value_kind:     hidden_group_size_z
      - .offset:         3074
        .size:           2
        .value_kind:     hidden_remainder_x
      - .offset:         3076
        .size:           2
        .value_kind:     hidden_remainder_y
      - .offset:         3078
        .size:           2
        .value_kind:     hidden_remainder_z
      - .offset:         3096
        .size:           8
        .value_kind:     hidden_global_offset_x
      - .offset:         3104
        .size:           8
        .value_kind:     hidden_global_offset_y
      - .offset:         3112
        .size:           8
        .value_kind:     hidden_global_offset_z
      - .offset:         3120
        .size:           2
        .value_kind:     hidden_grid_dims
    .group_segment_fixed_size: 0
    .kernarg_segment_align: 8
    .kernarg_segment_size: 3312
    .language:       OpenCL C
    .language_version:
      - 2
      - 0
    .max_flat_workgroup_size: 512
    .name:           _ZN2at6native12_GLOBAL__N_125multi_tensor_apply_kernelINS1_18TensorListMetadataILi4EEENS1_24PointwiseOpScalarFunctorIiLi4ELi3ELi3EEEJSt7dividesIiEiEEEvT_T0_DpT1_
    .private_segment_fixed_size: 0
    .sgpr_count:     40
    .sgpr_spill_count: 0
    .symbol:         _ZN2at6native12_GLOBAL__N_125multi_tensor_apply_kernelINS1_18TensorListMetadataILi4EEENS1_24PointwiseOpScalarFunctorIiLi4ELi3ELi3EEEJSt7dividesIiEiEEEvT_T0_DpT1_.kd
    .uniform_work_group_size: 1
    .uses_dynamic_stack: false
    .vgpr_count:     63
    .vgpr_spill_count: 0
    .wavefront_size: 64
  - .args:
      - .offset:         0
        .size:           3048
        .value_kind:     by_value
      - .offset:         3048
        .size:           1
        .value_kind:     by_value
      - .offset:         3049
        .size:           1
        .value_kind:     by_value
      - .offset:         3056
        .size:           8
        .value_kind:     by_value
      - .offset:         3064
        .size:           4
        .value_kind:     hidden_block_count_x
      - .offset:         3068
        .size:           4
        .value_kind:     hidden_block_count_y
      - .offset:         3072
        .size:           4
        .value_kind:     hidden_block_count_z
      - .offset:         3076
        .size:           2
        .value_kind:     hidden_group_size_x
      - .offset:         3078
        .size:           2
        .value_kind:     hidden_group_size_y
      - .offset:         3080
        .size:           2
        .value_kind:     hidden_group_size_z
      - .offset:         3082
        .size:           2
        .value_kind:     hidden_remainder_x
      - .offset:         3084
        .size:           2
        .value_kind:     hidden_remainder_y
      - .offset:         3086
        .size:           2
        .value_kind:     hidden_remainder_z
      - .offset:         3104
        .size:           8
        .value_kind:     hidden_global_offset_x
      - .offset:         3112
        .size:           8
        .value_kind:     hidden_global_offset_y
      - .offset:         3120
        .size:           8
        .value_kind:     hidden_global_offset_z
      - .offset:         3128
        .size:           2
        .value_kind:     hidden_grid_dims
    .group_segment_fixed_size: 0
    .kernarg_segment_align: 8
    .kernarg_segment_size: 3320
    .language:       OpenCL C
    .language_version:
      - 2
      - 0
    .max_flat_workgroup_size: 512
    .name:           _ZN2at6native12_GLOBAL__N_125multi_tensor_apply_kernelINS1_18TensorListMetadataILi4EEENS1_24PointwiseOpScalarFunctorIlLi4ELi3ELi3EEEJSt7dividesIlElEEEvT_T0_DpT1_
    .private_segment_fixed_size: 0
    .sgpr_count:     40
    .sgpr_spill_count: 0
    .symbol:         _ZN2at6native12_GLOBAL__N_125multi_tensor_apply_kernelINS1_18TensorListMetadataILi4EEENS1_24PointwiseOpScalarFunctorIlLi4ELi3ELi3EEEJSt7dividesIlElEEEvT_T0_DpT1_.kd
    .uniform_work_group_size: 1
    .uses_dynamic_stack: false
    .vgpr_count:     76
    .vgpr_spill_count: 0
    .wavefront_size: 64
  - .args:
      - .offset:         0
        .size:           3048
        .value_kind:     by_value
      - .offset:         3048
        .size:           1
        .value_kind:     by_value
      - .offset:         3049
        .size:           1
        .value_kind:     by_value
      - .offset:         3050
        .size:           2
        .value_kind:     by_value
      - .offset:         3056
        .size:           4
        .value_kind:     hidden_block_count_x
      - .offset:         3060
        .size:           4
        .value_kind:     hidden_block_count_y
      - .offset:         3064
        .size:           4
        .value_kind:     hidden_block_count_z
      - .offset:         3068
        .size:           2
        .value_kind:     hidden_group_size_x
      - .offset:         3070
        .size:           2
        .value_kind:     hidden_group_size_y
      - .offset:         3072
        .size:           2
        .value_kind:     hidden_group_size_z
      - .offset:         3074
        .size:           2
        .value_kind:     hidden_remainder_x
      - .offset:         3076
        .size:           2
        .value_kind:     hidden_remainder_y
      - .offset:         3078
        .size:           2
        .value_kind:     hidden_remainder_z
      - .offset:         3096
        .size:           8
        .value_kind:     hidden_global_offset_x
      - .offset:         3104
        .size:           8
        .value_kind:     hidden_global_offset_y
      - .offset:         3112
        .size:           8
        .value_kind:     hidden_global_offset_z
      - .offset:         3120
        .size:           2
        .value_kind:     hidden_grid_dims
    .group_segment_fixed_size: 0
    .kernarg_segment_align: 8
    .kernarg_segment_size: 3312
    .language:       OpenCL C
    .language_version:
      - 2
      - 0
    .max_flat_workgroup_size: 512
    .name:           _ZN2at6native12_GLOBAL__N_125multi_tensor_apply_kernelINS1_18TensorListMetadataILi4EEENS1_24PointwiseOpScalarFunctorIsLi4ELi3ELi3EEEJSt7dividesIsEsEEEvT_T0_DpT1_
    .private_segment_fixed_size: 0
    .sgpr_count:     42
    .sgpr_spill_count: 0
    .symbol:         _ZN2at6native12_GLOBAL__N_125multi_tensor_apply_kernelINS1_18TensorListMetadataILi4EEENS1_24PointwiseOpScalarFunctorIsLi4ELi3ELi3EEEJSt7dividesIsEsEEEvT_T0_DpT1_.kd
    .uniform_work_group_size: 1
    .uses_dynamic_stack: false
    .vgpr_count:     55
    .vgpr_spill_count: 0
    .wavefront_size: 64
  - .args:
      - .offset:         0
        .size:           3048
        .value_kind:     by_value
      - .offset:         3048
        .size:           1
        .value_kind:     by_value
      - .offset:         3049
        .size:           1
        .value_kind:     by_value
      - .offset:         3056
        .size:           8
        .value_kind:     by_value
      - .offset:         3064
        .size:           4
        .value_kind:     hidden_block_count_x
      - .offset:         3068
        .size:           4
        .value_kind:     hidden_block_count_y
      - .offset:         3072
        .size:           4
        .value_kind:     hidden_block_count_z
      - .offset:         3076
        .size:           2
        .value_kind:     hidden_group_size_x
      - .offset:         3078
        .size:           2
        .value_kind:     hidden_group_size_y
      - .offset:         3080
        .size:           2
        .value_kind:     hidden_group_size_z
      - .offset:         3082
        .size:           2
        .value_kind:     hidden_remainder_x
      - .offset:         3084
        .size:           2
        .value_kind:     hidden_remainder_y
      - .offset:         3086
        .size:           2
        .value_kind:     hidden_remainder_z
      - .offset:         3104
        .size:           8
        .value_kind:     hidden_global_offset_x
      - .offset:         3112
        .size:           8
        .value_kind:     hidden_global_offset_y
      - .offset:         3120
        .size:           8
        .value_kind:     hidden_global_offset_z
      - .offset:         3128
        .size:           2
        .value_kind:     hidden_grid_dims
    .group_segment_fixed_size: 0
    .kernarg_segment_align: 8
    .kernarg_segment_size: 3320
    .language:       OpenCL C
    .language_version:
      - 2
      - 0
    .max_flat_workgroup_size: 512
    .name:           _ZN2at6native12_GLOBAL__N_125multi_tensor_apply_kernelINS1_18TensorListMetadataILi4EEENS1_24PointwiseOpScalarFunctorIdLi4ELi3ELi3EEEJSt7dividesIdEdEEEvT_T0_DpT1_
    .private_segment_fixed_size: 0
    .sgpr_count:     41
    .sgpr_spill_count: 0
    .symbol:         _ZN2at6native12_GLOBAL__N_125multi_tensor_apply_kernelINS1_18TensorListMetadataILi4EEENS1_24PointwiseOpScalarFunctorIdLi4ELi3ELi3EEEJSt7dividesIdEdEEEvT_T0_DpT1_.kd
    .uniform_work_group_size: 1
    .uses_dynamic_stack: false
    .vgpr_count:     71
    .vgpr_spill_count: 0
    .wavefront_size: 64
  - .args:
      - .offset:         0
        .size:           3048
        .value_kind:     by_value
      - .offset:         3048
        .size:           1
        .value_kind:     by_value
      - .offset:         3049
        .size:           1
        .value_kind:     by_value
      - .offset:         3052
        .size:           4
        .value_kind:     by_value
      - .offset:         3056
        .size:           4
        .value_kind:     hidden_block_count_x
      - .offset:         3060
        .size:           4
        .value_kind:     hidden_block_count_y
      - .offset:         3064
        .size:           4
        .value_kind:     hidden_block_count_z
      - .offset:         3068
        .size:           2
        .value_kind:     hidden_group_size_x
      - .offset:         3070
        .size:           2
        .value_kind:     hidden_group_size_y
      - .offset:         3072
        .size:           2
        .value_kind:     hidden_group_size_z
      - .offset:         3074
        .size:           2
        .value_kind:     hidden_remainder_x
      - .offset:         3076
        .size:           2
        .value_kind:     hidden_remainder_y
      - .offset:         3078
        .size:           2
        .value_kind:     hidden_remainder_z
      - .offset:         3096
        .size:           8
        .value_kind:     hidden_global_offset_x
      - .offset:         3104
        .size:           8
        .value_kind:     hidden_global_offset_y
      - .offset:         3112
        .size:           8
        .value_kind:     hidden_global_offset_z
      - .offset:         3120
        .size:           2
        .value_kind:     hidden_grid_dims
    .group_segment_fixed_size: 0
    .kernarg_segment_align: 8
    .kernarg_segment_size: 3312
    .language:       OpenCL C
    .language_version:
      - 2
      - 0
    .max_flat_workgroup_size: 512
    .name:           _ZN2at6native12_GLOBAL__N_125multi_tensor_apply_kernelINS1_18TensorListMetadataILi4EEENS1_24PointwiseOpScalarFunctorIfLi4ELi3ELi3EEEJSt7dividesIfEfEEEvT_T0_DpT1_
    .private_segment_fixed_size: 0
    .sgpr_count:     40
    .sgpr_spill_count: 0
    .symbol:         _ZN2at6native12_GLOBAL__N_125multi_tensor_apply_kernelINS1_18TensorListMetadataILi4EEENS1_24PointwiseOpScalarFunctorIfLi4ELi3ELi3EEEJSt7dividesIfEfEEEvT_T0_DpT1_.kd
    .uniform_work_group_size: 1
    .uses_dynamic_stack: false
    .vgpr_count:     56
    .vgpr_spill_count: 0
    .wavefront_size: 64
  - .args:
      - .offset:         0
        .size:           3048
        .value_kind:     by_value
      - .offset:         3048
        .size:           1
        .value_kind:     by_value
      - .offset:         3049
        .size:           1
        .value_kind:     by_value
      - .offset:         3056
        .size:           16
        .value_kind:     by_value
      - .offset:         3072
        .size:           4
        .value_kind:     hidden_block_count_x
      - .offset:         3076
        .size:           4
        .value_kind:     hidden_block_count_y
      - .offset:         3080
        .size:           4
        .value_kind:     hidden_block_count_z
      - .offset:         3084
        .size:           2
        .value_kind:     hidden_group_size_x
      - .offset:         3086
        .size:           2
        .value_kind:     hidden_group_size_y
      - .offset:         3088
        .size:           2
        .value_kind:     hidden_group_size_z
      - .offset:         3090
        .size:           2
        .value_kind:     hidden_remainder_x
      - .offset:         3092
        .size:           2
        .value_kind:     hidden_remainder_y
      - .offset:         3094
        .size:           2
        .value_kind:     hidden_remainder_z
      - .offset:         3112
        .size:           8
        .value_kind:     hidden_global_offset_x
      - .offset:         3120
        .size:           8
        .value_kind:     hidden_global_offset_y
      - .offset:         3128
        .size:           8
        .value_kind:     hidden_global_offset_z
      - .offset:         3136
        .size:           2
        .value_kind:     hidden_grid_dims
    .group_segment_fixed_size: 0
    .kernarg_segment_align: 16
    .kernarg_segment_size: 3328
    .language:       OpenCL C
    .language_version:
      - 2
      - 0
    .max_flat_workgroup_size: 512
    .name:           _ZN2at6native12_GLOBAL__N_125multi_tensor_apply_kernelINS1_18TensorListMetadataILi4EEENS1_24PointwiseOpScalarFunctorIN3c107complexIdEELi4ELi3ELi3EEEJSt7dividesIS8_ES8_EEEvT_T0_DpT1_
    .private_segment_fixed_size: 0
    .sgpr_count:     51
    .sgpr_spill_count: 0
    .symbol:         _ZN2at6native12_GLOBAL__N_125multi_tensor_apply_kernelINS1_18TensorListMetadataILi4EEENS1_24PointwiseOpScalarFunctorIN3c107complexIdEELi4ELi3ELi3EEEJSt7dividesIS8_ES8_EEEvT_T0_DpT1_.kd
    .uniform_work_group_size: 1
    .uses_dynamic_stack: false
    .vgpr_count:     77
    .vgpr_spill_count: 0
    .wavefront_size: 64
  - .args:
      - .offset:         0
        .size:           3048
        .value_kind:     by_value
      - .offset:         3048
        .size:           1
        .value_kind:     by_value
      - .offset:         3049
        .size:           1
        .value_kind:     by_value
      - .offset:         3056
        .size:           8
        .value_kind:     by_value
      - .offset:         3064
        .size:           4
        .value_kind:     hidden_block_count_x
      - .offset:         3068
        .size:           4
        .value_kind:     hidden_block_count_y
      - .offset:         3072
        .size:           4
        .value_kind:     hidden_block_count_z
      - .offset:         3076
        .size:           2
        .value_kind:     hidden_group_size_x
      - .offset:         3078
        .size:           2
        .value_kind:     hidden_group_size_y
      - .offset:         3080
        .size:           2
        .value_kind:     hidden_group_size_z
      - .offset:         3082
        .size:           2
        .value_kind:     hidden_remainder_x
      - .offset:         3084
        .size:           2
        .value_kind:     hidden_remainder_y
      - .offset:         3086
        .size:           2
        .value_kind:     hidden_remainder_z
      - .offset:         3104
        .size:           8
        .value_kind:     hidden_global_offset_x
      - .offset:         3112
        .size:           8
        .value_kind:     hidden_global_offset_y
      - .offset:         3120
        .size:           8
        .value_kind:     hidden_global_offset_z
      - .offset:         3128
        .size:           2
        .value_kind:     hidden_grid_dims
    .group_segment_fixed_size: 0
    .kernarg_segment_align: 8
    .kernarg_segment_size: 3320
    .language:       OpenCL C
    .language_version:
      - 2
      - 0
    .max_flat_workgroup_size: 512
    .name:           _ZN2at6native12_GLOBAL__N_125multi_tensor_apply_kernelINS1_18TensorListMetadataILi4EEENS1_24PointwiseOpScalarFunctorIN3c107complexIfEELi4ELi3ELi3EEEJSt7dividesIS8_ES8_EEEvT_T0_DpT1_
    .private_segment_fixed_size: 0
    .sgpr_count:     49
    .sgpr_spill_count: 0
    .symbol:         _ZN2at6native12_GLOBAL__N_125multi_tensor_apply_kernelINS1_18TensorListMetadataILi4EEENS1_24PointwiseOpScalarFunctorIN3c107complexIfEELi4ELi3ELi3EEEJSt7dividesIS8_ES8_EEEvT_T0_DpT1_.kd
    .uniform_work_group_size: 1
    .uses_dynamic_stack: false
    .vgpr_count:     45
    .vgpr_spill_count: 0
    .wavefront_size: 64
  - .args:
      - .offset:         0
        .size:           3048
        .value_kind:     by_value
      - .offset:         3048
        .size:           1
        .value_kind:     by_value
      - .offset:         3049
        .size:           1
        .value_kind:     by_value
      - .offset:         3052
        .size:           4
        .value_kind:     by_value
      - .offset:         3056
        .size:           4
        .value_kind:     hidden_block_count_x
      - .offset:         3060
        .size:           4
        .value_kind:     hidden_block_count_y
      - .offset:         3064
        .size:           4
        .value_kind:     hidden_block_count_z
      - .offset:         3068
        .size:           2
        .value_kind:     hidden_group_size_x
      - .offset:         3070
        .size:           2
        .value_kind:     hidden_group_size_y
      - .offset:         3072
        .size:           2
        .value_kind:     hidden_group_size_z
      - .offset:         3074
        .size:           2
        .value_kind:     hidden_remainder_x
      - .offset:         3076
        .size:           2
        .value_kind:     hidden_remainder_y
      - .offset:         3078
        .size:           2
        .value_kind:     hidden_remainder_z
      - .offset:         3096
        .size:           8
        .value_kind:     hidden_global_offset_x
      - .offset:         3104
        .size:           8
        .value_kind:     hidden_global_offset_y
      - .offset:         3112
        .size:           8
        .value_kind:     hidden_global_offset_z
      - .offset:         3120
        .size:           2
        .value_kind:     hidden_grid_dims
    .group_segment_fixed_size: 0
    .kernarg_segment_align: 8
    .kernarg_segment_size: 3312
    .language:       OpenCL C
    .language_version:
      - 2
      - 0
    .max_flat_workgroup_size: 512
    .name:           _ZN2at6native12_GLOBAL__N_125multi_tensor_apply_kernelINS1_18TensorListMetadataILi4EEENS1_24PointwiseOpScalarFunctorIN3c104HalfELi4ELi3ELi3EEEJSt7dividesIfEfEEEvT_T0_DpT1_
    .private_segment_fixed_size: 0
    .sgpr_count:     40
    .sgpr_spill_count: 0
    .symbol:         _ZN2at6native12_GLOBAL__N_125multi_tensor_apply_kernelINS1_18TensorListMetadataILi4EEENS1_24PointwiseOpScalarFunctorIN3c104HalfELi4ELi3ELi3EEEJSt7dividesIfEfEEEvT_T0_DpT1_.kd
    .uniform_work_group_size: 1
    .uses_dynamic_stack: false
    .vgpr_count:     56
    .vgpr_spill_count: 0
    .wavefront_size: 64
  - .args:
      - .offset:         0
        .size:           3048
        .value_kind:     by_value
      - .offset:         3048
        .size:           1
        .value_kind:     by_value
      - .offset:         3049
        .size:           1
        .value_kind:     by_value
      - .offset:         3052
        .size:           4
        .value_kind:     by_value
      - .offset:         3056
        .size:           4
        .value_kind:     hidden_block_count_x
      - .offset:         3060
        .size:           4
        .value_kind:     hidden_block_count_y
      - .offset:         3064
        .size:           4
        .value_kind:     hidden_block_count_z
      - .offset:         3068
        .size:           2
        .value_kind:     hidden_group_size_x
      - .offset:         3070
        .size:           2
        .value_kind:     hidden_group_size_y
      - .offset:         3072
        .size:           2
        .value_kind:     hidden_group_size_z
      - .offset:         3074
        .size:           2
        .value_kind:     hidden_remainder_x
      - .offset:         3076
        .size:           2
        .value_kind:     hidden_remainder_y
      - .offset:         3078
        .size:           2
        .value_kind:     hidden_remainder_z
      - .offset:         3096
        .size:           8
        .value_kind:     hidden_global_offset_x
      - .offset:         3104
        .size:           8
        .value_kind:     hidden_global_offset_y
      - .offset:         3112
        .size:           8
        .value_kind:     hidden_global_offset_z
      - .offset:         3120
        .size:           2
        .value_kind:     hidden_grid_dims
    .group_segment_fixed_size: 0
    .kernarg_segment_align: 8
    .kernarg_segment_size: 3312
    .language:       OpenCL C
    .language_version:
      - 2
      - 0
    .max_flat_workgroup_size: 512
    .name:           _ZN2at6native12_GLOBAL__N_125multi_tensor_apply_kernelINS1_18TensorListMetadataILi4EEENS1_24PointwiseOpScalarFunctorIN3c108BFloat16ELi4ELi3ELi3EEEJSt7dividesIfEfEEEvT_T0_DpT1_
    .private_segment_fixed_size: 0
    .sgpr_count:     41
    .sgpr_spill_count: 0
    .symbol:         _ZN2at6native12_GLOBAL__N_125multi_tensor_apply_kernelINS1_18TensorListMetadataILi4EEENS1_24PointwiseOpScalarFunctorIN3c108BFloat16ELi4ELi3ELi3EEEJSt7dividesIfEfEEEvT_T0_DpT1_.kd
    .uniform_work_group_size: 1
    .uses_dynamic_stack: false
    .vgpr_count:     57
    .vgpr_spill_count: 0
    .wavefront_size: 64
  - .args:
      - .offset:         0
        .size:           3048
        .value_kind:     by_value
      - .offset:         3048
        .size:           1
        .value_kind:     by_value
      - .offset:         3049
        .size:           1
        .value_kind:     by_value
      - .offset:         3050
        .size:           1
        .value_kind:     by_value
      - .offset:         3056
        .size:           4
        .value_kind:     hidden_block_count_x
      - .offset:         3060
        .size:           4
        .value_kind:     hidden_block_count_y
      - .offset:         3064
        .size:           4
        .value_kind:     hidden_block_count_z
      - .offset:         3068
        .size:           2
        .value_kind:     hidden_group_size_x
      - .offset:         3070
        .size:           2
        .value_kind:     hidden_group_size_y
      - .offset:         3072
        .size:           2
        .value_kind:     hidden_group_size_z
      - .offset:         3074
        .size:           2
        .value_kind:     hidden_remainder_x
      - .offset:         3076
        .size:           2
        .value_kind:     hidden_remainder_y
      - .offset:         3078
        .size:           2
        .value_kind:     hidden_remainder_z
      - .offset:         3096
        .size:           8
        .value_kind:     hidden_global_offset_x
      - .offset:         3104
        .size:           8
        .value_kind:     hidden_global_offset_y
      - .offset:         3112
        .size:           8
        .value_kind:     hidden_global_offset_z
      - .offset:         3120
        .size:           2
        .value_kind:     hidden_grid_dims
    .group_segment_fixed_size: 0
    .kernarg_segment_align: 8
    .kernarg_segment_size: 3312
    .language:       OpenCL C
    .language_version:
      - 2
      - 0
    .max_flat_workgroup_size: 512
    .name:           _ZN2at6native12_GLOBAL__N_125multi_tensor_apply_kernelINS1_18TensorListMetadataILi4EEENS1_32PointwiseOpScalar0dTensorFunctorIhLi4ELi2ELi3EEEJSt7dividesIhEhEEEvT_T0_DpT1_
    .private_segment_fixed_size: 0
    .sgpr_count:     33
    .sgpr_spill_count: 0
    .symbol:         _ZN2at6native12_GLOBAL__N_125multi_tensor_apply_kernelINS1_18TensorListMetadataILi4EEENS1_32PointwiseOpScalar0dTensorFunctorIhLi4ELi2ELi3EEEJSt7dividesIhEhEEEvT_T0_DpT1_.kd
    .uniform_work_group_size: 1
    .uses_dynamic_stack: false
    .vgpr_count:     48
    .vgpr_spill_count: 0
    .wavefront_size: 64
  - .args:
      - .offset:         0
        .size:           3048
        .value_kind:     by_value
      - .offset:         3048
        .size:           1
        .value_kind:     by_value
      - .offset:         3049
        .size:           1
        .value_kind:     by_value
      - .offset:         3050
        .size:           1
        .value_kind:     by_value
      - .offset:         3056
        .size:           4
        .value_kind:     hidden_block_count_x
      - .offset:         3060
        .size:           4
        .value_kind:     hidden_block_count_y
      - .offset:         3064
        .size:           4
        .value_kind:     hidden_block_count_z
      - .offset:         3068
        .size:           2
        .value_kind:     hidden_group_size_x
      - .offset:         3070
        .size:           2
        .value_kind:     hidden_group_size_y
      - .offset:         3072
        .size:           2
        .value_kind:     hidden_group_size_z
      - .offset:         3074
        .size:           2
        .value_kind:     hidden_remainder_x
      - .offset:         3076
        .size:           2
        .value_kind:     hidden_remainder_y
      - .offset:         3078
        .size:           2
        .value_kind:     hidden_remainder_z
      - .offset:         3096
        .size:           8
        .value_kind:     hidden_global_offset_x
      - .offset:         3104
        .size:           8
        .value_kind:     hidden_global_offset_y
      - .offset:         3112
        .size:           8
        .value_kind:     hidden_global_offset_z
      - .offset:         3120
        .size:           2
        .value_kind:     hidden_grid_dims
    .group_segment_fixed_size: 0
    .kernarg_segment_align: 8
    .kernarg_segment_size: 3312
    .language:       OpenCL C
    .language_version:
      - 2
      - 0
    .max_flat_workgroup_size: 512
    .name:           _ZN2at6native12_GLOBAL__N_125multi_tensor_apply_kernelINS1_18TensorListMetadataILi4EEENS1_32PointwiseOpScalar0dTensorFunctorIaLi4ELi2ELi3EEEJSt7dividesIaEaEEEvT_T0_DpT1_
    .private_segment_fixed_size: 0
    .sgpr_count:     27
    .sgpr_spill_count: 0
    .symbol:         _ZN2at6native12_GLOBAL__N_125multi_tensor_apply_kernelINS1_18TensorListMetadataILi4EEENS1_32PointwiseOpScalar0dTensorFunctorIaLi4ELi2ELi3EEEJSt7dividesIaEaEEEvT_T0_DpT1_.kd
    .uniform_work_group_size: 1
    .uses_dynamic_stack: false
    .vgpr_count:     47
    .vgpr_spill_count: 0
    .wavefront_size: 64
  - .args:
      - .offset:         0
        .size:           3048
        .value_kind:     by_value
      - .offset:         3048
        .size:           1
        .value_kind:     by_value
      - .offset:         3049
        .size:           1
        .value_kind:     by_value
      - .offset:         3052
        .size:           4
        .value_kind:     by_value
      - .offset:         3056
        .size:           4
        .value_kind:     hidden_block_count_x
      - .offset:         3060
        .size:           4
        .value_kind:     hidden_block_count_y
      - .offset:         3064
        .size:           4
        .value_kind:     hidden_block_count_z
      - .offset:         3068
        .size:           2
        .value_kind:     hidden_group_size_x
      - .offset:         3070
        .size:           2
        .value_kind:     hidden_group_size_y
      - .offset:         3072
        .size:           2
        .value_kind:     hidden_group_size_z
      - .offset:         3074
        .size:           2
        .value_kind:     hidden_remainder_x
      - .offset:         3076
        .size:           2
        .value_kind:     hidden_remainder_y
      - .offset:         3078
        .size:           2
        .value_kind:     hidden_remainder_z
      - .offset:         3096
        .size:           8
        .value_kind:     hidden_global_offset_x
      - .offset:         3104
        .size:           8
        .value_kind:     hidden_global_offset_y
      - .offset:         3112
        .size:           8
        .value_kind:     hidden_global_offset_z
      - .offset:         3120
        .size:           2
        .value_kind:     hidden_grid_dims
    .group_segment_fixed_size: 0
    .kernarg_segment_align: 8
    .kernarg_segment_size: 3312
    .language:       OpenCL C
    .language_version:
      - 2
      - 0
    .max_flat_workgroup_size: 512
    .name:           _ZN2at6native12_GLOBAL__N_125multi_tensor_apply_kernelINS1_18TensorListMetadataILi4EEENS1_32PointwiseOpScalar0dTensorFunctorIiLi4ELi2ELi3EEEJSt7dividesIiEiEEEvT_T0_DpT1_
    .private_segment_fixed_size: 0
    .sgpr_count:     41
    .sgpr_spill_count: 0
    .symbol:         _ZN2at6native12_GLOBAL__N_125multi_tensor_apply_kernelINS1_18TensorListMetadataILi4EEENS1_32PointwiseOpScalar0dTensorFunctorIiLi4ELi2ELi3EEEJSt7dividesIiEiEEEvT_T0_DpT1_.kd
    .uniform_work_group_size: 1
    .uses_dynamic_stack: false
    .vgpr_count:     31
    .vgpr_spill_count: 0
    .wavefront_size: 64
  - .args:
      - .offset:         0
        .size:           3048
        .value_kind:     by_value
      - .offset:         3048
        .size:           1
        .value_kind:     by_value
      - .offset:         3049
        .size:           1
        .value_kind:     by_value
      - .offset:         3056
        .size:           8
        .value_kind:     by_value
      - .offset:         3064
        .size:           4
        .value_kind:     hidden_block_count_x
      - .offset:         3068
        .size:           4
        .value_kind:     hidden_block_count_y
      - .offset:         3072
        .size:           4
        .value_kind:     hidden_block_count_z
      - .offset:         3076
        .size:           2
        .value_kind:     hidden_group_size_x
      - .offset:         3078
        .size:           2
        .value_kind:     hidden_group_size_y
      - .offset:         3080
        .size:           2
        .value_kind:     hidden_group_size_z
      - .offset:         3082
        .size:           2
        .value_kind:     hidden_remainder_x
      - .offset:         3084
        .size:           2
        .value_kind:     hidden_remainder_y
      - .offset:         3086
        .size:           2
        .value_kind:     hidden_remainder_z
      - .offset:         3104
        .size:           8
        .value_kind:     hidden_global_offset_x
      - .offset:         3112
        .size:           8
        .value_kind:     hidden_global_offset_y
      - .offset:         3120
        .size:           8
        .value_kind:     hidden_global_offset_z
      - .offset:         3128
        .size:           2
        .value_kind:     hidden_grid_dims
    .group_segment_fixed_size: 0
    .kernarg_segment_align: 8
    .kernarg_segment_size: 3320
    .language:       OpenCL C
    .language_version:
      - 2
      - 0
    .max_flat_workgroup_size: 512
    .name:           _ZN2at6native12_GLOBAL__N_125multi_tensor_apply_kernelINS1_18TensorListMetadataILi4EEENS1_32PointwiseOpScalar0dTensorFunctorIlLi4ELi2ELi3EEEJSt7dividesIlElEEEvT_T0_DpT1_
    .private_segment_fixed_size: 0
    .sgpr_count:     42
    .sgpr_spill_count: 0
    .symbol:         _ZN2at6native12_GLOBAL__N_125multi_tensor_apply_kernelINS1_18TensorListMetadataILi4EEENS1_32PointwiseOpScalar0dTensorFunctorIlLi4ELi2ELi3EEEJSt7dividesIlElEEEvT_T0_DpT1_.kd
    .uniform_work_group_size: 1
    .uses_dynamic_stack: false
    .vgpr_count:     46
    .vgpr_spill_count: 0
    .wavefront_size: 64
  - .args:
      - .offset:         0
        .size:           3048
        .value_kind:     by_value
      - .offset:         3048
        .size:           1
        .value_kind:     by_value
      - .offset:         3049
        .size:           1
        .value_kind:     by_value
      - .offset:         3050
        .size:           2
        .value_kind:     by_value
      - .offset:         3056
        .size:           4
        .value_kind:     hidden_block_count_x
      - .offset:         3060
        .size:           4
        .value_kind:     hidden_block_count_y
      - .offset:         3064
        .size:           4
        .value_kind:     hidden_block_count_z
      - .offset:         3068
        .size:           2
        .value_kind:     hidden_group_size_x
      - .offset:         3070
        .size:           2
        .value_kind:     hidden_group_size_y
      - .offset:         3072
        .size:           2
        .value_kind:     hidden_group_size_z
      - .offset:         3074
        .size:           2
        .value_kind:     hidden_remainder_x
      - .offset:         3076
        .size:           2
        .value_kind:     hidden_remainder_y
      - .offset:         3078
        .size:           2
        .value_kind:     hidden_remainder_z
      - .offset:         3096
        .size:           8
        .value_kind:     hidden_global_offset_x
      - .offset:         3104
        .size:           8
        .value_kind:     hidden_global_offset_y
      - .offset:         3112
        .size:           8
        .value_kind:     hidden_global_offset_z
      - .offset:         3120
        .size:           2
        .value_kind:     hidden_grid_dims
    .group_segment_fixed_size: 0
    .kernarg_segment_align: 8
    .kernarg_segment_size: 3312
    .language:       OpenCL C
    .language_version:
      - 2
      - 0
    .max_flat_workgroup_size: 512
    .name:           _ZN2at6native12_GLOBAL__N_125multi_tensor_apply_kernelINS1_18TensorListMetadataILi4EEENS1_32PointwiseOpScalar0dTensorFunctorIsLi4ELi2ELi3EEEJSt7dividesIsEsEEEvT_T0_DpT1_
    .private_segment_fixed_size: 0
    .sgpr_count:     40
    .sgpr_spill_count: 0
    .symbol:         _ZN2at6native12_GLOBAL__N_125multi_tensor_apply_kernelINS1_18TensorListMetadataILi4EEENS1_32PointwiseOpScalar0dTensorFunctorIsLi4ELi2ELi3EEEJSt7dividesIsEsEEEvT_T0_DpT1_.kd
    .uniform_work_group_size: 1
    .uses_dynamic_stack: false
    .vgpr_count:     21
    .vgpr_spill_count: 0
    .wavefront_size: 64
  - .args:
      - .offset:         0
        .size:           3048
        .value_kind:     by_value
      - .offset:         3048
        .size:           1
        .value_kind:     by_value
      - .offset:         3049
        .size:           1
        .value_kind:     by_value
      - .offset:         3056
        .size:           8
        .value_kind:     by_value
      - .offset:         3064
        .size:           4
        .value_kind:     hidden_block_count_x
      - .offset:         3068
        .size:           4
        .value_kind:     hidden_block_count_y
      - .offset:         3072
        .size:           4
        .value_kind:     hidden_block_count_z
      - .offset:         3076
        .size:           2
        .value_kind:     hidden_group_size_x
      - .offset:         3078
        .size:           2
        .value_kind:     hidden_group_size_y
      - .offset:         3080
        .size:           2
        .value_kind:     hidden_group_size_z
      - .offset:         3082
        .size:           2
        .value_kind:     hidden_remainder_x
      - .offset:         3084
        .size:           2
        .value_kind:     hidden_remainder_y
      - .offset:         3086
        .size:           2
        .value_kind:     hidden_remainder_z
      - .offset:         3104
        .size:           8
        .value_kind:     hidden_global_offset_x
      - .offset:         3112
        .size:           8
        .value_kind:     hidden_global_offset_y
      - .offset:         3120
        .size:           8
        .value_kind:     hidden_global_offset_z
      - .offset:         3128
        .size:           2
        .value_kind:     hidden_grid_dims
    .group_segment_fixed_size: 0
    .kernarg_segment_align: 8
    .kernarg_segment_size: 3320
    .language:       OpenCL C
    .language_version:
      - 2
      - 0
    .max_flat_workgroup_size: 512
    .name:           _ZN2at6native12_GLOBAL__N_125multi_tensor_apply_kernelINS1_18TensorListMetadataILi4EEENS1_32PointwiseOpScalar0dTensorFunctorIdLi4ELi2ELi3EEEJSt7dividesIdEdEEEvT_T0_DpT1_
    .private_segment_fixed_size: 0
    .sgpr_count:     42
    .sgpr_spill_count: 0
    .symbol:         _ZN2at6native12_GLOBAL__N_125multi_tensor_apply_kernelINS1_18TensorListMetadataILi4EEENS1_32PointwiseOpScalar0dTensorFunctorIdLi4ELi2ELi3EEEJSt7dividesIdEdEEEvT_T0_DpT1_.kd
    .uniform_work_group_size: 1
    .uses_dynamic_stack: false
    .vgpr_count:     34
    .vgpr_spill_count: 0
    .wavefront_size: 64
  - .args:
      - .offset:         0
        .size:           3048
        .value_kind:     by_value
      - .offset:         3048
        .size:           1
        .value_kind:     by_value
      - .offset:         3049
        .size:           1
        .value_kind:     by_value
      - .offset:         3052
        .size:           4
        .value_kind:     by_value
      - .offset:         3056
        .size:           4
        .value_kind:     hidden_block_count_x
      - .offset:         3060
        .size:           4
        .value_kind:     hidden_block_count_y
      - .offset:         3064
        .size:           4
        .value_kind:     hidden_block_count_z
      - .offset:         3068
        .size:           2
        .value_kind:     hidden_group_size_x
      - .offset:         3070
        .size:           2
        .value_kind:     hidden_group_size_y
      - .offset:         3072
        .size:           2
        .value_kind:     hidden_group_size_z
      - .offset:         3074
        .size:           2
        .value_kind:     hidden_remainder_x
      - .offset:         3076
        .size:           2
        .value_kind:     hidden_remainder_y
      - .offset:         3078
        .size:           2
        .value_kind:     hidden_remainder_z
      - .offset:         3096
        .size:           8
        .value_kind:     hidden_global_offset_x
      - .offset:         3104
        .size:           8
        .value_kind:     hidden_global_offset_y
      - .offset:         3112
        .size:           8
        .value_kind:     hidden_global_offset_z
      - .offset:         3120
        .size:           2
        .value_kind:     hidden_grid_dims
    .group_segment_fixed_size: 0
    .kernarg_segment_align: 8
    .kernarg_segment_size: 3312
    .language:       OpenCL C
    .language_version:
      - 2
      - 0
    .max_flat_workgroup_size: 512
    .name:           _ZN2at6native12_GLOBAL__N_125multi_tensor_apply_kernelINS1_18TensorListMetadataILi4EEENS1_32PointwiseOpScalar0dTensorFunctorIfLi4ELi2ELi3EEEJSt7dividesIfEfEEEvT_T0_DpT1_
    .private_segment_fixed_size: 0
    .sgpr_count:     41
    .sgpr_spill_count: 0
    .symbol:         _ZN2at6native12_GLOBAL__N_125multi_tensor_apply_kernelINS1_18TensorListMetadataILi4EEENS1_32PointwiseOpScalar0dTensorFunctorIfLi4ELi2ELi3EEEJSt7dividesIfEfEEEvT_T0_DpT1_.kd
    .uniform_work_group_size: 1
    .uses_dynamic_stack: false
    .vgpr_count:     24
    .vgpr_spill_count: 0
    .wavefront_size: 64
  - .args:
      - .offset:         0
        .size:           3048
        .value_kind:     by_value
      - .offset:         3048
        .size:           1
        .value_kind:     by_value
      - .offset:         3049
        .size:           1
        .value_kind:     by_value
      - .offset:         3056
        .size:           16
        .value_kind:     by_value
      - .offset:         3072
        .size:           4
        .value_kind:     hidden_block_count_x
      - .offset:         3076
        .size:           4
        .value_kind:     hidden_block_count_y
      - .offset:         3080
        .size:           4
        .value_kind:     hidden_block_count_z
      - .offset:         3084
        .size:           2
        .value_kind:     hidden_group_size_x
      - .offset:         3086
        .size:           2
        .value_kind:     hidden_group_size_y
      - .offset:         3088
        .size:           2
        .value_kind:     hidden_group_size_z
      - .offset:         3090
        .size:           2
        .value_kind:     hidden_remainder_x
      - .offset:         3092
        .size:           2
        .value_kind:     hidden_remainder_y
      - .offset:         3094
        .size:           2
        .value_kind:     hidden_remainder_z
      - .offset:         3112
        .size:           8
        .value_kind:     hidden_global_offset_x
      - .offset:         3120
        .size:           8
        .value_kind:     hidden_global_offset_y
      - .offset:         3128
        .size:           8
        .value_kind:     hidden_global_offset_z
      - .offset:         3136
        .size:           2
        .value_kind:     hidden_grid_dims
    .group_segment_fixed_size: 0
    .kernarg_segment_align: 16
    .kernarg_segment_size: 3328
    .language:       OpenCL C
    .language_version:
      - 2
      - 0
    .max_flat_workgroup_size: 512
    .name:           _ZN2at6native12_GLOBAL__N_125multi_tensor_apply_kernelINS1_18TensorListMetadataILi4EEENS1_32PointwiseOpScalar0dTensorFunctorIN3c107complexIdEELi4ELi2ELi3EEEJSt7dividesIS8_ES8_EEEvT_T0_DpT1_
    .private_segment_fixed_size: 0
    .sgpr_count:     49
    .sgpr_spill_count: 0
    .symbol:         _ZN2at6native12_GLOBAL__N_125multi_tensor_apply_kernelINS1_18TensorListMetadataILi4EEENS1_32PointwiseOpScalar0dTensorFunctorIN3c107complexIdEELi4ELi2ELi3EEEJSt7dividesIS8_ES8_EEEvT_T0_DpT1_.kd
    .uniform_work_group_size: 1
    .uses_dynamic_stack: false
    .vgpr_count:     61
    .vgpr_spill_count: 0
    .wavefront_size: 64
  - .args:
      - .offset:         0
        .size:           3048
        .value_kind:     by_value
      - .offset:         3048
        .size:           1
        .value_kind:     by_value
      - .offset:         3049
        .size:           1
        .value_kind:     by_value
      - .offset:         3056
        .size:           8
        .value_kind:     by_value
      - .offset:         3064
        .size:           4
        .value_kind:     hidden_block_count_x
      - .offset:         3068
        .size:           4
        .value_kind:     hidden_block_count_y
      - .offset:         3072
        .size:           4
        .value_kind:     hidden_block_count_z
      - .offset:         3076
        .size:           2
        .value_kind:     hidden_group_size_x
      - .offset:         3078
        .size:           2
        .value_kind:     hidden_group_size_y
      - .offset:         3080
        .size:           2
        .value_kind:     hidden_group_size_z
      - .offset:         3082
        .size:           2
        .value_kind:     hidden_remainder_x
      - .offset:         3084
        .size:           2
        .value_kind:     hidden_remainder_y
      - .offset:         3086
        .size:           2
        .value_kind:     hidden_remainder_z
      - .offset:         3104
        .size:           8
        .value_kind:     hidden_global_offset_x
      - .offset:         3112
        .size:           8
        .value_kind:     hidden_global_offset_y
      - .offset:         3120
        .size:           8
        .value_kind:     hidden_global_offset_z
      - .offset:         3128
        .size:           2
        .value_kind:     hidden_grid_dims
    .group_segment_fixed_size: 0
    .kernarg_segment_align: 8
    .kernarg_segment_size: 3320
    .language:       OpenCL C
    .language_version:
      - 2
      - 0
    .max_flat_workgroup_size: 512
    .name:           _ZN2at6native12_GLOBAL__N_125multi_tensor_apply_kernelINS1_18TensorListMetadataILi4EEENS1_32PointwiseOpScalar0dTensorFunctorIN3c107complexIfEELi4ELi2ELi3EEEJSt7dividesIS8_ES8_EEEvT_T0_DpT1_
    .private_segment_fixed_size: 0
    .sgpr_count:     45
    .sgpr_spill_count: 0
    .symbol:         _ZN2at6native12_GLOBAL__N_125multi_tensor_apply_kernelINS1_18TensorListMetadataILi4EEENS1_32PointwiseOpScalar0dTensorFunctorIN3c107complexIfEELi4ELi2ELi3EEEJSt7dividesIS8_ES8_EEEvT_T0_DpT1_.kd
    .uniform_work_group_size: 1
    .uses_dynamic_stack: false
    .vgpr_count:     35
    .vgpr_spill_count: 0
    .wavefront_size: 64
  - .args:
      - .offset:         0
        .size:           3048
        .value_kind:     by_value
      - .offset:         3048
        .size:           1
        .value_kind:     by_value
      - .offset:         3049
        .size:           1
        .value_kind:     by_value
      - .offset:         3052
        .size:           4
        .value_kind:     by_value
      - .offset:         3056
        .size:           4
        .value_kind:     hidden_block_count_x
      - .offset:         3060
        .size:           4
        .value_kind:     hidden_block_count_y
      - .offset:         3064
        .size:           4
        .value_kind:     hidden_block_count_z
      - .offset:         3068
        .size:           2
        .value_kind:     hidden_group_size_x
      - .offset:         3070
        .size:           2
        .value_kind:     hidden_group_size_y
      - .offset:         3072
        .size:           2
        .value_kind:     hidden_group_size_z
      - .offset:         3074
        .size:           2
        .value_kind:     hidden_remainder_x
      - .offset:         3076
        .size:           2
        .value_kind:     hidden_remainder_y
      - .offset:         3078
        .size:           2
        .value_kind:     hidden_remainder_z
      - .offset:         3096
        .size:           8
        .value_kind:     hidden_global_offset_x
      - .offset:         3104
        .size:           8
        .value_kind:     hidden_global_offset_y
      - .offset:         3112
        .size:           8
        .value_kind:     hidden_global_offset_z
      - .offset:         3120
        .size:           2
        .value_kind:     hidden_grid_dims
    .group_segment_fixed_size: 0
    .kernarg_segment_align: 8
    .kernarg_segment_size: 3312
    .language:       OpenCL C
    .language_version:
      - 2
      - 0
    .max_flat_workgroup_size: 512
    .name:           _ZN2at6native12_GLOBAL__N_125multi_tensor_apply_kernelINS1_18TensorListMetadataILi4EEENS1_32PointwiseOpScalar0dTensorFunctorIN3c104HalfELi4ELi2ELi3EEEJSt7dividesIfEfEEEvT_T0_DpT1_
    .private_segment_fixed_size: 0
    .sgpr_count:     38
    .sgpr_spill_count: 0
    .symbol:         _ZN2at6native12_GLOBAL__N_125multi_tensor_apply_kernelINS1_18TensorListMetadataILi4EEENS1_32PointwiseOpScalar0dTensorFunctorIN3c104HalfELi4ELi2ELi3EEEJSt7dividesIfEfEEEvT_T0_DpT1_.kd
    .uniform_work_group_size: 1
    .uses_dynamic_stack: false
    .vgpr_count:     23
    .vgpr_spill_count: 0
    .wavefront_size: 64
  - .args:
      - .offset:         0
        .size:           3048
        .value_kind:     by_value
      - .offset:         3048
        .size:           1
        .value_kind:     by_value
      - .offset:         3049
        .size:           1
        .value_kind:     by_value
      - .offset:         3052
        .size:           4
        .value_kind:     by_value
      - .offset:         3056
        .size:           4
        .value_kind:     hidden_block_count_x
      - .offset:         3060
        .size:           4
        .value_kind:     hidden_block_count_y
      - .offset:         3064
        .size:           4
        .value_kind:     hidden_block_count_z
      - .offset:         3068
        .size:           2
        .value_kind:     hidden_group_size_x
      - .offset:         3070
        .size:           2
        .value_kind:     hidden_group_size_y
      - .offset:         3072
        .size:           2
        .value_kind:     hidden_group_size_z
      - .offset:         3074
        .size:           2
        .value_kind:     hidden_remainder_x
      - .offset:         3076
        .size:           2
        .value_kind:     hidden_remainder_y
      - .offset:         3078
        .size:           2
        .value_kind:     hidden_remainder_z
      - .offset:         3096
        .size:           8
        .value_kind:     hidden_global_offset_x
      - .offset:         3104
        .size:           8
        .value_kind:     hidden_global_offset_y
      - .offset:         3112
        .size:           8
        .value_kind:     hidden_global_offset_z
      - .offset:         3120
        .size:           2
        .value_kind:     hidden_grid_dims
    .group_segment_fixed_size: 0
    .kernarg_segment_align: 8
    .kernarg_segment_size: 3312
    .language:       OpenCL C
    .language_version:
      - 2
      - 0
    .max_flat_workgroup_size: 512
    .name:           _ZN2at6native12_GLOBAL__N_125multi_tensor_apply_kernelINS1_18TensorListMetadataILi4EEENS1_32PointwiseOpScalar0dTensorFunctorIN3c108BFloat16ELi4ELi2ELi3EEEJSt7dividesIfEfEEEvT_T0_DpT1_
    .private_segment_fixed_size: 0
    .sgpr_count:     38
    .sgpr_spill_count: 0
    .symbol:         _ZN2at6native12_GLOBAL__N_125multi_tensor_apply_kernelINS1_18TensorListMetadataILi4EEENS1_32PointwiseOpScalar0dTensorFunctorIN3c108BFloat16ELi4ELi2ELi3EEEJSt7dividesIfEfEEEvT_T0_DpT1_.kd
    .uniform_work_group_size: 1
    .uses_dynamic_stack: false
    .vgpr_count:     25
    .vgpr_spill_count: 0
    .wavefront_size: 64
  - .args:
      - .offset:         0
        .size:           3144
        .value_kind:     by_value
      - .offset:         3144
        .size:           1
        .value_kind:     by_value
      - .offset:         3145
        .size:           1
        .value_kind:     by_value
      - .offset:         3146
        .size:           1
        .value_kind:     by_value
      - .offset:         3152
        .size:           4
        .value_kind:     hidden_block_count_x
      - .offset:         3156
        .size:           4
        .value_kind:     hidden_block_count_y
      - .offset:         3160
        .size:           4
        .value_kind:     hidden_block_count_z
      - .offset:         3164
        .size:           2
        .value_kind:     hidden_group_size_x
      - .offset:         3166
        .size:           2
        .value_kind:     hidden_group_size_y
      - .offset:         3168
        .size:           2
        .value_kind:     hidden_group_size_z
      - .offset:         3170
        .size:           2
        .value_kind:     hidden_remainder_x
      - .offset:         3172
        .size:           2
        .value_kind:     hidden_remainder_y
      - .offset:         3174
        .size:           2
        .value_kind:     hidden_remainder_z
      - .offset:         3192
        .size:           8
        .value_kind:     hidden_global_offset_x
      - .offset:         3200
        .size:           8
        .value_kind:     hidden_global_offset_y
      - .offset:         3208
        .size:           8
        .value_kind:     hidden_global_offset_z
      - .offset:         3216
        .size:           2
        .value_kind:     hidden_grid_dims
    .group_segment_fixed_size: 0
    .kernarg_segment_align: 8
    .kernarg_segment_size: 3408
    .language:       OpenCL C
    .language_version:
      - 2
      - 0
    .max_flat_workgroup_size: 512
    .name:           _ZN2at6native12_GLOBAL__N_125multi_tensor_apply_kernelINS1_18TensorListMetadataILi3EEENS1_24PointwiseOpScalarFunctorIhLi3ELi3ELi0EEEJSt7dividesIhEhEEEvT_T0_DpT1_
    .private_segment_fixed_size: 0
    .sgpr_count:     29
    .sgpr_spill_count: 0
    .symbol:         _ZN2at6native12_GLOBAL__N_125multi_tensor_apply_kernelINS1_18TensorListMetadataILi3EEENS1_24PointwiseOpScalarFunctorIhLi3ELi3ELi0EEEJSt7dividesIhEhEEEvT_T0_DpT1_.kd
    .uniform_work_group_size: 1
    .uses_dynamic_stack: false
    .vgpr_count:     46
    .vgpr_spill_count: 0
    .wavefront_size: 64
  - .args:
      - .offset:         0
        .size:           3144
        .value_kind:     by_value
      - .offset:         3144
        .size:           1
        .value_kind:     by_value
      - .offset:         3145
        .size:           1
        .value_kind:     by_value
      - .offset:         3146
        .size:           1
        .value_kind:     by_value
      - .offset:         3152
        .size:           4
        .value_kind:     hidden_block_count_x
      - .offset:         3156
        .size:           4
        .value_kind:     hidden_block_count_y
      - .offset:         3160
        .size:           4
        .value_kind:     hidden_block_count_z
      - .offset:         3164
        .size:           2
        .value_kind:     hidden_group_size_x
      - .offset:         3166
        .size:           2
        .value_kind:     hidden_group_size_y
      - .offset:         3168
        .size:           2
        .value_kind:     hidden_group_size_z
      - .offset:         3170
        .size:           2
        .value_kind:     hidden_remainder_x
      - .offset:         3172
        .size:           2
        .value_kind:     hidden_remainder_y
      - .offset:         3174
        .size:           2
        .value_kind:     hidden_remainder_z
      - .offset:         3192
        .size:           8
        .value_kind:     hidden_global_offset_x
      - .offset:         3200
        .size:           8
        .value_kind:     hidden_global_offset_y
      - .offset:         3208
        .size:           8
        .value_kind:     hidden_global_offset_z
      - .offset:         3216
        .size:           2
        .value_kind:     hidden_grid_dims
    .group_segment_fixed_size: 0
    .kernarg_segment_align: 8
    .kernarg_segment_size: 3408
    .language:       OpenCL C
    .language_version:
      - 2
      - 0
    .max_flat_workgroup_size: 512
    .name:           _ZN2at6native12_GLOBAL__N_125multi_tensor_apply_kernelINS1_18TensorListMetadataILi3EEENS1_24PointwiseOpScalarFunctorIaLi3ELi3ELi0EEEJSt7dividesIaEaEEEvT_T0_DpT1_
    .private_segment_fixed_size: 0
    .sgpr_count:     40
    .sgpr_spill_count: 0
    .symbol:         _ZN2at6native12_GLOBAL__N_125multi_tensor_apply_kernelINS1_18TensorListMetadataILi3EEENS1_24PointwiseOpScalarFunctorIaLi3ELi3ELi0EEEJSt7dividesIaEaEEEvT_T0_DpT1_.kd
    .uniform_work_group_size: 1
    .uses_dynamic_stack: false
    .vgpr_count:     47
    .vgpr_spill_count: 0
    .wavefront_size: 64
  - .args:
      - .offset:         0
        .size:           3144
        .value_kind:     by_value
      - .offset:         3144
        .size:           1
        .value_kind:     by_value
      - .offset:         3145
        .size:           1
        .value_kind:     by_value
      - .offset:         3148
        .size:           4
        .value_kind:     by_value
      - .offset:         3152
        .size:           4
        .value_kind:     hidden_block_count_x
      - .offset:         3156
        .size:           4
        .value_kind:     hidden_block_count_y
      - .offset:         3160
        .size:           4
        .value_kind:     hidden_block_count_z
      - .offset:         3164
        .size:           2
        .value_kind:     hidden_group_size_x
      - .offset:         3166
        .size:           2
        .value_kind:     hidden_group_size_y
      - .offset:         3168
        .size:           2
        .value_kind:     hidden_group_size_z
      - .offset:         3170
        .size:           2
        .value_kind:     hidden_remainder_x
      - .offset:         3172
        .size:           2
        .value_kind:     hidden_remainder_y
      - .offset:         3174
        .size:           2
        .value_kind:     hidden_remainder_z
      - .offset:         3192
        .size:           8
        .value_kind:     hidden_global_offset_x
      - .offset:         3200
        .size:           8
        .value_kind:     hidden_global_offset_y
      - .offset:         3208
        .size:           8
        .value_kind:     hidden_global_offset_z
      - .offset:         3216
        .size:           2
        .value_kind:     hidden_grid_dims
    .group_segment_fixed_size: 0
    .kernarg_segment_align: 8
    .kernarg_segment_size: 3408
    .language:       OpenCL C
    .language_version:
      - 2
      - 0
    .max_flat_workgroup_size: 512
    .name:           _ZN2at6native12_GLOBAL__N_125multi_tensor_apply_kernelINS1_18TensorListMetadataILi3EEENS1_24PointwiseOpScalarFunctorIiLi3ELi3ELi0EEEJSt7dividesIiEiEEEvT_T0_DpT1_
    .private_segment_fixed_size: 0
    .sgpr_count:     34
    .sgpr_spill_count: 0
    .symbol:         _ZN2at6native12_GLOBAL__N_125multi_tensor_apply_kernelINS1_18TensorListMetadataILi3EEENS1_24PointwiseOpScalarFunctorIiLi3ELi3ELi0EEEJSt7dividesIiEiEEEvT_T0_DpT1_.kd
    .uniform_work_group_size: 1
    .uses_dynamic_stack: false
    .vgpr_count:     59
    .vgpr_spill_count: 0
    .wavefront_size: 64
  - .args:
      - .offset:         0
        .size:           3144
        .value_kind:     by_value
      - .offset:         3144
        .size:           1
        .value_kind:     by_value
      - .offset:         3145
        .size:           1
        .value_kind:     by_value
      - .offset:         3152
        .size:           8
        .value_kind:     by_value
      - .offset:         3160
        .size:           4
        .value_kind:     hidden_block_count_x
      - .offset:         3164
        .size:           4
        .value_kind:     hidden_block_count_y
      - .offset:         3168
        .size:           4
        .value_kind:     hidden_block_count_z
      - .offset:         3172
        .size:           2
        .value_kind:     hidden_group_size_x
      - .offset:         3174
        .size:           2
        .value_kind:     hidden_group_size_y
      - .offset:         3176
        .size:           2
        .value_kind:     hidden_group_size_z
      - .offset:         3178
        .size:           2
        .value_kind:     hidden_remainder_x
      - .offset:         3180
        .size:           2
        .value_kind:     hidden_remainder_y
      - .offset:         3182
        .size:           2
        .value_kind:     hidden_remainder_z
      - .offset:         3200
        .size:           8
        .value_kind:     hidden_global_offset_x
      - .offset:         3208
        .size:           8
        .value_kind:     hidden_global_offset_y
      - .offset:         3216
        .size:           8
        .value_kind:     hidden_global_offset_z
      - .offset:         3224
        .size:           2
        .value_kind:     hidden_grid_dims
    .group_segment_fixed_size: 0
    .kernarg_segment_align: 8
    .kernarg_segment_size: 3416
    .language:       OpenCL C
    .language_version:
      - 2
      - 0
    .max_flat_workgroup_size: 512
    .name:           _ZN2at6native12_GLOBAL__N_125multi_tensor_apply_kernelINS1_18TensorListMetadataILi3EEENS1_24PointwiseOpScalarFunctorIlLi3ELi3ELi0EEEJSt7dividesIlElEEEvT_T0_DpT1_
    .private_segment_fixed_size: 0
    .sgpr_count:     36
    .sgpr_spill_count: 0
    .symbol:         _ZN2at6native12_GLOBAL__N_125multi_tensor_apply_kernelINS1_18TensorListMetadataILi3EEENS1_24PointwiseOpScalarFunctorIlLi3ELi3ELi0EEEJSt7dividesIlElEEEvT_T0_DpT1_.kd
    .uniform_work_group_size: 1
    .uses_dynamic_stack: false
    .vgpr_count:     70
    .vgpr_spill_count: 0
    .wavefront_size: 64
  - .args:
      - .offset:         0
        .size:           3144
        .value_kind:     by_value
      - .offset:         3144
        .size:           1
        .value_kind:     by_value
      - .offset:         3145
        .size:           1
        .value_kind:     by_value
      - .offset:         3146
        .size:           2
        .value_kind:     by_value
      - .offset:         3152
        .size:           4
        .value_kind:     hidden_block_count_x
      - .offset:         3156
        .size:           4
        .value_kind:     hidden_block_count_y
      - .offset:         3160
        .size:           4
        .value_kind:     hidden_block_count_z
      - .offset:         3164
        .size:           2
        .value_kind:     hidden_group_size_x
      - .offset:         3166
        .size:           2
        .value_kind:     hidden_group_size_y
      - .offset:         3168
        .size:           2
        .value_kind:     hidden_group_size_z
      - .offset:         3170
        .size:           2
        .value_kind:     hidden_remainder_x
      - .offset:         3172
        .size:           2
        .value_kind:     hidden_remainder_y
      - .offset:         3174
        .size:           2
        .value_kind:     hidden_remainder_z
      - .offset:         3192
        .size:           8
        .value_kind:     hidden_global_offset_x
      - .offset:         3200
        .size:           8
        .value_kind:     hidden_global_offset_y
      - .offset:         3208
        .size:           8
        .value_kind:     hidden_global_offset_z
      - .offset:         3216
        .size:           2
        .value_kind:     hidden_grid_dims
    .group_segment_fixed_size: 0
    .kernarg_segment_align: 8
    .kernarg_segment_size: 3408
    .language:       OpenCL C
    .language_version:
      - 2
      - 0
    .max_flat_workgroup_size: 512
    .name:           _ZN2at6native12_GLOBAL__N_125multi_tensor_apply_kernelINS1_18TensorListMetadataILi3EEENS1_24PointwiseOpScalarFunctorIsLi3ELi3ELi0EEEJSt7dividesIsEsEEEvT_T0_DpT1_
    .private_segment_fixed_size: 0
    .sgpr_count:     40
    .sgpr_spill_count: 0
    .symbol:         _ZN2at6native12_GLOBAL__N_125multi_tensor_apply_kernelINS1_18TensorListMetadataILi3EEENS1_24PointwiseOpScalarFunctorIsLi3ELi3ELi0EEEJSt7dividesIsEsEEEvT_T0_DpT1_.kd
    .uniform_work_group_size: 1
    .uses_dynamic_stack: false
    .vgpr_count:     47
    .vgpr_spill_count: 0
    .wavefront_size: 64
  - .args:
      - .offset:         0
        .size:           3144
        .value_kind:     by_value
      - .offset:         3144
        .size:           1
        .value_kind:     by_value
      - .offset:         3145
        .size:           1
        .value_kind:     by_value
      - .offset:         3152
        .size:           8
        .value_kind:     by_value
      - .offset:         3160
        .size:           4
        .value_kind:     hidden_block_count_x
      - .offset:         3164
        .size:           4
        .value_kind:     hidden_block_count_y
      - .offset:         3168
        .size:           4
        .value_kind:     hidden_block_count_z
      - .offset:         3172
        .size:           2
        .value_kind:     hidden_group_size_x
      - .offset:         3174
        .size:           2
        .value_kind:     hidden_group_size_y
      - .offset:         3176
        .size:           2
        .value_kind:     hidden_group_size_z
      - .offset:         3178
        .size:           2
        .value_kind:     hidden_remainder_x
      - .offset:         3180
        .size:           2
        .value_kind:     hidden_remainder_y
      - .offset:         3182
        .size:           2
        .value_kind:     hidden_remainder_z
      - .offset:         3200
        .size:           8
        .value_kind:     hidden_global_offset_x
      - .offset:         3208
        .size:           8
        .value_kind:     hidden_global_offset_y
      - .offset:         3216
        .size:           8
        .value_kind:     hidden_global_offset_z
      - .offset:         3224
        .size:           2
        .value_kind:     hidden_grid_dims
    .group_segment_fixed_size: 0
    .kernarg_segment_align: 8
    .kernarg_segment_size: 3416
    .language:       OpenCL C
    .language_version:
      - 2
      - 0
    .max_flat_workgroup_size: 512
    .name:           _ZN2at6native12_GLOBAL__N_125multi_tensor_apply_kernelINS1_18TensorListMetadataILi3EEENS1_24PointwiseOpScalarFunctorIdLi3ELi3ELi0EEEJSt7dividesIdEdEEEvT_T0_DpT1_
    .private_segment_fixed_size: 0
    .sgpr_count:     39
    .sgpr_spill_count: 0
    .symbol:         _ZN2at6native12_GLOBAL__N_125multi_tensor_apply_kernelINS1_18TensorListMetadataILi3EEENS1_24PointwiseOpScalarFunctorIdLi3ELi3ELi0EEEJSt7dividesIdEdEEEvT_T0_DpT1_.kd
    .uniform_work_group_size: 1
    .uses_dynamic_stack: false
    .vgpr_count:     63
    .vgpr_spill_count: 0
    .wavefront_size: 64
  - .args:
      - .offset:         0
        .size:           3144
        .value_kind:     by_value
      - .offset:         3144
        .size:           1
        .value_kind:     by_value
      - .offset:         3145
        .size:           1
        .value_kind:     by_value
      - .offset:         3148
        .size:           4
        .value_kind:     by_value
      - .offset:         3152
        .size:           4
        .value_kind:     hidden_block_count_x
      - .offset:         3156
        .size:           4
        .value_kind:     hidden_block_count_y
      - .offset:         3160
        .size:           4
        .value_kind:     hidden_block_count_z
      - .offset:         3164
        .size:           2
        .value_kind:     hidden_group_size_x
      - .offset:         3166
        .size:           2
        .value_kind:     hidden_group_size_y
      - .offset:         3168
        .size:           2
        .value_kind:     hidden_group_size_z
      - .offset:         3170
        .size:           2
        .value_kind:     hidden_remainder_x
      - .offset:         3172
        .size:           2
        .value_kind:     hidden_remainder_y
      - .offset:         3174
        .size:           2
        .value_kind:     hidden_remainder_z
      - .offset:         3192
        .size:           8
        .value_kind:     hidden_global_offset_x
      - .offset:         3200
        .size:           8
        .value_kind:     hidden_global_offset_y
      - .offset:         3208
        .size:           8
        .value_kind:     hidden_global_offset_z
      - .offset:         3216
        .size:           2
        .value_kind:     hidden_grid_dims
    .group_segment_fixed_size: 0
    .kernarg_segment_align: 8
    .kernarg_segment_size: 3408
    .language:       OpenCL C
    .language_version:
      - 2
      - 0
    .max_flat_workgroup_size: 512
    .name:           _ZN2at6native12_GLOBAL__N_125multi_tensor_apply_kernelINS1_18TensorListMetadataILi3EEENS1_24PointwiseOpScalarFunctorIfLi3ELi3ELi0EEEJSt7dividesIfEfEEEvT_T0_DpT1_
    .private_segment_fixed_size: 0
    .sgpr_count:     38
    .sgpr_spill_count: 0
    .symbol:         _ZN2at6native12_GLOBAL__N_125multi_tensor_apply_kernelINS1_18TensorListMetadataILi3EEENS1_24PointwiseOpScalarFunctorIfLi3ELi3ELi0EEEJSt7dividesIfEfEEEvT_T0_DpT1_.kd
    .uniform_work_group_size: 1
    .uses_dynamic_stack: false
    .vgpr_count:     48
    .vgpr_spill_count: 0
    .wavefront_size: 64
  - .args:
      - .offset:         0
        .size:           3144
        .value_kind:     by_value
      - .offset:         3144
        .size:           1
        .value_kind:     by_value
      - .offset:         3145
        .size:           1
        .value_kind:     by_value
      - .offset:         3152
        .size:           16
        .value_kind:     by_value
      - .offset:         3168
        .size:           4
        .value_kind:     hidden_block_count_x
      - .offset:         3172
        .size:           4
        .value_kind:     hidden_block_count_y
      - .offset:         3176
        .size:           4
        .value_kind:     hidden_block_count_z
      - .offset:         3180
        .size:           2
        .value_kind:     hidden_group_size_x
      - .offset:         3182
        .size:           2
        .value_kind:     hidden_group_size_y
      - .offset:         3184
        .size:           2
        .value_kind:     hidden_group_size_z
      - .offset:         3186
        .size:           2
        .value_kind:     hidden_remainder_x
      - .offset:         3188
        .size:           2
        .value_kind:     hidden_remainder_y
      - .offset:         3190
        .size:           2
        .value_kind:     hidden_remainder_z
      - .offset:         3208
        .size:           8
        .value_kind:     hidden_global_offset_x
      - .offset:         3216
        .size:           8
        .value_kind:     hidden_global_offset_y
      - .offset:         3224
        .size:           8
        .value_kind:     hidden_global_offset_z
      - .offset:         3232
        .size:           2
        .value_kind:     hidden_grid_dims
    .group_segment_fixed_size: 0
    .kernarg_segment_align: 16
    .kernarg_segment_size: 3424
    .language:       OpenCL C
    .language_version:
      - 2
      - 0
    .max_flat_workgroup_size: 512
    .name:           _ZN2at6native12_GLOBAL__N_125multi_tensor_apply_kernelINS1_18TensorListMetadataILi3EEENS1_24PointwiseOpScalarFunctorIN3c107complexIdEELi3ELi3ELi0EEEJSt7dividesIS8_ES8_EEEvT_T0_DpT1_
    .private_segment_fixed_size: 0
    .sgpr_count:     49
    .sgpr_spill_count: 0
    .symbol:         _ZN2at6native12_GLOBAL__N_125multi_tensor_apply_kernelINS1_18TensorListMetadataILi3EEENS1_24PointwiseOpScalarFunctorIN3c107complexIdEELi3ELi3ELi0EEEJSt7dividesIS8_ES8_EEEvT_T0_DpT1_.kd
    .uniform_work_group_size: 1
    .uses_dynamic_stack: false
    .vgpr_count:     77
    .vgpr_spill_count: 0
    .wavefront_size: 64
  - .args:
      - .offset:         0
        .size:           3144
        .value_kind:     by_value
      - .offset:         3144
        .size:           1
        .value_kind:     by_value
      - .offset:         3145
        .size:           1
        .value_kind:     by_value
      - .offset:         3152
        .size:           8
        .value_kind:     by_value
      - .offset:         3160
        .size:           4
        .value_kind:     hidden_block_count_x
      - .offset:         3164
        .size:           4
        .value_kind:     hidden_block_count_y
      - .offset:         3168
        .size:           4
        .value_kind:     hidden_block_count_z
      - .offset:         3172
        .size:           2
        .value_kind:     hidden_group_size_x
      - .offset:         3174
        .size:           2
        .value_kind:     hidden_group_size_y
      - .offset:         3176
        .size:           2
        .value_kind:     hidden_group_size_z
      - .offset:         3178
        .size:           2
        .value_kind:     hidden_remainder_x
      - .offset:         3180
        .size:           2
        .value_kind:     hidden_remainder_y
      - .offset:         3182
        .size:           2
        .value_kind:     hidden_remainder_z
      - .offset:         3200
        .size:           8
        .value_kind:     hidden_global_offset_x
      - .offset:         3208
        .size:           8
        .value_kind:     hidden_global_offset_y
      - .offset:         3216
        .size:           8
        .value_kind:     hidden_global_offset_z
      - .offset:         3224
        .size:           2
        .value_kind:     hidden_grid_dims
    .group_segment_fixed_size: 0
    .kernarg_segment_align: 8
    .kernarg_segment_size: 3416
    .language:       OpenCL C
    .language_version:
      - 2
      - 0
    .max_flat_workgroup_size: 512
    .name:           _ZN2at6native12_GLOBAL__N_125multi_tensor_apply_kernelINS1_18TensorListMetadataILi3EEENS1_24PointwiseOpScalarFunctorIN3c107complexIfEELi3ELi3ELi0EEEJSt7dividesIS8_ES8_EEEvT_T0_DpT1_
    .private_segment_fixed_size: 0
    .sgpr_count:     47
    .sgpr_spill_count: 0
    .symbol:         _ZN2at6native12_GLOBAL__N_125multi_tensor_apply_kernelINS1_18TensorListMetadataILi3EEENS1_24PointwiseOpScalarFunctorIN3c107complexIfEELi3ELi3ELi0EEEJSt7dividesIS8_ES8_EEEvT_T0_DpT1_.kd
    .uniform_work_group_size: 1
    .uses_dynamic_stack: false
    .vgpr_count:     64
    .vgpr_spill_count: 0
    .wavefront_size: 64
  - .args:
      - .offset:         0
        .size:           3144
        .value_kind:     by_value
      - .offset:         3144
        .size:           1
        .value_kind:     by_value
      - .offset:         3145
        .size:           1
        .value_kind:     by_value
      - .offset:         3148
        .size:           4
        .value_kind:     by_value
      - .offset:         3152
        .size:           4
        .value_kind:     hidden_block_count_x
      - .offset:         3156
        .size:           4
        .value_kind:     hidden_block_count_y
      - .offset:         3160
        .size:           4
        .value_kind:     hidden_block_count_z
      - .offset:         3164
        .size:           2
        .value_kind:     hidden_group_size_x
      - .offset:         3166
        .size:           2
        .value_kind:     hidden_group_size_y
      - .offset:         3168
        .size:           2
        .value_kind:     hidden_group_size_z
      - .offset:         3170
        .size:           2
        .value_kind:     hidden_remainder_x
      - .offset:         3172
        .size:           2
        .value_kind:     hidden_remainder_y
      - .offset:         3174
        .size:           2
        .value_kind:     hidden_remainder_z
      - .offset:         3192
        .size:           8
        .value_kind:     hidden_global_offset_x
      - .offset:         3200
        .size:           8
        .value_kind:     hidden_global_offset_y
      - .offset:         3208
        .size:           8
        .value_kind:     hidden_global_offset_z
      - .offset:         3216
        .size:           2
        .value_kind:     hidden_grid_dims
    .group_segment_fixed_size: 0
    .kernarg_segment_align: 8
    .kernarg_segment_size: 3408
    .language:       OpenCL C
    .language_version:
      - 2
      - 0
    .max_flat_workgroup_size: 512
    .name:           _ZN2at6native12_GLOBAL__N_125multi_tensor_apply_kernelINS1_18TensorListMetadataILi3EEENS1_24PointwiseOpScalarFunctorIN3c104HalfELi3ELi3ELi0EEEJSt7dividesIfEfEEEvT_T0_DpT1_
    .private_segment_fixed_size: 0
    .sgpr_count:     38
    .sgpr_spill_count: 0
    .symbol:         _ZN2at6native12_GLOBAL__N_125multi_tensor_apply_kernelINS1_18TensorListMetadataILi3EEENS1_24PointwiseOpScalarFunctorIN3c104HalfELi3ELi3ELi0EEEJSt7dividesIfEfEEEvT_T0_DpT1_.kd
    .uniform_work_group_size: 1
    .uses_dynamic_stack: false
    .vgpr_count:     48
    .vgpr_spill_count: 0
    .wavefront_size: 64
  - .args:
      - .offset:         0
        .size:           3144
        .value_kind:     by_value
      - .offset:         3144
        .size:           1
        .value_kind:     by_value
      - .offset:         3145
        .size:           1
        .value_kind:     by_value
      - .offset:         3148
        .size:           4
        .value_kind:     by_value
      - .offset:         3152
        .size:           4
        .value_kind:     hidden_block_count_x
      - .offset:         3156
        .size:           4
        .value_kind:     hidden_block_count_y
      - .offset:         3160
        .size:           4
        .value_kind:     hidden_block_count_z
      - .offset:         3164
        .size:           2
        .value_kind:     hidden_group_size_x
      - .offset:         3166
        .size:           2
        .value_kind:     hidden_group_size_y
      - .offset:         3168
        .size:           2
        .value_kind:     hidden_group_size_z
      - .offset:         3170
        .size:           2
        .value_kind:     hidden_remainder_x
      - .offset:         3172
        .size:           2
        .value_kind:     hidden_remainder_y
      - .offset:         3174
        .size:           2
        .value_kind:     hidden_remainder_z
      - .offset:         3192
        .size:           8
        .value_kind:     hidden_global_offset_x
      - .offset:         3200
        .size:           8
        .value_kind:     hidden_global_offset_y
      - .offset:         3208
        .size:           8
        .value_kind:     hidden_global_offset_z
      - .offset:         3216
        .size:           2
        .value_kind:     hidden_grid_dims
    .group_segment_fixed_size: 0
    .kernarg_segment_align: 8
    .kernarg_segment_size: 3408
    .language:       OpenCL C
    .language_version:
      - 2
      - 0
    .max_flat_workgroup_size: 512
    .name:           _ZN2at6native12_GLOBAL__N_125multi_tensor_apply_kernelINS1_18TensorListMetadataILi3EEENS1_24PointwiseOpScalarFunctorIN3c108BFloat16ELi3ELi3ELi0EEEJSt7dividesIfEfEEEvT_T0_DpT1_
    .private_segment_fixed_size: 0
    .sgpr_count:     39
    .sgpr_spill_count: 0
    .symbol:         _ZN2at6native12_GLOBAL__N_125multi_tensor_apply_kernelINS1_18TensorListMetadataILi3EEENS1_24PointwiseOpScalarFunctorIN3c108BFloat16ELi3ELi3ELi0EEEJSt7dividesIfEfEEEvT_T0_DpT1_.kd
    .uniform_work_group_size: 1
    .uses_dynamic_stack: false
    .vgpr_count:     49
    .vgpr_spill_count: 0
    .wavefront_size: 64
  - .args:
      - .offset:         0
        .size:           3144
        .value_kind:     by_value
      - .offset:         3144
        .size:           1
        .value_kind:     by_value
      - .offset:         3145
        .size:           1
        .value_kind:     by_value
      - .offset:         3146
        .size:           1
        .value_kind:     by_value
      - .offset:         3152
        .size:           4
        .value_kind:     hidden_block_count_x
      - .offset:         3156
        .size:           4
        .value_kind:     hidden_block_count_y
      - .offset:         3160
        .size:           4
        .value_kind:     hidden_block_count_z
      - .offset:         3164
        .size:           2
        .value_kind:     hidden_group_size_x
      - .offset:         3166
        .size:           2
        .value_kind:     hidden_group_size_y
      - .offset:         3168
        .size:           2
        .value_kind:     hidden_group_size_z
      - .offset:         3170
        .size:           2
        .value_kind:     hidden_remainder_x
      - .offset:         3172
        .size:           2
        .value_kind:     hidden_remainder_y
      - .offset:         3174
        .size:           2
        .value_kind:     hidden_remainder_z
      - .offset:         3192
        .size:           8
        .value_kind:     hidden_global_offset_x
      - .offset:         3200
        .size:           8
        .value_kind:     hidden_global_offset_y
      - .offset:         3208
        .size:           8
        .value_kind:     hidden_global_offset_z
      - .offset:         3216
        .size:           2
        .value_kind:     hidden_grid_dims
    .group_segment_fixed_size: 0
    .kernarg_segment_align: 8
    .kernarg_segment_size: 3408
    .language:       OpenCL C
    .language_version:
      - 2
      - 0
    .max_flat_workgroup_size: 512
    .name:           _ZN2at6native12_GLOBAL__N_125multi_tensor_apply_kernelINS1_18TensorListMetadataILi3EEENS1_32PointwiseOpScalar0dTensorFunctorIhLi3ELi2ELi0EEEJSt7dividesIhEhEEEvT_T0_DpT1_
    .private_segment_fixed_size: 0
    .sgpr_count:     31
    .sgpr_spill_count: 0
    .symbol:         _ZN2at6native12_GLOBAL__N_125multi_tensor_apply_kernelINS1_18TensorListMetadataILi3EEENS1_32PointwiseOpScalar0dTensorFunctorIhLi3ELi2ELi0EEEJSt7dividesIhEhEEEvT_T0_DpT1_.kd
    .uniform_work_group_size: 1
    .uses_dynamic_stack: false
    .vgpr_count:     40
    .vgpr_spill_count: 0
    .wavefront_size: 64
  - .args:
      - .offset:         0
        .size:           3144
        .value_kind:     by_value
      - .offset:         3144
        .size:           1
        .value_kind:     by_value
      - .offset:         3145
        .size:           1
        .value_kind:     by_value
      - .offset:         3146
        .size:           1
        .value_kind:     by_value
      - .offset:         3152
        .size:           4
        .value_kind:     hidden_block_count_x
      - .offset:         3156
        .size:           4
        .value_kind:     hidden_block_count_y
      - .offset:         3160
        .size:           4
        .value_kind:     hidden_block_count_z
      - .offset:         3164
        .size:           2
        .value_kind:     hidden_group_size_x
      - .offset:         3166
        .size:           2
        .value_kind:     hidden_group_size_y
      - .offset:         3168
        .size:           2
        .value_kind:     hidden_group_size_z
      - .offset:         3170
        .size:           2
        .value_kind:     hidden_remainder_x
      - .offset:         3172
        .size:           2
        .value_kind:     hidden_remainder_y
      - .offset:         3174
        .size:           2
        .value_kind:     hidden_remainder_z
      - .offset:         3192
        .size:           8
        .value_kind:     hidden_global_offset_x
      - .offset:         3200
        .size:           8
        .value_kind:     hidden_global_offset_y
      - .offset:         3208
        .size:           8
        .value_kind:     hidden_global_offset_z
      - .offset:         3216
        .size:           2
        .value_kind:     hidden_grid_dims
    .group_segment_fixed_size: 0
    .kernarg_segment_align: 8
    .kernarg_segment_size: 3408
    .language:       OpenCL C
    .language_version:
      - 2
      - 0
    .max_flat_workgroup_size: 512
    .name:           _ZN2at6native12_GLOBAL__N_125multi_tensor_apply_kernelINS1_18TensorListMetadataILi3EEENS1_32PointwiseOpScalar0dTensorFunctorIaLi3ELi2ELi0EEEJSt7dividesIaEaEEEvT_T0_DpT1_
    .private_segment_fixed_size: 0
    .sgpr_count:     25
    .sgpr_spill_count: 0
    .symbol:         _ZN2at6native12_GLOBAL__N_125multi_tensor_apply_kernelINS1_18TensorListMetadataILi3EEENS1_32PointwiseOpScalar0dTensorFunctorIaLi3ELi2ELi0EEEJSt7dividesIaEaEEEvT_T0_DpT1_.kd
    .uniform_work_group_size: 1
    .uses_dynamic_stack: false
    .vgpr_count:     39
    .vgpr_spill_count: 0
    .wavefront_size: 64
  - .args:
      - .offset:         0
        .size:           3144
        .value_kind:     by_value
      - .offset:         3144
        .size:           1
        .value_kind:     by_value
      - .offset:         3145
        .size:           1
        .value_kind:     by_value
      - .offset:         3148
        .size:           4
        .value_kind:     by_value
      - .offset:         3152
        .size:           4
        .value_kind:     hidden_block_count_x
      - .offset:         3156
        .size:           4
        .value_kind:     hidden_block_count_y
      - .offset:         3160
        .size:           4
        .value_kind:     hidden_block_count_z
      - .offset:         3164
        .size:           2
        .value_kind:     hidden_group_size_x
      - .offset:         3166
        .size:           2
        .value_kind:     hidden_group_size_y
      - .offset:         3168
        .size:           2
        .value_kind:     hidden_group_size_z
      - .offset:         3170
        .size:           2
        .value_kind:     hidden_remainder_x
      - .offset:         3172
        .size:           2
        .value_kind:     hidden_remainder_y
      - .offset:         3174
        .size:           2
        .value_kind:     hidden_remainder_z
      - .offset:         3192
        .size:           8
        .value_kind:     hidden_global_offset_x
      - .offset:         3200
        .size:           8
        .value_kind:     hidden_global_offset_y
      - .offset:         3208
        .size:           8
        .value_kind:     hidden_global_offset_z
      - .offset:         3216
        .size:           2
        .value_kind:     hidden_grid_dims
    .group_segment_fixed_size: 0
    .kernarg_segment_align: 8
    .kernarg_segment_size: 3408
    .language:       OpenCL C
    .language_version:
      - 2
      - 0
    .max_flat_workgroup_size: 512
    .name:           _ZN2at6native12_GLOBAL__N_125multi_tensor_apply_kernelINS1_18TensorListMetadataILi3EEENS1_32PointwiseOpScalar0dTensorFunctorIiLi3ELi2ELi0EEEJSt7dividesIiEiEEEvT_T0_DpT1_
    .private_segment_fixed_size: 0
    .sgpr_count:     34
    .sgpr_spill_count: 0
    .symbol:         _ZN2at6native12_GLOBAL__N_125multi_tensor_apply_kernelINS1_18TensorListMetadataILi3EEENS1_32PointwiseOpScalar0dTensorFunctorIiLi3ELi2ELi0EEEJSt7dividesIiEiEEEvT_T0_DpT1_.kd
    .uniform_work_group_size: 1
    .uses_dynamic_stack: false
    .vgpr_count:     31
    .vgpr_spill_count: 0
    .wavefront_size: 64
  - .args:
      - .offset:         0
        .size:           3144
        .value_kind:     by_value
      - .offset:         3144
        .size:           1
        .value_kind:     by_value
      - .offset:         3145
        .size:           1
        .value_kind:     by_value
      - .offset:         3152
        .size:           8
        .value_kind:     by_value
      - .offset:         3160
        .size:           4
        .value_kind:     hidden_block_count_x
      - .offset:         3164
        .size:           4
        .value_kind:     hidden_block_count_y
      - .offset:         3168
        .size:           4
        .value_kind:     hidden_block_count_z
      - .offset:         3172
        .size:           2
        .value_kind:     hidden_group_size_x
      - .offset:         3174
        .size:           2
        .value_kind:     hidden_group_size_y
      - .offset:         3176
        .size:           2
        .value_kind:     hidden_group_size_z
      - .offset:         3178
        .size:           2
        .value_kind:     hidden_remainder_x
      - .offset:         3180
        .size:           2
        .value_kind:     hidden_remainder_y
      - .offset:         3182
        .size:           2
        .value_kind:     hidden_remainder_z
      - .offset:         3200
        .size:           8
        .value_kind:     hidden_global_offset_x
      - .offset:         3208
        .size:           8
        .value_kind:     hidden_global_offset_y
      - .offset:         3216
        .size:           8
        .value_kind:     hidden_global_offset_z
      - .offset:         3224
        .size:           2
        .value_kind:     hidden_grid_dims
    .group_segment_fixed_size: 0
    .kernarg_segment_align: 8
    .kernarg_segment_size: 3416
    .language:       OpenCL C
    .language_version:
      - 2
      - 0
    .max_flat_workgroup_size: 512
    .name:           _ZN2at6native12_GLOBAL__N_125multi_tensor_apply_kernelINS1_18TensorListMetadataILi3EEENS1_32PointwiseOpScalar0dTensorFunctorIlLi3ELi2ELi0EEEJSt7dividesIlElEEEvT_T0_DpT1_
    .private_segment_fixed_size: 0
    .sgpr_count:     36
    .sgpr_spill_count: 0
    .symbol:         _ZN2at6native12_GLOBAL__N_125multi_tensor_apply_kernelINS1_18TensorListMetadataILi3EEENS1_32PointwiseOpScalar0dTensorFunctorIlLi3ELi2ELi0EEEJSt7dividesIlElEEEvT_T0_DpT1_.kd
    .uniform_work_group_size: 1
    .uses_dynamic_stack: false
    .vgpr_count:     46
    .vgpr_spill_count: 0
    .wavefront_size: 64
  - .args:
      - .offset:         0
        .size:           3144
        .value_kind:     by_value
      - .offset:         3144
        .size:           1
        .value_kind:     by_value
      - .offset:         3145
        .size:           1
        .value_kind:     by_value
      - .offset:         3146
        .size:           2
        .value_kind:     by_value
      - .offset:         3152
        .size:           4
        .value_kind:     hidden_block_count_x
      - .offset:         3156
        .size:           4
        .value_kind:     hidden_block_count_y
      - .offset:         3160
        .size:           4
        .value_kind:     hidden_block_count_z
      - .offset:         3164
        .size:           2
        .value_kind:     hidden_group_size_x
      - .offset:         3166
        .size:           2
        .value_kind:     hidden_group_size_y
      - .offset:         3168
        .size:           2
        .value_kind:     hidden_group_size_z
      - .offset:         3170
        .size:           2
        .value_kind:     hidden_remainder_x
      - .offset:         3172
        .size:           2
        .value_kind:     hidden_remainder_y
      - .offset:         3174
        .size:           2
        .value_kind:     hidden_remainder_z
      - .offset:         3192
        .size:           8
        .value_kind:     hidden_global_offset_x
      - .offset:         3200
        .size:           8
        .value_kind:     hidden_global_offset_y
      - .offset:         3208
        .size:           8
        .value_kind:     hidden_global_offset_z
      - .offset:         3216
        .size:           2
        .value_kind:     hidden_grid_dims
    .group_segment_fixed_size: 0
    .kernarg_segment_align: 8
    .kernarg_segment_size: 3408
    .language:       OpenCL C
    .language_version:
      - 2
      - 0
    .max_flat_workgroup_size: 512
    .name:           _ZN2at6native12_GLOBAL__N_125multi_tensor_apply_kernelINS1_18TensorListMetadataILi3EEENS1_32PointwiseOpScalar0dTensorFunctorIsLi3ELi2ELi0EEEJSt7dividesIsEsEEEvT_T0_DpT1_
    .private_segment_fixed_size: 0
    .sgpr_count:     35
    .sgpr_spill_count: 0
    .symbol:         _ZN2at6native12_GLOBAL__N_125multi_tensor_apply_kernelINS1_18TensorListMetadataILi3EEENS1_32PointwiseOpScalar0dTensorFunctorIsLi3ELi2ELi0EEEJSt7dividesIsEsEEEvT_T0_DpT1_.kd
    .uniform_work_group_size: 1
    .uses_dynamic_stack: false
    .vgpr_count:     21
    .vgpr_spill_count: 0
    .wavefront_size: 64
  - .args:
      - .offset:         0
        .size:           3144
        .value_kind:     by_value
      - .offset:         3144
        .size:           1
        .value_kind:     by_value
      - .offset:         3145
        .size:           1
        .value_kind:     by_value
      - .offset:         3152
        .size:           8
        .value_kind:     by_value
      - .offset:         3160
        .size:           4
        .value_kind:     hidden_block_count_x
      - .offset:         3164
        .size:           4
        .value_kind:     hidden_block_count_y
      - .offset:         3168
        .size:           4
        .value_kind:     hidden_block_count_z
      - .offset:         3172
        .size:           2
        .value_kind:     hidden_group_size_x
      - .offset:         3174
        .size:           2
        .value_kind:     hidden_group_size_y
      - .offset:         3176
        .size:           2
        .value_kind:     hidden_group_size_z
      - .offset:         3178
        .size:           2
        .value_kind:     hidden_remainder_x
      - .offset:         3180
        .size:           2
        .value_kind:     hidden_remainder_y
      - .offset:         3182
        .size:           2
        .value_kind:     hidden_remainder_z
      - .offset:         3200
        .size:           8
        .value_kind:     hidden_global_offset_x
      - .offset:         3208
        .size:           8
        .value_kind:     hidden_global_offset_y
      - .offset:         3216
        .size:           8
        .value_kind:     hidden_global_offset_z
      - .offset:         3224
        .size:           2
        .value_kind:     hidden_grid_dims
    .group_segment_fixed_size: 0
    .kernarg_segment_align: 8
    .kernarg_segment_size: 3416
    .language:       OpenCL C
    .language_version:
      - 2
      - 0
    .max_flat_workgroup_size: 512
    .name:           _ZN2at6native12_GLOBAL__N_125multi_tensor_apply_kernelINS1_18TensorListMetadataILi3EEENS1_32PointwiseOpScalar0dTensorFunctorIdLi3ELi2ELi0EEEJSt7dividesIdEdEEEvT_T0_DpT1_
    .private_segment_fixed_size: 0
    .sgpr_count:     39
    .sgpr_spill_count: 0
    .symbol:         _ZN2at6native12_GLOBAL__N_125multi_tensor_apply_kernelINS1_18TensorListMetadataILi3EEENS1_32PointwiseOpScalar0dTensorFunctorIdLi3ELi2ELi0EEEJSt7dividesIdEdEEEvT_T0_DpT1_.kd
    .uniform_work_group_size: 1
    .uses_dynamic_stack: false
    .vgpr_count:     35
    .vgpr_spill_count: 0
    .wavefront_size: 64
  - .args:
      - .offset:         0
        .size:           3144
        .value_kind:     by_value
      - .offset:         3144
        .size:           1
        .value_kind:     by_value
      - .offset:         3145
        .size:           1
        .value_kind:     by_value
      - .offset:         3148
        .size:           4
        .value_kind:     by_value
      - .offset:         3152
        .size:           4
        .value_kind:     hidden_block_count_x
      - .offset:         3156
        .size:           4
        .value_kind:     hidden_block_count_y
      - .offset:         3160
        .size:           4
        .value_kind:     hidden_block_count_z
      - .offset:         3164
        .size:           2
        .value_kind:     hidden_group_size_x
      - .offset:         3166
        .size:           2
        .value_kind:     hidden_group_size_y
      - .offset:         3168
        .size:           2
        .value_kind:     hidden_group_size_z
      - .offset:         3170
        .size:           2
        .value_kind:     hidden_remainder_x
      - .offset:         3172
        .size:           2
        .value_kind:     hidden_remainder_y
      - .offset:         3174
        .size:           2
        .value_kind:     hidden_remainder_z
      - .offset:         3192
        .size:           8
        .value_kind:     hidden_global_offset_x
      - .offset:         3200
        .size:           8
        .value_kind:     hidden_global_offset_y
      - .offset:         3208
        .size:           8
        .value_kind:     hidden_global_offset_z
      - .offset:         3216
        .size:           2
        .value_kind:     hidden_grid_dims
    .group_segment_fixed_size: 0
    .kernarg_segment_align: 8
    .kernarg_segment_size: 3408
    .language:       OpenCL C
    .language_version:
      - 2
      - 0
    .max_flat_workgroup_size: 512
    .name:           _ZN2at6native12_GLOBAL__N_125multi_tensor_apply_kernelINS1_18TensorListMetadataILi3EEENS1_32PointwiseOpScalar0dTensorFunctorIfLi3ELi2ELi0EEEJSt7dividesIfEfEEEvT_T0_DpT1_
    .private_segment_fixed_size: 0
    .sgpr_count:     30
    .sgpr_spill_count: 0
    .symbol:         _ZN2at6native12_GLOBAL__N_125multi_tensor_apply_kernelINS1_18TensorListMetadataILi3EEENS1_32PointwiseOpScalar0dTensorFunctorIfLi3ELi2ELi0EEEJSt7dividesIfEfEEEvT_T0_DpT1_.kd
    .uniform_work_group_size: 1
    .uses_dynamic_stack: false
    .vgpr_count:     22
    .vgpr_spill_count: 0
    .wavefront_size: 64
  - .args:
      - .offset:         0
        .size:           3144
        .value_kind:     by_value
      - .offset:         3144
        .size:           1
        .value_kind:     by_value
      - .offset:         3145
        .size:           1
        .value_kind:     by_value
      - .offset:         3152
        .size:           16
        .value_kind:     by_value
      - .offset:         3168
        .size:           4
        .value_kind:     hidden_block_count_x
      - .offset:         3172
        .size:           4
        .value_kind:     hidden_block_count_y
      - .offset:         3176
        .size:           4
        .value_kind:     hidden_block_count_z
      - .offset:         3180
        .size:           2
        .value_kind:     hidden_group_size_x
      - .offset:         3182
        .size:           2
        .value_kind:     hidden_group_size_y
      - .offset:         3184
        .size:           2
        .value_kind:     hidden_group_size_z
      - .offset:         3186
        .size:           2
        .value_kind:     hidden_remainder_x
      - .offset:         3188
        .size:           2
        .value_kind:     hidden_remainder_y
      - .offset:         3190
        .size:           2
        .value_kind:     hidden_remainder_z
      - .offset:         3208
        .size:           8
        .value_kind:     hidden_global_offset_x
      - .offset:         3216
        .size:           8
        .value_kind:     hidden_global_offset_y
      - .offset:         3224
        .size:           8
        .value_kind:     hidden_global_offset_z
      - .offset:         3232
        .size:           2
        .value_kind:     hidden_grid_dims
    .group_segment_fixed_size: 0
    .kernarg_segment_align: 16
    .kernarg_segment_size: 3424
    .language:       OpenCL C
    .language_version:
      - 2
      - 0
    .max_flat_workgroup_size: 512
    .name:           _ZN2at6native12_GLOBAL__N_125multi_tensor_apply_kernelINS1_18TensorListMetadataILi3EEENS1_32PointwiseOpScalar0dTensorFunctorIN3c107complexIdEELi3ELi2ELi0EEEJSt7dividesIS8_ES8_EEEvT_T0_DpT1_
    .private_segment_fixed_size: 0
    .sgpr_count:     45
    .sgpr_spill_count: 0
    .symbol:         _ZN2at6native12_GLOBAL__N_125multi_tensor_apply_kernelINS1_18TensorListMetadataILi3EEENS1_32PointwiseOpScalar0dTensorFunctorIN3c107complexIdEELi3ELi2ELi0EEEJSt7dividesIS8_ES8_EEEvT_T0_DpT1_.kd
    .uniform_work_group_size: 1
    .uses_dynamic_stack: false
    .vgpr_count:     61
    .vgpr_spill_count: 0
    .wavefront_size: 64
  - .args:
      - .offset:         0
        .size:           3144
        .value_kind:     by_value
      - .offset:         3144
        .size:           1
        .value_kind:     by_value
      - .offset:         3145
        .size:           1
        .value_kind:     by_value
      - .offset:         3152
        .size:           8
        .value_kind:     by_value
      - .offset:         3160
        .size:           4
        .value_kind:     hidden_block_count_x
      - .offset:         3164
        .size:           4
        .value_kind:     hidden_block_count_y
      - .offset:         3168
        .size:           4
        .value_kind:     hidden_block_count_z
      - .offset:         3172
        .size:           2
        .value_kind:     hidden_group_size_x
      - .offset:         3174
        .size:           2
        .value_kind:     hidden_group_size_y
      - .offset:         3176
        .size:           2
        .value_kind:     hidden_group_size_z
      - .offset:         3178
        .size:           2
        .value_kind:     hidden_remainder_x
      - .offset:         3180
        .size:           2
        .value_kind:     hidden_remainder_y
      - .offset:         3182
        .size:           2
        .value_kind:     hidden_remainder_z
      - .offset:         3200
        .size:           8
        .value_kind:     hidden_global_offset_x
      - .offset:         3208
        .size:           8
        .value_kind:     hidden_global_offset_y
      - .offset:         3216
        .size:           8
        .value_kind:     hidden_global_offset_z
      - .offset:         3224
        .size:           2
        .value_kind:     hidden_grid_dims
    .group_segment_fixed_size: 0
    .kernarg_segment_align: 8
    .kernarg_segment_size: 3416
    .language:       OpenCL C
    .language_version:
      - 2
      - 0
    .max_flat_workgroup_size: 512
    .name:           _ZN2at6native12_GLOBAL__N_125multi_tensor_apply_kernelINS1_18TensorListMetadataILi3EEENS1_32PointwiseOpScalar0dTensorFunctorIN3c107complexIfEELi3ELi2ELi0EEEJSt7dividesIS8_ES8_EEEvT_T0_DpT1_
    .private_segment_fixed_size: 0
    .sgpr_count:     42
    .sgpr_spill_count: 0
    .symbol:         _ZN2at6native12_GLOBAL__N_125multi_tensor_apply_kernelINS1_18TensorListMetadataILi3EEENS1_32PointwiseOpScalar0dTensorFunctorIN3c107complexIfEELi3ELi2ELi0EEEJSt7dividesIS8_ES8_EEEvT_T0_DpT1_.kd
    .uniform_work_group_size: 1
    .uses_dynamic_stack: false
    .vgpr_count:     35
    .vgpr_spill_count: 0
    .wavefront_size: 64
  - .args:
      - .offset:         0
        .size:           3144
        .value_kind:     by_value
      - .offset:         3144
        .size:           1
        .value_kind:     by_value
      - .offset:         3145
        .size:           1
        .value_kind:     by_value
      - .offset:         3148
        .size:           4
        .value_kind:     by_value
      - .offset:         3152
        .size:           4
        .value_kind:     hidden_block_count_x
      - .offset:         3156
        .size:           4
        .value_kind:     hidden_block_count_y
      - .offset:         3160
        .size:           4
        .value_kind:     hidden_block_count_z
      - .offset:         3164
        .size:           2
        .value_kind:     hidden_group_size_x
      - .offset:         3166
        .size:           2
        .value_kind:     hidden_group_size_y
      - .offset:         3168
        .size:           2
        .value_kind:     hidden_group_size_z
      - .offset:         3170
        .size:           2
        .value_kind:     hidden_remainder_x
      - .offset:         3172
        .size:           2
        .value_kind:     hidden_remainder_y
      - .offset:         3174
        .size:           2
        .value_kind:     hidden_remainder_z
      - .offset:         3192
        .size:           8
        .value_kind:     hidden_global_offset_x
      - .offset:         3200
        .size:           8
        .value_kind:     hidden_global_offset_y
      - .offset:         3208
        .size:           8
        .value_kind:     hidden_global_offset_z
      - .offset:         3216
        .size:           2
        .value_kind:     hidden_grid_dims
    .group_segment_fixed_size: 0
    .kernarg_segment_align: 8
    .kernarg_segment_size: 3408
    .language:       OpenCL C
    .language_version:
      - 2
      - 0
    .max_flat_workgroup_size: 512
    .name:           _ZN2at6native12_GLOBAL__N_125multi_tensor_apply_kernelINS1_18TensorListMetadataILi3EEENS1_32PointwiseOpScalar0dTensorFunctorIN3c104HalfELi3ELi2ELi0EEEJSt7dividesIfEfEEEvT_T0_DpT1_
    .private_segment_fixed_size: 0
    .sgpr_count:     31
    .sgpr_spill_count: 0
    .symbol:         _ZN2at6native12_GLOBAL__N_125multi_tensor_apply_kernelINS1_18TensorListMetadataILi3EEENS1_32PointwiseOpScalar0dTensorFunctorIN3c104HalfELi3ELi2ELi0EEEJSt7dividesIfEfEEEvT_T0_DpT1_.kd
    .uniform_work_group_size: 1
    .uses_dynamic_stack: false
    .vgpr_count:     23
    .vgpr_spill_count: 0
    .wavefront_size: 64
  - .args:
      - .offset:         0
        .size:           3144
        .value_kind:     by_value
      - .offset:         3144
        .size:           1
        .value_kind:     by_value
      - .offset:         3145
        .size:           1
        .value_kind:     by_value
      - .offset:         3148
        .size:           4
        .value_kind:     by_value
      - .offset:         3152
        .size:           4
        .value_kind:     hidden_block_count_x
      - .offset:         3156
        .size:           4
        .value_kind:     hidden_block_count_y
      - .offset:         3160
        .size:           4
        .value_kind:     hidden_block_count_z
      - .offset:         3164
        .size:           2
        .value_kind:     hidden_group_size_x
      - .offset:         3166
        .size:           2
        .value_kind:     hidden_group_size_y
      - .offset:         3168
        .size:           2
        .value_kind:     hidden_group_size_z
      - .offset:         3170
        .size:           2
        .value_kind:     hidden_remainder_x
      - .offset:         3172
        .size:           2
        .value_kind:     hidden_remainder_y
      - .offset:         3174
        .size:           2
        .value_kind:     hidden_remainder_z
      - .offset:         3192
        .size:           8
        .value_kind:     hidden_global_offset_x
      - .offset:         3200
        .size:           8
        .value_kind:     hidden_global_offset_y
      - .offset:         3208
        .size:           8
        .value_kind:     hidden_global_offset_z
      - .offset:         3216
        .size:           2
        .value_kind:     hidden_grid_dims
    .group_segment_fixed_size: 0
    .kernarg_segment_align: 8
    .kernarg_segment_size: 3408
    .language:       OpenCL C
    .language_version:
      - 2
      - 0
    .max_flat_workgroup_size: 512
    .name:           _ZN2at6native12_GLOBAL__N_125multi_tensor_apply_kernelINS1_18TensorListMetadataILi3EEENS1_32PointwiseOpScalar0dTensorFunctorIN3c108BFloat16ELi3ELi2ELi0EEEJSt7dividesIfEfEEEvT_T0_DpT1_
    .private_segment_fixed_size: 0
    .sgpr_count:     30
    .sgpr_spill_count: 0
    .symbol:         _ZN2at6native12_GLOBAL__N_125multi_tensor_apply_kernelINS1_18TensorListMetadataILi3EEENS1_32PointwiseOpScalar0dTensorFunctorIN3c108BFloat16ELi3ELi2ELi0EEEJSt7dividesIfEfEEEvT_T0_DpT1_.kd
    .uniform_work_group_size: 1
    .uses_dynamic_stack: false
    .vgpr_count:     24
    .vgpr_spill_count: 0
    .wavefront_size: 64
  - .args:
      - .offset:         0
        .size:           3080
        .value_kind:     by_value
      - .offset:         3080
        .size:           1
        .value_kind:     by_value
      - .offset:         3081
        .size:           1
        .value_kind:     by_value
      - .offset:         3088
        .size:           4
        .value_kind:     hidden_block_count_x
      - .offset:         3092
        .size:           4
        .value_kind:     hidden_block_count_y
      - .offset:         3096
        .size:           4
        .value_kind:     hidden_block_count_z
      - .offset:         3100
        .size:           2
        .value_kind:     hidden_group_size_x
      - .offset:         3102
        .size:           2
        .value_kind:     hidden_group_size_y
      - .offset:         3104
        .size:           2
        .value_kind:     hidden_group_size_z
      - .offset:         3106
        .size:           2
        .value_kind:     hidden_remainder_x
      - .offset:         3108
        .size:           2
        .value_kind:     hidden_remainder_y
      - .offset:         3110
        .size:           2
        .value_kind:     hidden_remainder_z
      - .offset:         3128
        .size:           8
        .value_kind:     hidden_global_offset_x
      - .offset:         3136
        .size:           8
        .value_kind:     hidden_global_offset_y
      - .offset:         3144
        .size:           8
        .value_kind:     hidden_global_offset_z
      - .offset:         3152
        .size:           2
        .value_kind:     hidden_grid_dims
    .group_segment_fixed_size: 0
    .kernarg_segment_align: 8
    .kernarg_segment_size: 3344
    .language:       OpenCL C
    .language_version:
      - 2
      - 0
    .max_flat_workgroup_size: 512
    .name:           _ZN2at6native12_GLOBAL__N_125multi_tensor_apply_kernelINS1_28TensorListScalarListMetadataIhLi4EEENS1_28PointwiseOpScalarListFunctorIhLi4ELi3ELi3EEEJSt10multipliesIhEEEEvT_T0_DpT1_
    .private_segment_fixed_size: 0
    .sgpr_count:     35
    .sgpr_spill_count: 0
    .symbol:         _ZN2at6native12_GLOBAL__N_125multi_tensor_apply_kernelINS1_28TensorListScalarListMetadataIhLi4EEENS1_28PointwiseOpScalarListFunctorIhLi4ELi3ELi3EEEJSt10multipliesIhEEEEvT_T0_DpT1_.kd
    .uniform_work_group_size: 1
    .uses_dynamic_stack: false
    .vgpr_count:     55
    .vgpr_spill_count: 0
    .wavefront_size: 64
  - .args:
      - .offset:         0
        .size:           3080
        .value_kind:     by_value
      - .offset:         3080
        .size:           1
        .value_kind:     by_value
      - .offset:         3081
        .size:           1
        .value_kind:     by_value
      - .offset:         3088
        .size:           4
        .value_kind:     hidden_block_count_x
      - .offset:         3092
        .size:           4
        .value_kind:     hidden_block_count_y
      - .offset:         3096
        .size:           4
        .value_kind:     hidden_block_count_z
      - .offset:         3100
        .size:           2
        .value_kind:     hidden_group_size_x
      - .offset:         3102
        .size:           2
        .value_kind:     hidden_group_size_y
      - .offset:         3104
        .size:           2
        .value_kind:     hidden_group_size_z
      - .offset:         3106
        .size:           2
        .value_kind:     hidden_remainder_x
      - .offset:         3108
        .size:           2
        .value_kind:     hidden_remainder_y
      - .offset:         3110
        .size:           2
        .value_kind:     hidden_remainder_z
      - .offset:         3128
        .size:           8
        .value_kind:     hidden_global_offset_x
      - .offset:         3136
        .size:           8
        .value_kind:     hidden_global_offset_y
      - .offset:         3144
        .size:           8
        .value_kind:     hidden_global_offset_z
      - .offset:         3152
        .size:           2
        .value_kind:     hidden_grid_dims
    .group_segment_fixed_size: 0
    .kernarg_segment_align: 8
    .kernarg_segment_size: 3344
    .language:       OpenCL C
    .language_version:
      - 2
      - 0
    .max_flat_workgroup_size: 512
    .name:           _ZN2at6native12_GLOBAL__N_125multi_tensor_apply_kernelINS1_28TensorListScalarListMetadataIaLi4EEENS1_28PointwiseOpScalarListFunctorIaLi4ELi3ELi3EEEJSt10multipliesIaEEEEvT_T0_DpT1_
    .private_segment_fixed_size: 0
    .sgpr_count:     35
    .sgpr_spill_count: 0
    .symbol:         _ZN2at6native12_GLOBAL__N_125multi_tensor_apply_kernelINS1_28TensorListScalarListMetadataIaLi4EEENS1_28PointwiseOpScalarListFunctorIaLi4ELi3ELi3EEEJSt10multipliesIaEEEEvT_T0_DpT1_.kd
    .uniform_work_group_size: 1
    .uses_dynamic_stack: false
    .vgpr_count:     55
    .vgpr_spill_count: 0
    .wavefront_size: 64
  - .args:
      - .offset:         0
        .size:           3184
        .value_kind:     by_value
      - .offset:         3184
        .size:           1
        .value_kind:     by_value
      - .offset:         3185
        .size:           1
        .value_kind:     by_value
      - .offset:         3192
        .size:           4
        .value_kind:     hidden_block_count_x
      - .offset:         3196
        .size:           4
        .value_kind:     hidden_block_count_y
      - .offset:         3200
        .size:           4
        .value_kind:     hidden_block_count_z
      - .offset:         3204
        .size:           2
        .value_kind:     hidden_group_size_x
      - .offset:         3206
        .size:           2
        .value_kind:     hidden_group_size_y
      - .offset:         3208
        .size:           2
        .value_kind:     hidden_group_size_z
      - .offset:         3210
        .size:           2
        .value_kind:     hidden_remainder_x
      - .offset:         3212
        .size:           2
        .value_kind:     hidden_remainder_y
      - .offset:         3214
        .size:           2
        .value_kind:     hidden_remainder_z
      - .offset:         3232
        .size:           8
        .value_kind:     hidden_global_offset_x
      - .offset:         3240
        .size:           8
        .value_kind:     hidden_global_offset_y
      - .offset:         3248
        .size:           8
        .value_kind:     hidden_global_offset_z
      - .offset:         3256
        .size:           2
        .value_kind:     hidden_grid_dims
    .group_segment_fixed_size: 0
    .kernarg_segment_align: 8
    .kernarg_segment_size: 3448
    .language:       OpenCL C
    .language_version:
      - 2
      - 0
    .max_flat_workgroup_size: 512
    .name:           _ZN2at6native12_GLOBAL__N_125multi_tensor_apply_kernelINS1_28TensorListScalarListMetadataIiLi4EEENS1_28PointwiseOpScalarListFunctorIiLi4ELi3ELi3EEEJSt10multipliesIiEEEEvT_T0_DpT1_
    .private_segment_fixed_size: 0
    .sgpr_count:     40
    .sgpr_spill_count: 0
    .symbol:         _ZN2at6native12_GLOBAL__N_125multi_tensor_apply_kernelINS1_28TensorListScalarListMetadataIiLi4EEENS1_28PointwiseOpScalarListFunctorIiLi4ELi3ELi3EEEJSt10multipliesIiEEEEvT_T0_DpT1_.kd
    .uniform_work_group_size: 1
    .uses_dynamic_stack: false
    .vgpr_count:     54
    .vgpr_spill_count: 0
    .wavefront_size: 64
  - .args:
      - .offset:         0
        .size:           3328
        .value_kind:     by_value
      - .offset:         3328
        .size:           1
        .value_kind:     by_value
      - .offset:         3329
        .size:           1
        .value_kind:     by_value
      - .offset:         3336
        .size:           4
        .value_kind:     hidden_block_count_x
      - .offset:         3340
        .size:           4
        .value_kind:     hidden_block_count_y
      - .offset:         3344
        .size:           4
        .value_kind:     hidden_block_count_z
      - .offset:         3348
        .size:           2
        .value_kind:     hidden_group_size_x
      - .offset:         3350
        .size:           2
        .value_kind:     hidden_group_size_y
      - .offset:         3352
        .size:           2
        .value_kind:     hidden_group_size_z
      - .offset:         3354
        .size:           2
        .value_kind:     hidden_remainder_x
      - .offset:         3356
        .size:           2
        .value_kind:     hidden_remainder_y
      - .offset:         3358
        .size:           2
        .value_kind:     hidden_remainder_z
      - .offset:         3376
        .size:           8
        .value_kind:     hidden_global_offset_x
      - .offset:         3384
        .size:           8
        .value_kind:     hidden_global_offset_y
      - .offset:         3392
        .size:           8
        .value_kind:     hidden_global_offset_z
      - .offset:         3400
        .size:           2
        .value_kind:     hidden_grid_dims
    .group_segment_fixed_size: 0
    .kernarg_segment_align: 8
    .kernarg_segment_size: 3592
    .language:       OpenCL C
    .language_version:
      - 2
      - 0
    .max_flat_workgroup_size: 512
    .name:           _ZN2at6native12_GLOBAL__N_125multi_tensor_apply_kernelINS1_28TensorListScalarListMetadataIlLi4EEENS1_28PointwiseOpScalarListFunctorIlLi4ELi3ELi3EEEJSt10multipliesIlEEEEvT_T0_DpT1_
    .private_segment_fixed_size: 0
    .sgpr_count:     40
    .sgpr_spill_count: 0
    .symbol:         _ZN2at6native12_GLOBAL__N_125multi_tensor_apply_kernelINS1_28TensorListScalarListMetadataIlLi4EEENS1_28PointwiseOpScalarListFunctorIlLi4ELi3ELi3EEEJSt10multipliesIlEEEEvT_T0_DpT1_.kd
    .uniform_work_group_size: 1
    .uses_dynamic_stack: false
    .vgpr_count:     66
    .vgpr_spill_count: 0
    .wavefront_size: 64
  - .args:
      - .offset:         0
        .size:           3112
        .value_kind:     by_value
      - .offset:         3112
        .size:           1
        .value_kind:     by_value
      - .offset:         3113
        .size:           1
        .value_kind:     by_value
      - .offset:         3120
        .size:           4
        .value_kind:     hidden_block_count_x
      - .offset:         3124
        .size:           4
        .value_kind:     hidden_block_count_y
      - .offset:         3128
        .size:           4
        .value_kind:     hidden_block_count_z
      - .offset:         3132
        .size:           2
        .value_kind:     hidden_group_size_x
      - .offset:         3134
        .size:           2
        .value_kind:     hidden_group_size_y
      - .offset:         3136
        .size:           2
        .value_kind:     hidden_group_size_z
      - .offset:         3138
        .size:           2
        .value_kind:     hidden_remainder_x
      - .offset:         3140
        .size:           2
        .value_kind:     hidden_remainder_y
      - .offset:         3142
        .size:           2
        .value_kind:     hidden_remainder_z
      - .offset:         3160
        .size:           8
        .value_kind:     hidden_global_offset_x
      - .offset:         3168
        .size:           8
        .value_kind:     hidden_global_offset_y
      - .offset:         3176
        .size:           8
        .value_kind:     hidden_global_offset_z
      - .offset:         3184
        .size:           2
        .value_kind:     hidden_grid_dims
    .group_segment_fixed_size: 0
    .kernarg_segment_align: 8
    .kernarg_segment_size: 3376
    .language:       OpenCL C
    .language_version:
      - 2
      - 0
    .max_flat_workgroup_size: 512
    .name:           _ZN2at6native12_GLOBAL__N_125multi_tensor_apply_kernelINS1_28TensorListScalarListMetadataIsLi4EEENS1_28PointwiseOpScalarListFunctorIsLi4ELi3ELi3EEEJSt10multipliesIsEEEEvT_T0_DpT1_
    .private_segment_fixed_size: 0
    .sgpr_count:     36
    .sgpr_spill_count: 0
    .symbol:         _ZN2at6native12_GLOBAL__N_125multi_tensor_apply_kernelINS1_28TensorListScalarListMetadataIsLi4EEENS1_28PointwiseOpScalarListFunctorIsLi4ELi3ELi3EEEJSt10multipliesIsEEEEvT_T0_DpT1_.kd
    .uniform_work_group_size: 1
    .uses_dynamic_stack: false
    .vgpr_count:     55
    .vgpr_spill_count: 0
    .wavefront_size: 64
  - .args:
      - .offset:         0
        .size:           3328
        .value_kind:     by_value
      - .offset:         3328
        .size:           1
        .value_kind:     by_value
      - .offset:         3329
        .size:           1
        .value_kind:     by_value
      - .offset:         3336
        .size:           4
        .value_kind:     hidden_block_count_x
      - .offset:         3340
        .size:           4
        .value_kind:     hidden_block_count_y
      - .offset:         3344
        .size:           4
        .value_kind:     hidden_block_count_z
      - .offset:         3348
        .size:           2
        .value_kind:     hidden_group_size_x
      - .offset:         3350
        .size:           2
        .value_kind:     hidden_group_size_y
      - .offset:         3352
        .size:           2
        .value_kind:     hidden_group_size_z
      - .offset:         3354
        .size:           2
        .value_kind:     hidden_remainder_x
      - .offset:         3356
        .size:           2
        .value_kind:     hidden_remainder_y
      - .offset:         3358
        .size:           2
        .value_kind:     hidden_remainder_z
      - .offset:         3376
        .size:           8
        .value_kind:     hidden_global_offset_x
      - .offset:         3384
        .size:           8
        .value_kind:     hidden_global_offset_y
      - .offset:         3392
        .size:           8
        .value_kind:     hidden_global_offset_z
      - .offset:         3400
        .size:           2
        .value_kind:     hidden_grid_dims
    .group_segment_fixed_size: 0
    .kernarg_segment_align: 8
    .kernarg_segment_size: 3592
    .language:       OpenCL C
    .language_version:
      - 2
      - 0
    .max_flat_workgroup_size: 512
    .name:           _ZN2at6native12_GLOBAL__N_125multi_tensor_apply_kernelINS1_28TensorListScalarListMetadataIdLi4EEENS1_28PointwiseOpScalarListFunctorIdLi4ELi3ELi3EEEJSt10multipliesIdEEEEvT_T0_DpT1_
    .private_segment_fixed_size: 0
    .sgpr_count:     43
    .sgpr_spill_count: 0
    .symbol:         _ZN2at6native12_GLOBAL__N_125multi_tensor_apply_kernelINS1_28TensorListScalarListMetadataIdLi4EEENS1_28PointwiseOpScalarListFunctorIdLi4ELi3ELi3EEEJSt10multipliesIdEEEEvT_T0_DpT1_.kd
    .uniform_work_group_size: 1
    .uses_dynamic_stack: false
    .vgpr_count:     65
    .vgpr_spill_count: 0
    .wavefront_size: 64
  - .args:
      - .offset:         0
        .size:           3184
        .value_kind:     by_value
      - .offset:         3184
        .size:           1
        .value_kind:     by_value
      - .offset:         3185
        .size:           1
        .value_kind:     by_value
      - .offset:         3192
        .size:           4
        .value_kind:     hidden_block_count_x
      - .offset:         3196
        .size:           4
        .value_kind:     hidden_block_count_y
      - .offset:         3200
        .size:           4
        .value_kind:     hidden_block_count_z
      - .offset:         3204
        .size:           2
        .value_kind:     hidden_group_size_x
      - .offset:         3206
        .size:           2
        .value_kind:     hidden_group_size_y
      - .offset:         3208
        .size:           2
        .value_kind:     hidden_group_size_z
      - .offset:         3210
        .size:           2
        .value_kind:     hidden_remainder_x
      - .offset:         3212
        .size:           2
        .value_kind:     hidden_remainder_y
      - .offset:         3214
        .size:           2
        .value_kind:     hidden_remainder_z
      - .offset:         3232
        .size:           8
        .value_kind:     hidden_global_offset_x
      - .offset:         3240
        .size:           8
        .value_kind:     hidden_global_offset_y
      - .offset:         3248
        .size:           8
        .value_kind:     hidden_global_offset_z
      - .offset:         3256
        .size:           2
        .value_kind:     hidden_grid_dims
    .group_segment_fixed_size: 0
    .kernarg_segment_align: 8
    .kernarg_segment_size: 3448
    .language:       OpenCL C
    .language_version:
      - 2
      - 0
    .max_flat_workgroup_size: 512
    .name:           _ZN2at6native12_GLOBAL__N_125multi_tensor_apply_kernelINS1_28TensorListScalarListMetadataIfLi4EEENS1_28PointwiseOpScalarListFunctorIfLi4ELi3ELi3EEEJSt10multipliesIfEEEEvT_T0_DpT1_
    .private_segment_fixed_size: 0
    .sgpr_count:     40
    .sgpr_spill_count: 0
    .symbol:         _ZN2at6native12_GLOBAL__N_125multi_tensor_apply_kernelINS1_28TensorListScalarListMetadataIfLi4EEENS1_28PointwiseOpScalarListFunctorIfLi4ELi3ELi3EEEJSt10multipliesIfEEEEvT_T0_DpT1_.kd
    .uniform_work_group_size: 1
    .uses_dynamic_stack: false
    .vgpr_count:     54
    .vgpr_spill_count: 0
    .wavefront_size: 64
  - .args:
      - .offset:         0
        .size:           3616
        .value_kind:     by_value
      - .offset:         3616
        .size:           1
        .value_kind:     by_value
      - .offset:         3617
        .size:           1
        .value_kind:     by_value
      - .offset:         3624
        .size:           4
        .value_kind:     hidden_block_count_x
      - .offset:         3628
        .size:           4
        .value_kind:     hidden_block_count_y
      - .offset:         3632
        .size:           4
        .value_kind:     hidden_block_count_z
      - .offset:         3636
        .size:           2
        .value_kind:     hidden_group_size_x
      - .offset:         3638
        .size:           2
        .value_kind:     hidden_group_size_y
      - .offset:         3640
        .size:           2
        .value_kind:     hidden_group_size_z
      - .offset:         3642
        .size:           2
        .value_kind:     hidden_remainder_x
      - .offset:         3644
        .size:           2
        .value_kind:     hidden_remainder_y
      - .offset:         3646
        .size:           2
        .value_kind:     hidden_remainder_z
      - .offset:         3664
        .size:           8
        .value_kind:     hidden_global_offset_x
      - .offset:         3672
        .size:           8
        .value_kind:     hidden_global_offset_y
      - .offset:         3680
        .size:           8
        .value_kind:     hidden_global_offset_z
      - .offset:         3688
        .size:           2
        .value_kind:     hidden_grid_dims
    .group_segment_fixed_size: 0
    .kernarg_segment_align: 16
    .kernarg_segment_size: 3880
    .language:       OpenCL C
    .language_version:
      - 2
      - 0
    .max_flat_workgroup_size: 512
    .name:           _ZN2at6native12_GLOBAL__N_125multi_tensor_apply_kernelINS1_28TensorListScalarListMetadataIN3c107complexIdEELi4EEENS1_28PointwiseOpScalarListFunctorIS6_Li4ELi3ELi3EEEJSt10multipliesIS6_EEEEvT_T0_DpT1_
    .private_segment_fixed_size: 0
    .sgpr_count:     43
    .sgpr_spill_count: 0
    .symbol:         _ZN2at6native12_GLOBAL__N_125multi_tensor_apply_kernelINS1_28TensorListScalarListMetadataIN3c107complexIdEELi4EEENS1_28PointwiseOpScalarListFunctorIS6_Li4ELi3ELi3EEEJSt10multipliesIS6_EEEEvT_T0_DpT1_.kd
    .uniform_work_group_size: 1
    .uses_dynamic_stack: false
    .vgpr_count:     59
    .vgpr_spill_count: 0
    .wavefront_size: 64
  - .args:
      - .offset:         0
        .size:           3328
        .value_kind:     by_value
      - .offset:         3328
        .size:           1
        .value_kind:     by_value
      - .offset:         3329
        .size:           1
        .value_kind:     by_value
      - .offset:         3336
        .size:           4
        .value_kind:     hidden_block_count_x
      - .offset:         3340
        .size:           4
        .value_kind:     hidden_block_count_y
      - .offset:         3344
        .size:           4
        .value_kind:     hidden_block_count_z
      - .offset:         3348
        .size:           2
        .value_kind:     hidden_group_size_x
      - .offset:         3350
        .size:           2
        .value_kind:     hidden_group_size_y
      - .offset:         3352
        .size:           2
        .value_kind:     hidden_group_size_z
      - .offset:         3354
        .size:           2
        .value_kind:     hidden_remainder_x
      - .offset:         3356
        .size:           2
        .value_kind:     hidden_remainder_y
      - .offset:         3358
        .size:           2
        .value_kind:     hidden_remainder_z
      - .offset:         3376
        .size:           8
        .value_kind:     hidden_global_offset_x
      - .offset:         3384
        .size:           8
        .value_kind:     hidden_global_offset_y
      - .offset:         3392
        .size:           8
        .value_kind:     hidden_global_offset_z
      - .offset:         3400
        .size:           2
        .value_kind:     hidden_grid_dims
    .group_segment_fixed_size: 0
    .kernarg_segment_align: 8
    .kernarg_segment_size: 3592
    .language:       OpenCL C
    .language_version:
      - 2
      - 0
    .max_flat_workgroup_size: 512
    .name:           _ZN2at6native12_GLOBAL__N_125multi_tensor_apply_kernelINS1_28TensorListScalarListMetadataIN3c107complexIfEELi4EEENS1_28PointwiseOpScalarListFunctorIS6_Li4ELi3ELi3EEEJSt10multipliesIS6_EEEEvT_T0_DpT1_
    .private_segment_fixed_size: 0
    .sgpr_count:     41
    .sgpr_spill_count: 0
    .symbol:         _ZN2at6native12_GLOBAL__N_125multi_tensor_apply_kernelINS1_28TensorListScalarListMetadataIN3c107complexIfEELi4EEENS1_28PointwiseOpScalarListFunctorIS6_Li4ELi3ELi3EEEJSt10multipliesIS6_EEEEvT_T0_DpT1_.kd
    .uniform_work_group_size: 1
    .uses_dynamic_stack: false
    .vgpr_count:     34
    .vgpr_spill_count: 0
    .wavefront_size: 64
  - .args:
      - .offset:         0
        .size:           3184
        .value_kind:     by_value
      - .offset:         3184
        .size:           1
        .value_kind:     by_value
      - .offset:         3185
        .size:           1
        .value_kind:     by_value
      - .offset:         3192
        .size:           4
        .value_kind:     hidden_block_count_x
      - .offset:         3196
        .size:           4
        .value_kind:     hidden_block_count_y
      - .offset:         3200
        .size:           4
        .value_kind:     hidden_block_count_z
      - .offset:         3204
        .size:           2
        .value_kind:     hidden_group_size_x
      - .offset:         3206
        .size:           2
        .value_kind:     hidden_group_size_y
      - .offset:         3208
        .size:           2
        .value_kind:     hidden_group_size_z
      - .offset:         3210
        .size:           2
        .value_kind:     hidden_remainder_x
      - .offset:         3212
        .size:           2
        .value_kind:     hidden_remainder_y
      - .offset:         3214
        .size:           2
        .value_kind:     hidden_remainder_z
      - .offset:         3232
        .size:           8
        .value_kind:     hidden_global_offset_x
      - .offset:         3240
        .size:           8
        .value_kind:     hidden_global_offset_y
      - .offset:         3248
        .size:           8
        .value_kind:     hidden_global_offset_z
      - .offset:         3256
        .size:           2
        .value_kind:     hidden_grid_dims
    .group_segment_fixed_size: 0
    .kernarg_segment_align: 8
    .kernarg_segment_size: 3448
    .language:       OpenCL C
    .language_version:
      - 2
      - 0
    .max_flat_workgroup_size: 512
    .name:           _ZN2at6native12_GLOBAL__N_125multi_tensor_apply_kernelINS1_28TensorListScalarListMetadataIfLi4EEENS1_28PointwiseOpScalarListFunctorIN3c104HalfELi4ELi3ELi3EEEJSt10multipliesIfEEEEvT_T0_DpT1_
    .private_segment_fixed_size: 0
    .sgpr_count:     40
    .sgpr_spill_count: 0
    .symbol:         _ZN2at6native12_GLOBAL__N_125multi_tensor_apply_kernelINS1_28TensorListScalarListMetadataIfLi4EEENS1_28PointwiseOpScalarListFunctorIN3c104HalfELi4ELi3ELi3EEEJSt10multipliesIfEEEEvT_T0_DpT1_.kd
    .uniform_work_group_size: 1
    .uses_dynamic_stack: false
    .vgpr_count:     54
    .vgpr_spill_count: 0
    .wavefront_size: 64
  - .args:
      - .offset:         0
        .size:           3184
        .value_kind:     by_value
      - .offset:         3184
        .size:           1
        .value_kind:     by_value
      - .offset:         3185
        .size:           1
        .value_kind:     by_value
      - .offset:         3192
        .size:           4
        .value_kind:     hidden_block_count_x
      - .offset:         3196
        .size:           4
        .value_kind:     hidden_block_count_y
      - .offset:         3200
        .size:           4
        .value_kind:     hidden_block_count_z
      - .offset:         3204
        .size:           2
        .value_kind:     hidden_group_size_x
      - .offset:         3206
        .size:           2
        .value_kind:     hidden_group_size_y
      - .offset:         3208
        .size:           2
        .value_kind:     hidden_group_size_z
      - .offset:         3210
        .size:           2
        .value_kind:     hidden_remainder_x
      - .offset:         3212
        .size:           2
        .value_kind:     hidden_remainder_y
      - .offset:         3214
        .size:           2
        .value_kind:     hidden_remainder_z
      - .offset:         3232
        .size:           8
        .value_kind:     hidden_global_offset_x
      - .offset:         3240
        .size:           8
        .value_kind:     hidden_global_offset_y
      - .offset:         3248
        .size:           8
        .value_kind:     hidden_global_offset_z
      - .offset:         3256
        .size:           2
        .value_kind:     hidden_grid_dims
    .group_segment_fixed_size: 0
    .kernarg_segment_align: 8
    .kernarg_segment_size: 3448
    .language:       OpenCL C
    .language_version:
      - 2
      - 0
    .max_flat_workgroup_size: 512
    .name:           _ZN2at6native12_GLOBAL__N_125multi_tensor_apply_kernelINS1_28TensorListScalarListMetadataIfLi4EEENS1_28PointwiseOpScalarListFunctorIN3c108BFloat16ELi4ELi3ELi3EEEJSt10multipliesIfEEEEvT_T0_DpT1_
    .private_segment_fixed_size: 0
    .sgpr_count:     41
    .sgpr_spill_count: 0
    .symbol:         _ZN2at6native12_GLOBAL__N_125multi_tensor_apply_kernelINS1_28TensorListScalarListMetadataIfLi4EEENS1_28PointwiseOpScalarListFunctorIN3c108BFloat16ELi4ELi3ELi3EEEJSt10multipliesIfEEEEvT_T0_DpT1_.kd
    .uniform_work_group_size: 1
    .uses_dynamic_stack: false
    .vgpr_count:     55
    .vgpr_spill_count: 0
    .wavefront_size: 64
  - .args:
      - .offset:         0
        .size:           3184
        .value_kind:     by_value
      - .offset:         3184
        .size:           1
        .value_kind:     by_value
      - .offset:         3185
        .size:           1
        .value_kind:     by_value
      - .offset:         3192
        .size:           4
        .value_kind:     hidden_block_count_x
      - .offset:         3196
        .size:           4
        .value_kind:     hidden_block_count_y
      - .offset:         3200
        .size:           4
        .value_kind:     hidden_block_count_z
      - .offset:         3204
        .size:           2
        .value_kind:     hidden_group_size_x
      - .offset:         3206
        .size:           2
        .value_kind:     hidden_group_size_y
      - .offset:         3208
        .size:           2
        .value_kind:     hidden_group_size_z
      - .offset:         3210
        .size:           2
        .value_kind:     hidden_remainder_x
      - .offset:         3212
        .size:           2
        .value_kind:     hidden_remainder_y
      - .offset:         3214
        .size:           2
        .value_kind:     hidden_remainder_z
      - .offset:         3232
        .size:           8
        .value_kind:     hidden_global_offset_x
      - .offset:         3240
        .size:           8
        .value_kind:     hidden_global_offset_y
      - .offset:         3248
        .size:           8
        .value_kind:     hidden_global_offset_z
      - .offset:         3256
        .size:           2
        .value_kind:     hidden_grid_dims
    .group_segment_fixed_size: 0
    .kernarg_segment_align: 8
    .kernarg_segment_size: 3448
    .language:       OpenCL C
    .language_version:
      - 2
      - 0
    .max_flat_workgroup_size: 512
    .name:           _ZN2at6native12_GLOBAL__N_125multi_tensor_apply_kernelINS1_28TensorListScalarListMetadataIhLi3EEENS1_28PointwiseOpScalarListFunctorIhLi3ELi3ELi0EEEJSt10multipliesIhEEEEvT_T0_DpT1_
    .private_segment_fixed_size: 0
    .sgpr_count:     33
    .sgpr_spill_count: 0
    .symbol:         _ZN2at6native12_GLOBAL__N_125multi_tensor_apply_kernelINS1_28TensorListScalarListMetadataIhLi3EEENS1_28PointwiseOpScalarListFunctorIhLi3ELi3ELi0EEEJSt10multipliesIhEEEEvT_T0_DpT1_.kd
    .uniform_work_group_size: 1
    .uses_dynamic_stack: false
    .vgpr_count:     47
    .vgpr_spill_count: 0
    .wavefront_size: 64
  - .args:
      - .offset:         0
        .size:           3184
        .value_kind:     by_value
      - .offset:         3184
        .size:           1
        .value_kind:     by_value
      - .offset:         3185
        .size:           1
        .value_kind:     by_value
      - .offset:         3192
        .size:           4
        .value_kind:     hidden_block_count_x
      - .offset:         3196
        .size:           4
        .value_kind:     hidden_block_count_y
      - .offset:         3200
        .size:           4
        .value_kind:     hidden_block_count_z
      - .offset:         3204
        .size:           2
        .value_kind:     hidden_group_size_x
      - .offset:         3206
        .size:           2
        .value_kind:     hidden_group_size_y
      - .offset:         3208
        .size:           2
        .value_kind:     hidden_group_size_z
      - .offset:         3210
        .size:           2
        .value_kind:     hidden_remainder_x
      - .offset:         3212
        .size:           2
        .value_kind:     hidden_remainder_y
      - .offset:         3214
        .size:           2
        .value_kind:     hidden_remainder_z
      - .offset:         3232
        .size:           8
        .value_kind:     hidden_global_offset_x
      - .offset:         3240
        .size:           8
        .value_kind:     hidden_global_offset_y
      - .offset:         3248
        .size:           8
        .value_kind:     hidden_global_offset_z
      - .offset:         3256
        .size:           2
        .value_kind:     hidden_grid_dims
    .group_segment_fixed_size: 0
    .kernarg_segment_align: 8
    .kernarg_segment_size: 3448
    .language:       OpenCL C
    .language_version:
      - 2
      - 0
    .max_flat_workgroup_size: 512
    .name:           _ZN2at6native12_GLOBAL__N_125multi_tensor_apply_kernelINS1_28TensorListScalarListMetadataIaLi3EEENS1_28PointwiseOpScalarListFunctorIaLi3ELi3ELi0EEEJSt10multipliesIaEEEEvT_T0_DpT1_
    .private_segment_fixed_size: 0
    .sgpr_count:     33
    .sgpr_spill_count: 0
    .symbol:         _ZN2at6native12_GLOBAL__N_125multi_tensor_apply_kernelINS1_28TensorListScalarListMetadataIaLi3EEENS1_28PointwiseOpScalarListFunctorIaLi3ELi3ELi0EEEJSt10multipliesIaEEEEvT_T0_DpT1_.kd
    .uniform_work_group_size: 1
    .uses_dynamic_stack: false
    .vgpr_count:     47
    .vgpr_spill_count: 0
    .wavefront_size: 64
  - .args:
      - .offset:         0
        .size:           3328
        .value_kind:     by_value
      - .offset:         3328
        .size:           1
        .value_kind:     by_value
      - .offset:         3329
        .size:           1
        .value_kind:     by_value
      - .offset:         3336
        .size:           4
        .value_kind:     hidden_block_count_x
      - .offset:         3340
        .size:           4
        .value_kind:     hidden_block_count_y
      - .offset:         3344
        .size:           4
        .value_kind:     hidden_block_count_z
      - .offset:         3348
        .size:           2
        .value_kind:     hidden_group_size_x
      - .offset:         3350
        .size:           2
        .value_kind:     hidden_group_size_y
      - .offset:         3352
        .size:           2
        .value_kind:     hidden_group_size_z
      - .offset:         3354
        .size:           2
        .value_kind:     hidden_remainder_x
      - .offset:         3356
        .size:           2
        .value_kind:     hidden_remainder_y
      - .offset:         3358
        .size:           2
        .value_kind:     hidden_remainder_z
      - .offset:         3376
        .size:           8
        .value_kind:     hidden_global_offset_x
      - .offset:         3384
        .size:           8
        .value_kind:     hidden_global_offset_y
      - .offset:         3392
        .size:           8
        .value_kind:     hidden_global_offset_z
      - .offset:         3400
        .size:           2
        .value_kind:     hidden_grid_dims
    .group_segment_fixed_size: 0
    .kernarg_segment_align: 8
    .kernarg_segment_size: 3592
    .language:       OpenCL C
    .language_version:
      - 2
      - 0
    .max_flat_workgroup_size: 512
    .name:           _ZN2at6native12_GLOBAL__N_125multi_tensor_apply_kernelINS1_28TensorListScalarListMetadataIiLi3EEENS1_28PointwiseOpScalarListFunctorIiLi3ELi3ELi0EEEJSt10multipliesIiEEEEvT_T0_DpT1_
    .private_segment_fixed_size: 0
    .sgpr_count:     35
    .sgpr_spill_count: 0
    .symbol:         _ZN2at6native12_GLOBAL__N_125multi_tensor_apply_kernelINS1_28TensorListScalarListMetadataIiLi3EEENS1_28PointwiseOpScalarListFunctorIiLi3ELi3ELi0EEEJSt10multipliesIiEEEEvT_T0_DpT1_.kd
    .uniform_work_group_size: 1
    .uses_dynamic_stack: false
    .vgpr_count:     46
    .vgpr_spill_count: 0
    .wavefront_size: 64
  - .args:
      - .offset:         0
        .size:           3520
        .value_kind:     by_value
      - .offset:         3520
        .size:           1
        .value_kind:     by_value
      - .offset:         3521
        .size:           1
        .value_kind:     by_value
      - .offset:         3528
        .size:           4
        .value_kind:     hidden_block_count_x
      - .offset:         3532
        .size:           4
        .value_kind:     hidden_block_count_y
      - .offset:         3536
        .size:           4
        .value_kind:     hidden_block_count_z
      - .offset:         3540
        .size:           2
        .value_kind:     hidden_group_size_x
      - .offset:         3542
        .size:           2
        .value_kind:     hidden_group_size_y
      - .offset:         3544
        .size:           2
        .value_kind:     hidden_group_size_z
      - .offset:         3546
        .size:           2
        .value_kind:     hidden_remainder_x
      - .offset:         3548
        .size:           2
        .value_kind:     hidden_remainder_y
      - .offset:         3550
        .size:           2
        .value_kind:     hidden_remainder_z
      - .offset:         3568
        .size:           8
        .value_kind:     hidden_global_offset_x
      - .offset:         3576
        .size:           8
        .value_kind:     hidden_global_offset_y
      - .offset:         3584
        .size:           8
        .value_kind:     hidden_global_offset_z
      - .offset:         3592
        .size:           2
        .value_kind:     hidden_grid_dims
    .group_segment_fixed_size: 0
    .kernarg_segment_align: 8
    .kernarg_segment_size: 3784
    .language:       OpenCL C
    .language_version:
      - 2
      - 0
    .max_flat_workgroup_size: 512
    .name:           _ZN2at6native12_GLOBAL__N_125multi_tensor_apply_kernelINS1_28TensorListScalarListMetadataIlLi3EEENS1_28PointwiseOpScalarListFunctorIlLi3ELi3ELi0EEEJSt10multipliesIlEEEEvT_T0_DpT1_
    .private_segment_fixed_size: 0
    .sgpr_count:     36
    .sgpr_spill_count: 0
    .symbol:         _ZN2at6native12_GLOBAL__N_125multi_tensor_apply_kernelINS1_28TensorListScalarListMetadataIlLi3EEENS1_28PointwiseOpScalarListFunctorIlLi3ELi3ELi0EEEJSt10multipliesIlEEEEvT_T0_DpT1_.kd
    .uniform_work_group_size: 1
    .uses_dynamic_stack: false
    .vgpr_count:     59
    .vgpr_spill_count: 0
    .wavefront_size: 64
  - .args:
      - .offset:         0
        .size:           3232
        .value_kind:     by_value
      - .offset:         3232
        .size:           1
        .value_kind:     by_value
      - .offset:         3233
        .size:           1
        .value_kind:     by_value
      - .offset:         3240
        .size:           4
        .value_kind:     hidden_block_count_x
      - .offset:         3244
        .size:           4
        .value_kind:     hidden_block_count_y
      - .offset:         3248
        .size:           4
        .value_kind:     hidden_block_count_z
      - .offset:         3252
        .size:           2
        .value_kind:     hidden_group_size_x
      - .offset:         3254
        .size:           2
        .value_kind:     hidden_group_size_y
      - .offset:         3256
        .size:           2
        .value_kind:     hidden_group_size_z
      - .offset:         3258
        .size:           2
        .value_kind:     hidden_remainder_x
      - .offset:         3260
        .size:           2
        .value_kind:     hidden_remainder_y
      - .offset:         3262
        .size:           2
        .value_kind:     hidden_remainder_z
      - .offset:         3280
        .size:           8
        .value_kind:     hidden_global_offset_x
      - .offset:         3288
        .size:           8
        .value_kind:     hidden_global_offset_y
      - .offset:         3296
        .size:           8
        .value_kind:     hidden_global_offset_z
      - .offset:         3304
        .size:           2
        .value_kind:     hidden_grid_dims
    .group_segment_fixed_size: 0
    .kernarg_segment_align: 8
    .kernarg_segment_size: 3496
    .language:       OpenCL C
    .language_version:
      - 2
      - 0
    .max_flat_workgroup_size: 512
    .name:           _ZN2at6native12_GLOBAL__N_125multi_tensor_apply_kernelINS1_28TensorListScalarListMetadataIsLi3EEENS1_28PointwiseOpScalarListFunctorIsLi3ELi3ELi0EEEJSt10multipliesIsEEEEvT_T0_DpT1_
    .private_segment_fixed_size: 0
    .sgpr_count:     34
    .sgpr_spill_count: 0
    .symbol:         _ZN2at6native12_GLOBAL__N_125multi_tensor_apply_kernelINS1_28TensorListScalarListMetadataIsLi3EEENS1_28PointwiseOpScalarListFunctorIsLi3ELi3ELi0EEEJSt10multipliesIsEEEEvT_T0_DpT1_.kd
    .uniform_work_group_size: 1
    .uses_dynamic_stack: false
    .vgpr_count:     47
    .vgpr_spill_count: 0
    .wavefront_size: 64
  - .args:
      - .offset:         0
        .size:           3520
        .value_kind:     by_value
      - .offset:         3520
        .size:           1
        .value_kind:     by_value
      - .offset:         3521
        .size:           1
        .value_kind:     by_value
      - .offset:         3528
        .size:           4
        .value_kind:     hidden_block_count_x
      - .offset:         3532
        .size:           4
        .value_kind:     hidden_block_count_y
      - .offset:         3536
        .size:           4
        .value_kind:     hidden_block_count_z
      - .offset:         3540
        .size:           2
        .value_kind:     hidden_group_size_x
      - .offset:         3542
        .size:           2
        .value_kind:     hidden_group_size_y
      - .offset:         3544
        .size:           2
        .value_kind:     hidden_group_size_z
      - .offset:         3546
        .size:           2
        .value_kind:     hidden_remainder_x
      - .offset:         3548
        .size:           2
        .value_kind:     hidden_remainder_y
      - .offset:         3550
        .size:           2
        .value_kind:     hidden_remainder_z
      - .offset:         3568
        .size:           8
        .value_kind:     hidden_global_offset_x
      - .offset:         3576
        .size:           8
        .value_kind:     hidden_global_offset_y
      - .offset:         3584
        .size:           8
        .value_kind:     hidden_global_offset_z
      - .offset:         3592
        .size:           2
        .value_kind:     hidden_grid_dims
    .group_segment_fixed_size: 0
    .kernarg_segment_align: 8
    .kernarg_segment_size: 3784
    .language:       OpenCL C
    .language_version:
      - 2
      - 0
    .max_flat_workgroup_size: 512
    .name:           _ZN2at6native12_GLOBAL__N_125multi_tensor_apply_kernelINS1_28TensorListScalarListMetadataIdLi3EEENS1_28PointwiseOpScalarListFunctorIdLi3ELi3ELi0EEEJSt10multipliesIdEEEEvT_T0_DpT1_
    .private_segment_fixed_size: 0
    .sgpr_count:     41
    .sgpr_spill_count: 0
    .symbol:         _ZN2at6native12_GLOBAL__N_125multi_tensor_apply_kernelINS1_28TensorListScalarListMetadataIdLi3EEENS1_28PointwiseOpScalarListFunctorIdLi3ELi3ELi0EEEJSt10multipliesIdEEEEvT_T0_DpT1_.kd
    .uniform_work_group_size: 1
    .uses_dynamic_stack: false
    .vgpr_count:     59
    .vgpr_spill_count: 0
    .wavefront_size: 64
  - .args:
      - .offset:         0
        .size:           3328
        .value_kind:     by_value
      - .offset:         3328
        .size:           1
        .value_kind:     by_value
      - .offset:         3329
        .size:           1
        .value_kind:     by_value
      - .offset:         3336
        .size:           4
        .value_kind:     hidden_block_count_x
      - .offset:         3340
        .size:           4
        .value_kind:     hidden_block_count_y
      - .offset:         3344
        .size:           4
        .value_kind:     hidden_block_count_z
      - .offset:         3348
        .size:           2
        .value_kind:     hidden_group_size_x
      - .offset:         3350
        .size:           2
        .value_kind:     hidden_group_size_y
      - .offset:         3352
        .size:           2
        .value_kind:     hidden_group_size_z
      - .offset:         3354
        .size:           2
        .value_kind:     hidden_remainder_x
      - .offset:         3356
        .size:           2
        .value_kind:     hidden_remainder_y
      - .offset:         3358
        .size:           2
        .value_kind:     hidden_remainder_z
      - .offset:         3376
        .size:           8
        .value_kind:     hidden_global_offset_x
      - .offset:         3384
        .size:           8
        .value_kind:     hidden_global_offset_y
      - .offset:         3392
        .size:           8
        .value_kind:     hidden_global_offset_z
      - .offset:         3400
        .size:           2
        .value_kind:     hidden_grid_dims
    .group_segment_fixed_size: 0
    .kernarg_segment_align: 8
    .kernarg_segment_size: 3592
    .language:       OpenCL C
    .language_version:
      - 2
      - 0
    .max_flat_workgroup_size: 512
    .name:           _ZN2at6native12_GLOBAL__N_125multi_tensor_apply_kernelINS1_28TensorListScalarListMetadataIfLi3EEENS1_28PointwiseOpScalarListFunctorIfLi3ELi3ELi0EEEJSt10multipliesIfEEEEvT_T0_DpT1_
    .private_segment_fixed_size: 0
    .sgpr_count:     38
    .sgpr_spill_count: 0
    .symbol:         _ZN2at6native12_GLOBAL__N_125multi_tensor_apply_kernelINS1_28TensorListScalarListMetadataIfLi3EEENS1_28PointwiseOpScalarListFunctorIfLi3ELi3ELi0EEEJSt10multipliesIfEEEEvT_T0_DpT1_.kd
    .uniform_work_group_size: 1
    .uses_dynamic_stack: false
    .vgpr_count:     46
    .vgpr_spill_count: 0
    .wavefront_size: 64
  - .args:
      - .offset:         0
        .size:           3904
        .value_kind:     by_value
      - .offset:         3904
        .size:           1
        .value_kind:     by_value
      - .offset:         3905
        .size:           1
        .value_kind:     by_value
      - .offset:         3912
        .size:           4
        .value_kind:     hidden_block_count_x
      - .offset:         3916
        .size:           4
        .value_kind:     hidden_block_count_y
      - .offset:         3920
        .size:           4
        .value_kind:     hidden_block_count_z
      - .offset:         3924
        .size:           2
        .value_kind:     hidden_group_size_x
      - .offset:         3926
        .size:           2
        .value_kind:     hidden_group_size_y
      - .offset:         3928
        .size:           2
        .value_kind:     hidden_group_size_z
      - .offset:         3930
        .size:           2
        .value_kind:     hidden_remainder_x
      - .offset:         3932
        .size:           2
        .value_kind:     hidden_remainder_y
      - .offset:         3934
        .size:           2
        .value_kind:     hidden_remainder_z
      - .offset:         3952
        .size:           8
        .value_kind:     hidden_global_offset_x
      - .offset:         3960
        .size:           8
        .value_kind:     hidden_global_offset_y
      - .offset:         3968
        .size:           8
        .value_kind:     hidden_global_offset_z
      - .offset:         3976
        .size:           2
        .value_kind:     hidden_grid_dims
    .group_segment_fixed_size: 0
    .kernarg_segment_align: 16
    .kernarg_segment_size: 4168
    .language:       OpenCL C
    .language_version:
      - 2
      - 0
    .max_flat_workgroup_size: 512
    .name:           _ZN2at6native12_GLOBAL__N_125multi_tensor_apply_kernelINS1_28TensorListScalarListMetadataIN3c107complexIdEELi3EEENS1_28PointwiseOpScalarListFunctorIS6_Li3ELi3ELi0EEEJSt10multipliesIS6_EEEEvT_T0_DpT1_
    .private_segment_fixed_size: 0
    .sgpr_count:     41
    .sgpr_spill_count: 0
    .symbol:         _ZN2at6native12_GLOBAL__N_125multi_tensor_apply_kernelINS1_28TensorListScalarListMetadataIN3c107complexIdEELi3EEENS1_28PointwiseOpScalarListFunctorIS6_Li3ELi3ELi0EEEJSt10multipliesIS6_EEEEvT_T0_DpT1_.kd
    .uniform_work_group_size: 1
    .uses_dynamic_stack: false
    .vgpr_count:     59
    .vgpr_spill_count: 0
    .wavefront_size: 64
  - .args:
      - .offset:         0
        .size:           3520
        .value_kind:     by_value
      - .offset:         3520
        .size:           1
        .value_kind:     by_value
      - .offset:         3521
        .size:           1
        .value_kind:     by_value
      - .offset:         3528
        .size:           4
        .value_kind:     hidden_block_count_x
      - .offset:         3532
        .size:           4
        .value_kind:     hidden_block_count_y
      - .offset:         3536
        .size:           4
        .value_kind:     hidden_block_count_z
      - .offset:         3540
        .size:           2
        .value_kind:     hidden_group_size_x
      - .offset:         3542
        .size:           2
        .value_kind:     hidden_group_size_y
      - .offset:         3544
        .size:           2
        .value_kind:     hidden_group_size_z
      - .offset:         3546
        .size:           2
        .value_kind:     hidden_remainder_x
      - .offset:         3548
        .size:           2
        .value_kind:     hidden_remainder_y
      - .offset:         3550
        .size:           2
        .value_kind:     hidden_remainder_z
      - .offset:         3568
        .size:           8
        .value_kind:     hidden_global_offset_x
      - .offset:         3576
        .size:           8
        .value_kind:     hidden_global_offset_y
      - .offset:         3584
        .size:           8
        .value_kind:     hidden_global_offset_z
      - .offset:         3592
        .size:           2
        .value_kind:     hidden_grid_dims
    .group_segment_fixed_size: 0
    .kernarg_segment_align: 8
    .kernarg_segment_size: 3784
    .language:       OpenCL C
    .language_version:
      - 2
      - 0
    .max_flat_workgroup_size: 512
    .name:           _ZN2at6native12_GLOBAL__N_125multi_tensor_apply_kernelINS1_28TensorListScalarListMetadataIN3c107complexIfEELi3EEENS1_28PointwiseOpScalarListFunctorIS6_Li3ELi3ELi0EEEJSt10multipliesIS6_EEEEvT_T0_DpT1_
    .private_segment_fixed_size: 0
    .sgpr_count:     39
    .sgpr_spill_count: 0
    .symbol:         _ZN2at6native12_GLOBAL__N_125multi_tensor_apply_kernelINS1_28TensorListScalarListMetadataIN3c107complexIfEELi3EEENS1_28PointwiseOpScalarListFunctorIS6_Li3ELi3ELi0EEEJSt10multipliesIS6_EEEEvT_T0_DpT1_.kd
    .uniform_work_group_size: 1
    .uses_dynamic_stack: false
    .vgpr_count:     56
    .vgpr_spill_count: 0
    .wavefront_size: 64
  - .args:
      - .offset:         0
        .size:           3328
        .value_kind:     by_value
      - .offset:         3328
        .size:           1
        .value_kind:     by_value
      - .offset:         3329
        .size:           1
        .value_kind:     by_value
      - .offset:         3336
        .size:           4
        .value_kind:     hidden_block_count_x
      - .offset:         3340
        .size:           4
        .value_kind:     hidden_block_count_y
      - .offset:         3344
        .size:           4
        .value_kind:     hidden_block_count_z
      - .offset:         3348
        .size:           2
        .value_kind:     hidden_group_size_x
      - .offset:         3350
        .size:           2
        .value_kind:     hidden_group_size_y
      - .offset:         3352
        .size:           2
        .value_kind:     hidden_group_size_z
      - .offset:         3354
        .size:           2
        .value_kind:     hidden_remainder_x
      - .offset:         3356
        .size:           2
        .value_kind:     hidden_remainder_y
      - .offset:         3358
        .size:           2
        .value_kind:     hidden_remainder_z
      - .offset:         3376
        .size:           8
        .value_kind:     hidden_global_offset_x
      - .offset:         3384
        .size:           8
        .value_kind:     hidden_global_offset_y
      - .offset:         3392
        .size:           8
        .value_kind:     hidden_global_offset_z
      - .offset:         3400
        .size:           2
        .value_kind:     hidden_grid_dims
    .group_segment_fixed_size: 0
    .kernarg_segment_align: 8
    .kernarg_segment_size: 3592
    .language:       OpenCL C
    .language_version:
      - 2
      - 0
    .max_flat_workgroup_size: 512
    .name:           _ZN2at6native12_GLOBAL__N_125multi_tensor_apply_kernelINS1_28TensorListScalarListMetadataIfLi3EEENS1_28PointwiseOpScalarListFunctorIN3c104HalfELi3ELi3ELi0EEEJSt10multipliesIfEEEEvT_T0_DpT1_
    .private_segment_fixed_size: 0
    .sgpr_count:     38
    .sgpr_spill_count: 0
    .symbol:         _ZN2at6native12_GLOBAL__N_125multi_tensor_apply_kernelINS1_28TensorListScalarListMetadataIfLi3EEENS1_28PointwiseOpScalarListFunctorIN3c104HalfELi3ELi3ELi0EEEJSt10multipliesIfEEEEvT_T0_DpT1_.kd
    .uniform_work_group_size: 1
    .uses_dynamic_stack: false
    .vgpr_count:     46
    .vgpr_spill_count: 0
    .wavefront_size: 64
  - .args:
      - .offset:         0
        .size:           3328
        .value_kind:     by_value
      - .offset:         3328
        .size:           1
        .value_kind:     by_value
      - .offset:         3329
        .size:           1
        .value_kind:     by_value
      - .offset:         3336
        .size:           4
        .value_kind:     hidden_block_count_x
      - .offset:         3340
        .size:           4
        .value_kind:     hidden_block_count_y
      - .offset:         3344
        .size:           4
        .value_kind:     hidden_block_count_z
      - .offset:         3348
        .size:           2
        .value_kind:     hidden_group_size_x
      - .offset:         3350
        .size:           2
        .value_kind:     hidden_group_size_y
      - .offset:         3352
        .size:           2
        .value_kind:     hidden_group_size_z
      - .offset:         3354
        .size:           2
        .value_kind:     hidden_remainder_x
      - .offset:         3356
        .size:           2
        .value_kind:     hidden_remainder_y
      - .offset:         3358
        .size:           2
        .value_kind:     hidden_remainder_z
      - .offset:         3376
        .size:           8
        .value_kind:     hidden_global_offset_x
      - .offset:         3384
        .size:           8
        .value_kind:     hidden_global_offset_y
      - .offset:         3392
        .size:           8
        .value_kind:     hidden_global_offset_z
      - .offset:         3400
        .size:           2
        .value_kind:     hidden_grid_dims
    .group_segment_fixed_size: 0
    .kernarg_segment_align: 8
    .kernarg_segment_size: 3592
    .language:       OpenCL C
    .language_version:
      - 2
      - 0
    .max_flat_workgroup_size: 512
    .name:           _ZN2at6native12_GLOBAL__N_125multi_tensor_apply_kernelINS1_28TensorListScalarListMetadataIfLi3EEENS1_28PointwiseOpScalarListFunctorIN3c108BFloat16ELi3ELi3ELi0EEEJSt10multipliesIfEEEEvT_T0_DpT1_
    .private_segment_fixed_size: 0
    .sgpr_count:     39
    .sgpr_spill_count: 0
    .symbol:         _ZN2at6native12_GLOBAL__N_125multi_tensor_apply_kernelINS1_28TensorListScalarListMetadataIfLi3EEENS1_28PointwiseOpScalarListFunctorIN3c108BFloat16ELi3ELi3ELi0EEEJSt10multipliesIfEEEEvT_T0_DpT1_.kd
    .uniform_work_group_size: 1
    .uses_dynamic_stack: false
    .vgpr_count:     47
    .vgpr_spill_count: 0
    .wavefront_size: 64
  - .args:
      - .offset:         0
        .size:           3080
        .value_kind:     by_value
      - .offset:         3080
        .size:           1
        .value_kind:     by_value
      - .offset:         3081
        .size:           1
        .value_kind:     by_value
      - .offset:         3088
        .size:           4
        .value_kind:     hidden_block_count_x
      - .offset:         3092
        .size:           4
        .value_kind:     hidden_block_count_y
      - .offset:         3096
        .size:           4
        .value_kind:     hidden_block_count_z
      - .offset:         3100
        .size:           2
        .value_kind:     hidden_group_size_x
      - .offset:         3102
        .size:           2
        .value_kind:     hidden_group_size_y
      - .offset:         3104
        .size:           2
        .value_kind:     hidden_group_size_z
      - .offset:         3106
        .size:           2
        .value_kind:     hidden_remainder_x
      - .offset:         3108
        .size:           2
        .value_kind:     hidden_remainder_y
      - .offset:         3110
        .size:           2
        .value_kind:     hidden_remainder_z
      - .offset:         3128
        .size:           8
        .value_kind:     hidden_global_offset_x
      - .offset:         3136
        .size:           8
        .value_kind:     hidden_global_offset_y
      - .offset:         3144
        .size:           8
        .value_kind:     hidden_global_offset_z
      - .offset:         3152
        .size:           2
        .value_kind:     hidden_grid_dims
    .group_segment_fixed_size: 0
    .kernarg_segment_align: 8
    .kernarg_segment_size: 3344
    .language:       OpenCL C
    .language_version:
      - 2
      - 0
    .max_flat_workgroup_size: 512
    .name:           _ZN2at6native12_GLOBAL__N_125multi_tensor_apply_kernelINS1_28TensorListScalarListMetadataIhLi4EEENS1_28PointwiseOpScalarListFunctorIhLi4ELi3ELi3EEEJSt7dividesIhEEEEvT_T0_DpT1_
    .private_segment_fixed_size: 0
    .sgpr_count:     29
    .sgpr_spill_count: 0
    .symbol:         _ZN2at6native12_GLOBAL__N_125multi_tensor_apply_kernelINS1_28TensorListScalarListMetadataIhLi4EEENS1_28PointwiseOpScalarListFunctorIhLi4ELi3ELi3EEEJSt7dividesIhEEEEvT_T0_DpT1_.kd
    .uniform_work_group_size: 1
    .uses_dynamic_stack: false
    .vgpr_count:     55
    .vgpr_spill_count: 0
    .wavefront_size: 64
  - .args:
      - .offset:         0
        .size:           3080
        .value_kind:     by_value
      - .offset:         3080
        .size:           1
        .value_kind:     by_value
      - .offset:         3081
        .size:           1
        .value_kind:     by_value
      - .offset:         3088
        .size:           4
        .value_kind:     hidden_block_count_x
      - .offset:         3092
        .size:           4
        .value_kind:     hidden_block_count_y
      - .offset:         3096
        .size:           4
        .value_kind:     hidden_block_count_z
      - .offset:         3100
        .size:           2
        .value_kind:     hidden_group_size_x
      - .offset:         3102
        .size:           2
        .value_kind:     hidden_group_size_y
      - .offset:         3104
        .size:           2
        .value_kind:     hidden_group_size_z
      - .offset:         3106
        .size:           2
        .value_kind:     hidden_remainder_x
      - .offset:         3108
        .size:           2
        .value_kind:     hidden_remainder_y
      - .offset:         3110
        .size:           2
        .value_kind:     hidden_remainder_z
      - .offset:         3128
        .size:           8
        .value_kind:     hidden_global_offset_x
      - .offset:         3136
        .size:           8
        .value_kind:     hidden_global_offset_y
      - .offset:         3144
        .size:           8
        .value_kind:     hidden_global_offset_z
      - .offset:         3152
        .size:           2
        .value_kind:     hidden_grid_dims
    .group_segment_fixed_size: 0
    .kernarg_segment_align: 8
    .kernarg_segment_size: 3344
    .language:       OpenCL C
    .language_version:
      - 2
      - 0
    .max_flat_workgroup_size: 512
    .name:           _ZN2at6native12_GLOBAL__N_125multi_tensor_apply_kernelINS1_28TensorListScalarListMetadataIaLi4EEENS1_28PointwiseOpScalarListFunctorIaLi4ELi3ELi3EEEJSt7dividesIaEEEEvT_T0_DpT1_
    .private_segment_fixed_size: 0
    .sgpr_count:     40
    .sgpr_spill_count: 0
    .symbol:         _ZN2at6native12_GLOBAL__N_125multi_tensor_apply_kernelINS1_28TensorListScalarListMetadataIaLi4EEENS1_28PointwiseOpScalarListFunctorIaLi4ELi3ELi3EEEJSt7dividesIaEEEEvT_T0_DpT1_.kd
    .uniform_work_group_size: 1
    .uses_dynamic_stack: false
    .vgpr_count:     56
    .vgpr_spill_count: 0
    .wavefront_size: 64
  - .args:
      - .offset:         0
        .size:           3184
        .value_kind:     by_value
      - .offset:         3184
        .size:           1
        .value_kind:     by_value
      - .offset:         3185
        .size:           1
        .value_kind:     by_value
      - .offset:         3192
        .size:           4
        .value_kind:     hidden_block_count_x
      - .offset:         3196
        .size:           4
        .value_kind:     hidden_block_count_y
      - .offset:         3200
        .size:           4
        .value_kind:     hidden_block_count_z
      - .offset:         3204
        .size:           2
        .value_kind:     hidden_group_size_x
      - .offset:         3206
        .size:           2
        .value_kind:     hidden_group_size_y
      - .offset:         3208
        .size:           2
        .value_kind:     hidden_group_size_z
      - .offset:         3210
        .size:           2
        .value_kind:     hidden_remainder_x
      - .offset:         3212
        .size:           2
        .value_kind:     hidden_remainder_y
      - .offset:         3214
        .size:           2
        .value_kind:     hidden_remainder_z
      - .offset:         3232
        .size:           8
        .value_kind:     hidden_global_offset_x
      - .offset:         3240
        .size:           8
        .value_kind:     hidden_global_offset_y
      - .offset:         3248
        .size:           8
        .value_kind:     hidden_global_offset_z
      - .offset:         3256
        .size:           2
        .value_kind:     hidden_grid_dims
    .group_segment_fixed_size: 0
    .kernarg_segment_align: 8
    .kernarg_segment_size: 3448
    .language:       OpenCL C
    .language_version:
      - 2
      - 0
    .max_flat_workgroup_size: 512
    .name:           _ZN2at6native12_GLOBAL__N_125multi_tensor_apply_kernelINS1_28TensorListScalarListMetadataIiLi4EEENS1_28PointwiseOpScalarListFunctorIiLi4ELi3ELi3EEEJSt7dividesIiEEEEvT_T0_DpT1_
    .private_segment_fixed_size: 0
    .sgpr_count:     40
    .sgpr_spill_count: 0
    .symbol:         _ZN2at6native12_GLOBAL__N_125multi_tensor_apply_kernelINS1_28TensorListScalarListMetadataIiLi4EEENS1_28PointwiseOpScalarListFunctorIiLi4ELi3ELi3EEEJSt7dividesIiEEEEvT_T0_DpT1_.kd
    .uniform_work_group_size: 1
    .uses_dynamic_stack: false
    .vgpr_count:     63
    .vgpr_spill_count: 0
    .wavefront_size: 64
  - .args:
      - .offset:         0
        .size:           3328
        .value_kind:     by_value
      - .offset:         3328
        .size:           1
        .value_kind:     by_value
      - .offset:         3329
        .size:           1
        .value_kind:     by_value
      - .offset:         3336
        .size:           4
        .value_kind:     hidden_block_count_x
      - .offset:         3340
        .size:           4
        .value_kind:     hidden_block_count_y
      - .offset:         3344
        .size:           4
        .value_kind:     hidden_block_count_z
      - .offset:         3348
        .size:           2
        .value_kind:     hidden_group_size_x
      - .offset:         3350
        .size:           2
        .value_kind:     hidden_group_size_y
      - .offset:         3352
        .size:           2
        .value_kind:     hidden_group_size_z
      - .offset:         3354
        .size:           2
        .value_kind:     hidden_remainder_x
      - .offset:         3356
        .size:           2
        .value_kind:     hidden_remainder_y
      - .offset:         3358
        .size:           2
        .value_kind:     hidden_remainder_z
      - .offset:         3376
        .size:           8
        .value_kind:     hidden_global_offset_x
      - .offset:         3384
        .size:           8
        .value_kind:     hidden_global_offset_y
      - .offset:         3392
        .size:           8
        .value_kind:     hidden_global_offset_z
      - .offset:         3400
        .size:           2
        .value_kind:     hidden_grid_dims
    .group_segment_fixed_size: 0
    .kernarg_segment_align: 8
    .kernarg_segment_size: 3592
    .language:       OpenCL C
    .language_version:
      - 2
      - 0
    .max_flat_workgroup_size: 512
    .name:           _ZN2at6native12_GLOBAL__N_125multi_tensor_apply_kernelINS1_28TensorListScalarListMetadataIlLi4EEENS1_28PointwiseOpScalarListFunctorIlLi4ELi3ELi3EEEJSt7dividesIlEEEEvT_T0_DpT1_
    .private_segment_fixed_size: 0
    .sgpr_count:     40
    .sgpr_spill_count: 0
    .symbol:         _ZN2at6native12_GLOBAL__N_125multi_tensor_apply_kernelINS1_28TensorListScalarListMetadataIlLi4EEENS1_28PointwiseOpScalarListFunctorIlLi4ELi3ELi3EEEJSt7dividesIlEEEEvT_T0_DpT1_.kd
    .uniform_work_group_size: 1
    .uses_dynamic_stack: false
    .vgpr_count:     76
    .vgpr_spill_count: 0
    .wavefront_size: 64
  - .args:
      - .offset:         0
        .size:           3112
        .value_kind:     by_value
      - .offset:         3112
        .size:           1
        .value_kind:     by_value
      - .offset:         3113
        .size:           1
        .value_kind:     by_value
      - .offset:         3120
        .size:           4
        .value_kind:     hidden_block_count_x
      - .offset:         3124
        .size:           4
        .value_kind:     hidden_block_count_y
      - .offset:         3128
        .size:           4
        .value_kind:     hidden_block_count_z
      - .offset:         3132
        .size:           2
        .value_kind:     hidden_group_size_x
      - .offset:         3134
        .size:           2
        .value_kind:     hidden_group_size_y
      - .offset:         3136
        .size:           2
        .value_kind:     hidden_group_size_z
      - .offset:         3138
        .size:           2
        .value_kind:     hidden_remainder_x
      - .offset:         3140
        .size:           2
        .value_kind:     hidden_remainder_y
      - .offset:         3142
        .size:           2
        .value_kind:     hidden_remainder_z
      - .offset:         3160
        .size:           8
        .value_kind:     hidden_global_offset_x
      - .offset:         3168
        .size:           8
        .value_kind:     hidden_global_offset_y
      - .offset:         3176
        .size:           8
        .value_kind:     hidden_global_offset_z
      - .offset:         3184
        .size:           2
        .value_kind:     hidden_grid_dims
    .group_segment_fixed_size: 0
    .kernarg_segment_align: 8
    .kernarg_segment_size: 3376
    .language:       OpenCL C
    .language_version:
      - 2
      - 0
    .max_flat_workgroup_size: 512
    .name:           _ZN2at6native12_GLOBAL__N_125multi_tensor_apply_kernelINS1_28TensorListScalarListMetadataIsLi4EEENS1_28PointwiseOpScalarListFunctorIsLi4ELi3ELi3EEEJSt7dividesIsEEEEvT_T0_DpT1_
    .private_segment_fixed_size: 0
    .sgpr_count:     41
    .sgpr_spill_count: 0
    .symbol:         _ZN2at6native12_GLOBAL__N_125multi_tensor_apply_kernelINS1_28TensorListScalarListMetadataIsLi4EEENS1_28PointwiseOpScalarListFunctorIsLi4ELi3ELi3EEEJSt7dividesIsEEEEvT_T0_DpT1_.kd
    .uniform_work_group_size: 1
    .uses_dynamic_stack: false
    .vgpr_count:     56
    .vgpr_spill_count: 0
    .wavefront_size: 64
  - .args:
      - .offset:         0
        .size:           3328
        .value_kind:     by_value
      - .offset:         3328
        .size:           1
        .value_kind:     by_value
      - .offset:         3329
        .size:           1
        .value_kind:     by_value
      - .offset:         3336
        .size:           4
        .value_kind:     hidden_block_count_x
      - .offset:         3340
        .size:           4
        .value_kind:     hidden_block_count_y
      - .offset:         3344
        .size:           4
        .value_kind:     hidden_block_count_z
      - .offset:         3348
        .size:           2
        .value_kind:     hidden_group_size_x
      - .offset:         3350
        .size:           2
        .value_kind:     hidden_group_size_y
      - .offset:         3352
        .size:           2
        .value_kind:     hidden_group_size_z
      - .offset:         3354
        .size:           2
        .value_kind:     hidden_remainder_x
      - .offset:         3356
        .size:           2
        .value_kind:     hidden_remainder_y
      - .offset:         3358
        .size:           2
        .value_kind:     hidden_remainder_z
      - .offset:         3376
        .size:           8
        .value_kind:     hidden_global_offset_x
      - .offset:         3384
        .size:           8
        .value_kind:     hidden_global_offset_y
      - .offset:         3392
        .size:           8
        .value_kind:     hidden_global_offset_z
      - .offset:         3400
        .size:           2
        .value_kind:     hidden_grid_dims
    .group_segment_fixed_size: 0
    .kernarg_segment_align: 8
    .kernarg_segment_size: 3592
    .language:       OpenCL C
    .language_version:
      - 2
      - 0
    .max_flat_workgroup_size: 512
    .name:           _ZN2at6native12_GLOBAL__N_125multi_tensor_apply_kernelINS1_28TensorListScalarListMetadataIdLi4EEENS1_28PointwiseOpScalarListFunctorIdLi4ELi3ELi3EEEJSt7dividesIdEEEEvT_T0_DpT1_
    .private_segment_fixed_size: 0
    .sgpr_count:     41
    .sgpr_spill_count: 0
    .symbol:         _ZN2at6native12_GLOBAL__N_125multi_tensor_apply_kernelINS1_28TensorListScalarListMetadataIdLi4EEENS1_28PointwiseOpScalarListFunctorIdLi4ELi3ELi3EEEJSt7dividesIdEEEEvT_T0_DpT1_.kd
    .uniform_work_group_size: 1
    .uses_dynamic_stack: false
    .vgpr_count:     71
    .vgpr_spill_count: 0
    .wavefront_size: 64
  - .args:
      - .offset:         0
        .size:           3184
        .value_kind:     by_value
      - .offset:         3184
        .size:           1
        .value_kind:     by_value
      - .offset:         3185
        .size:           1
        .value_kind:     by_value
      - .offset:         3192
        .size:           4
        .value_kind:     hidden_block_count_x
      - .offset:         3196
        .size:           4
        .value_kind:     hidden_block_count_y
      - .offset:         3200
        .size:           4
        .value_kind:     hidden_block_count_z
      - .offset:         3204
        .size:           2
        .value_kind:     hidden_group_size_x
      - .offset:         3206
        .size:           2
        .value_kind:     hidden_group_size_y
      - .offset:         3208
        .size:           2
        .value_kind:     hidden_group_size_z
      - .offset:         3210
        .size:           2
        .value_kind:     hidden_remainder_x
      - .offset:         3212
        .size:           2
        .value_kind:     hidden_remainder_y
      - .offset:         3214
        .size:           2
        .value_kind:     hidden_remainder_z
      - .offset:         3232
        .size:           8
        .value_kind:     hidden_global_offset_x
      - .offset:         3240
        .size:           8
        .value_kind:     hidden_global_offset_y
      - .offset:         3248
        .size:           8
        .value_kind:     hidden_global_offset_z
      - .offset:         3256
        .size:           2
        .value_kind:     hidden_grid_dims
    .group_segment_fixed_size: 0
    .kernarg_segment_align: 8
    .kernarg_segment_size: 3448
    .language:       OpenCL C
    .language_version:
      - 2
      - 0
    .max_flat_workgroup_size: 512
    .name:           _ZN2at6native12_GLOBAL__N_125multi_tensor_apply_kernelINS1_28TensorListScalarListMetadataIfLi4EEENS1_28PointwiseOpScalarListFunctorIfLi4ELi3ELi3EEEJSt7dividesIfEEEEvT_T0_DpT1_
    .private_segment_fixed_size: 0
    .sgpr_count:     40
    .sgpr_spill_count: 0
    .symbol:         _ZN2at6native12_GLOBAL__N_125multi_tensor_apply_kernelINS1_28TensorListScalarListMetadataIfLi4EEENS1_28PointwiseOpScalarListFunctorIfLi4ELi3ELi3EEEJSt7dividesIfEEEEvT_T0_DpT1_.kd
    .uniform_work_group_size: 1
    .uses_dynamic_stack: false
    .vgpr_count:     56
    .vgpr_spill_count: 0
    .wavefront_size: 64
  - .args:
      - .offset:         0
        .size:           3616
        .value_kind:     by_value
      - .offset:         3616
        .size:           1
        .value_kind:     by_value
      - .offset:         3617
        .size:           1
        .value_kind:     by_value
      - .offset:         3624
        .size:           4
        .value_kind:     hidden_block_count_x
      - .offset:         3628
        .size:           4
        .value_kind:     hidden_block_count_y
      - .offset:         3632
        .size:           4
        .value_kind:     hidden_block_count_z
      - .offset:         3636
        .size:           2
        .value_kind:     hidden_group_size_x
      - .offset:         3638
        .size:           2
        .value_kind:     hidden_group_size_y
      - .offset:         3640
        .size:           2
        .value_kind:     hidden_group_size_z
      - .offset:         3642
        .size:           2
        .value_kind:     hidden_remainder_x
      - .offset:         3644
        .size:           2
        .value_kind:     hidden_remainder_y
      - .offset:         3646
        .size:           2
        .value_kind:     hidden_remainder_z
      - .offset:         3664
        .size:           8
        .value_kind:     hidden_global_offset_x
      - .offset:         3672
        .size:           8
        .value_kind:     hidden_global_offset_y
      - .offset:         3680
        .size:           8
        .value_kind:     hidden_global_offset_z
      - .offset:         3688
        .size:           2
        .value_kind:     hidden_grid_dims
    .group_segment_fixed_size: 0
    .kernarg_segment_align: 16
    .kernarg_segment_size: 3880
    .language:       OpenCL C
    .language_version:
      - 2
      - 0
    .max_flat_workgroup_size: 512
    .name:           _ZN2at6native12_GLOBAL__N_125multi_tensor_apply_kernelINS1_28TensorListScalarListMetadataIN3c107complexIdEELi4EEENS1_28PointwiseOpScalarListFunctorIS6_Li4ELi3ELi3EEEJSt7dividesIS6_EEEEvT_T0_DpT1_
    .private_segment_fixed_size: 0
    .sgpr_count:     51
    .sgpr_spill_count: 0
    .symbol:         _ZN2at6native12_GLOBAL__N_125multi_tensor_apply_kernelINS1_28TensorListScalarListMetadataIN3c107complexIdEELi4EEENS1_28PointwiseOpScalarListFunctorIS6_Li4ELi3ELi3EEEJSt7dividesIS6_EEEEvT_T0_DpT1_.kd
    .uniform_work_group_size: 1
    .uses_dynamic_stack: false
    .vgpr_count:     77
    .vgpr_spill_count: 0
    .wavefront_size: 64
  - .args:
      - .offset:         0
        .size:           3328
        .value_kind:     by_value
      - .offset:         3328
        .size:           1
        .value_kind:     by_value
      - .offset:         3329
        .size:           1
        .value_kind:     by_value
      - .offset:         3336
        .size:           4
        .value_kind:     hidden_block_count_x
      - .offset:         3340
        .size:           4
        .value_kind:     hidden_block_count_y
      - .offset:         3344
        .size:           4
        .value_kind:     hidden_block_count_z
      - .offset:         3348
        .size:           2
        .value_kind:     hidden_group_size_x
      - .offset:         3350
        .size:           2
        .value_kind:     hidden_group_size_y
      - .offset:         3352
        .size:           2
        .value_kind:     hidden_group_size_z
      - .offset:         3354
        .size:           2
        .value_kind:     hidden_remainder_x
      - .offset:         3356
        .size:           2
        .value_kind:     hidden_remainder_y
      - .offset:         3358
        .size:           2
        .value_kind:     hidden_remainder_z
      - .offset:         3376
        .size:           8
        .value_kind:     hidden_global_offset_x
      - .offset:         3384
        .size:           8
        .value_kind:     hidden_global_offset_y
      - .offset:         3392
        .size:           8
        .value_kind:     hidden_global_offset_z
      - .offset:         3400
        .size:           2
        .value_kind:     hidden_grid_dims
    .group_segment_fixed_size: 0
    .kernarg_segment_align: 8
    .kernarg_segment_size: 3592
    .language:       OpenCL C
    .language_version:
      - 2
      - 0
    .max_flat_workgroup_size: 512
    .name:           _ZN2at6native12_GLOBAL__N_125multi_tensor_apply_kernelINS1_28TensorListScalarListMetadataIN3c107complexIfEELi4EEENS1_28PointwiseOpScalarListFunctorIS6_Li4ELi3ELi3EEEJSt7dividesIS6_EEEEvT_T0_DpT1_
    .private_segment_fixed_size: 0
    .sgpr_count:     49
    .sgpr_spill_count: 0
    .symbol:         _ZN2at6native12_GLOBAL__N_125multi_tensor_apply_kernelINS1_28TensorListScalarListMetadataIN3c107complexIfEELi4EEENS1_28PointwiseOpScalarListFunctorIS6_Li4ELi3ELi3EEEJSt7dividesIS6_EEEEvT_T0_DpT1_.kd
    .uniform_work_group_size: 1
    .uses_dynamic_stack: false
    .vgpr_count:     45
    .vgpr_spill_count: 0
    .wavefront_size: 64
  - .args:
      - .offset:         0
        .size:           3184
        .value_kind:     by_value
      - .offset:         3184
        .size:           1
        .value_kind:     by_value
      - .offset:         3185
        .size:           1
        .value_kind:     by_value
      - .offset:         3192
        .size:           4
        .value_kind:     hidden_block_count_x
      - .offset:         3196
        .size:           4
        .value_kind:     hidden_block_count_y
      - .offset:         3200
        .size:           4
        .value_kind:     hidden_block_count_z
      - .offset:         3204
        .size:           2
        .value_kind:     hidden_group_size_x
      - .offset:         3206
        .size:           2
        .value_kind:     hidden_group_size_y
      - .offset:         3208
        .size:           2
        .value_kind:     hidden_group_size_z
      - .offset:         3210
        .size:           2
        .value_kind:     hidden_remainder_x
      - .offset:         3212
        .size:           2
        .value_kind:     hidden_remainder_y
      - .offset:         3214
        .size:           2
        .value_kind:     hidden_remainder_z
      - .offset:         3232
        .size:           8
        .value_kind:     hidden_global_offset_x
      - .offset:         3240
        .size:           8
        .value_kind:     hidden_global_offset_y
      - .offset:         3248
        .size:           8
        .value_kind:     hidden_global_offset_z
      - .offset:         3256
        .size:           2
        .value_kind:     hidden_grid_dims
    .group_segment_fixed_size: 0
    .kernarg_segment_align: 8
    .kernarg_segment_size: 3448
    .language:       OpenCL C
    .language_version:
      - 2
      - 0
    .max_flat_workgroup_size: 512
    .name:           _ZN2at6native12_GLOBAL__N_125multi_tensor_apply_kernelINS1_28TensorListScalarListMetadataIfLi4EEENS1_28PointwiseOpScalarListFunctorIN3c104HalfELi4ELi3ELi3EEEJSt7dividesIfEEEEvT_T0_DpT1_
    .private_segment_fixed_size: 0
    .sgpr_count:     40
    .sgpr_spill_count: 0
    .symbol:         _ZN2at6native12_GLOBAL__N_125multi_tensor_apply_kernelINS1_28TensorListScalarListMetadataIfLi4EEENS1_28PointwiseOpScalarListFunctorIN3c104HalfELi4ELi3ELi3EEEJSt7dividesIfEEEEvT_T0_DpT1_.kd
    .uniform_work_group_size: 1
    .uses_dynamic_stack: false
    .vgpr_count:     56
    .vgpr_spill_count: 0
    .wavefront_size: 64
  - .args:
      - .offset:         0
        .size:           3184
        .value_kind:     by_value
      - .offset:         3184
        .size:           1
        .value_kind:     by_value
      - .offset:         3185
        .size:           1
        .value_kind:     by_value
      - .offset:         3192
        .size:           4
        .value_kind:     hidden_block_count_x
      - .offset:         3196
        .size:           4
        .value_kind:     hidden_block_count_y
      - .offset:         3200
        .size:           4
        .value_kind:     hidden_block_count_z
      - .offset:         3204
        .size:           2
        .value_kind:     hidden_group_size_x
      - .offset:         3206
        .size:           2
        .value_kind:     hidden_group_size_y
      - .offset:         3208
        .size:           2
        .value_kind:     hidden_group_size_z
      - .offset:         3210
        .size:           2
        .value_kind:     hidden_remainder_x
      - .offset:         3212
        .size:           2
        .value_kind:     hidden_remainder_y
      - .offset:         3214
        .size:           2
        .value_kind:     hidden_remainder_z
      - .offset:         3232
        .size:           8
        .value_kind:     hidden_global_offset_x
      - .offset:         3240
        .size:           8
        .value_kind:     hidden_global_offset_y
      - .offset:         3248
        .size:           8
        .value_kind:     hidden_global_offset_z
      - .offset:         3256
        .size:           2
        .value_kind:     hidden_grid_dims
    .group_segment_fixed_size: 0
    .kernarg_segment_align: 8
    .kernarg_segment_size: 3448
    .language:       OpenCL C
    .language_version:
      - 2
      - 0
    .max_flat_workgroup_size: 512
    .name:           _ZN2at6native12_GLOBAL__N_125multi_tensor_apply_kernelINS1_28TensorListScalarListMetadataIfLi4EEENS1_28PointwiseOpScalarListFunctorIN3c108BFloat16ELi4ELi3ELi3EEEJSt7dividesIfEEEEvT_T0_DpT1_
    .private_segment_fixed_size: 0
    .sgpr_count:     41
    .sgpr_spill_count: 0
    .symbol:         _ZN2at6native12_GLOBAL__N_125multi_tensor_apply_kernelINS1_28TensorListScalarListMetadataIfLi4EEENS1_28PointwiseOpScalarListFunctorIN3c108BFloat16ELi4ELi3ELi3EEEJSt7dividesIfEEEEvT_T0_DpT1_.kd
    .uniform_work_group_size: 1
    .uses_dynamic_stack: false
    .vgpr_count:     57
    .vgpr_spill_count: 0
    .wavefront_size: 64
  - .args:
      - .offset:         0
        .size:           3184
        .value_kind:     by_value
      - .offset:         3184
        .size:           1
        .value_kind:     by_value
      - .offset:         3185
        .size:           1
        .value_kind:     by_value
      - .offset:         3192
        .size:           4
        .value_kind:     hidden_block_count_x
      - .offset:         3196
        .size:           4
        .value_kind:     hidden_block_count_y
      - .offset:         3200
        .size:           4
        .value_kind:     hidden_block_count_z
      - .offset:         3204
        .size:           2
        .value_kind:     hidden_group_size_x
      - .offset:         3206
        .size:           2
        .value_kind:     hidden_group_size_y
      - .offset:         3208
        .size:           2
        .value_kind:     hidden_group_size_z
      - .offset:         3210
        .size:           2
        .value_kind:     hidden_remainder_x
      - .offset:         3212
        .size:           2
        .value_kind:     hidden_remainder_y
      - .offset:         3214
        .size:           2
        .value_kind:     hidden_remainder_z
      - .offset:         3232
        .size:           8
        .value_kind:     hidden_global_offset_x
      - .offset:         3240
        .size:           8
        .value_kind:     hidden_global_offset_y
      - .offset:         3248
        .size:           8
        .value_kind:     hidden_global_offset_z
      - .offset:         3256
        .size:           2
        .value_kind:     hidden_grid_dims
    .group_segment_fixed_size: 0
    .kernarg_segment_align: 8
    .kernarg_segment_size: 3448
    .language:       OpenCL C
    .language_version:
      - 2
      - 0
    .max_flat_workgroup_size: 512
    .name:           _ZN2at6native12_GLOBAL__N_125multi_tensor_apply_kernelINS1_28TensorListScalarListMetadataIhLi3EEENS1_28PointwiseOpScalarListFunctorIhLi3ELi3ELi0EEEJSt7dividesIhEEEEvT_T0_DpT1_
    .private_segment_fixed_size: 0
    .sgpr_count:     27
    .sgpr_spill_count: 0
    .symbol:         _ZN2at6native12_GLOBAL__N_125multi_tensor_apply_kernelINS1_28TensorListScalarListMetadataIhLi3EEENS1_28PointwiseOpScalarListFunctorIhLi3ELi3ELi0EEEJSt7dividesIhEEEEvT_T0_DpT1_.kd
    .uniform_work_group_size: 1
    .uses_dynamic_stack: false
    .vgpr_count:     47
    .vgpr_spill_count: 0
    .wavefront_size: 64
  - .args:
      - .offset:         0
        .size:           3184
        .value_kind:     by_value
      - .offset:         3184
        .size:           1
        .value_kind:     by_value
      - .offset:         3185
        .size:           1
        .value_kind:     by_value
      - .offset:         3192
        .size:           4
        .value_kind:     hidden_block_count_x
      - .offset:         3196
        .size:           4
        .value_kind:     hidden_block_count_y
      - .offset:         3200
        .size:           4
        .value_kind:     hidden_block_count_z
      - .offset:         3204
        .size:           2
        .value_kind:     hidden_group_size_x
      - .offset:         3206
        .size:           2
        .value_kind:     hidden_group_size_y
      - .offset:         3208
        .size:           2
        .value_kind:     hidden_group_size_z
      - .offset:         3210
        .size:           2
        .value_kind:     hidden_remainder_x
      - .offset:         3212
        .size:           2
        .value_kind:     hidden_remainder_y
      - .offset:         3214
        .size:           2
        .value_kind:     hidden_remainder_z
      - .offset:         3232
        .size:           8
        .value_kind:     hidden_global_offset_x
      - .offset:         3240
        .size:           8
        .value_kind:     hidden_global_offset_y
      - .offset:         3248
        .size:           8
        .value_kind:     hidden_global_offset_z
      - .offset:         3256
        .size:           2
        .value_kind:     hidden_grid_dims
    .group_segment_fixed_size: 0
    .kernarg_segment_align: 8
    .kernarg_segment_size: 3448
    .language:       OpenCL C
    .language_version:
      - 2
      - 0
    .max_flat_workgroup_size: 512
    .name:           _ZN2at6native12_GLOBAL__N_125multi_tensor_apply_kernelINS1_28TensorListScalarListMetadataIaLi3EEENS1_28PointwiseOpScalarListFunctorIaLi3ELi3ELi0EEEJSt7dividesIaEEEEvT_T0_DpT1_
    .private_segment_fixed_size: 0
    .sgpr_count:     38
    .sgpr_spill_count: 0
    .symbol:         _ZN2at6native12_GLOBAL__N_125multi_tensor_apply_kernelINS1_28TensorListScalarListMetadataIaLi3EEENS1_28PointwiseOpScalarListFunctorIaLi3ELi3ELi0EEEJSt7dividesIaEEEEvT_T0_DpT1_.kd
    .uniform_work_group_size: 1
    .uses_dynamic_stack: false
    .vgpr_count:     48
    .vgpr_spill_count: 0
    .wavefront_size: 64
  - .args:
      - .offset:         0
        .size:           3328
        .value_kind:     by_value
      - .offset:         3328
        .size:           1
        .value_kind:     by_value
      - .offset:         3329
        .size:           1
        .value_kind:     by_value
      - .offset:         3336
        .size:           4
        .value_kind:     hidden_block_count_x
      - .offset:         3340
        .size:           4
        .value_kind:     hidden_block_count_y
      - .offset:         3344
        .size:           4
        .value_kind:     hidden_block_count_z
      - .offset:         3348
        .size:           2
        .value_kind:     hidden_group_size_x
      - .offset:         3350
        .size:           2
        .value_kind:     hidden_group_size_y
      - .offset:         3352
        .size:           2
        .value_kind:     hidden_group_size_z
      - .offset:         3354
        .size:           2
        .value_kind:     hidden_remainder_x
      - .offset:         3356
        .size:           2
        .value_kind:     hidden_remainder_y
      - .offset:         3358
        .size:           2
        .value_kind:     hidden_remainder_z
      - .offset:         3376
        .size:           8
        .value_kind:     hidden_global_offset_x
      - .offset:         3384
        .size:           8
        .value_kind:     hidden_global_offset_y
      - .offset:         3392
        .size:           8
        .value_kind:     hidden_global_offset_z
      - .offset:         3400
        .size:           2
        .value_kind:     hidden_grid_dims
    .group_segment_fixed_size: 0
    .kernarg_segment_align: 8
    .kernarg_segment_size: 3592
    .language:       OpenCL C
    .language_version:
      - 2
      - 0
    .max_flat_workgroup_size: 512
    .name:           _ZN2at6native12_GLOBAL__N_125multi_tensor_apply_kernelINS1_28TensorListScalarListMetadataIiLi3EEENS1_28PointwiseOpScalarListFunctorIiLi3ELi3ELi0EEEJSt7dividesIiEEEEvT_T0_DpT1_
    .private_segment_fixed_size: 0
    .sgpr_count:     34
    .sgpr_spill_count: 0
    .symbol:         _ZN2at6native12_GLOBAL__N_125multi_tensor_apply_kernelINS1_28TensorListScalarListMetadataIiLi3EEENS1_28PointwiseOpScalarListFunctorIiLi3ELi3ELi0EEEJSt7dividesIiEEEEvT_T0_DpT1_.kd
    .uniform_work_group_size: 1
    .uses_dynamic_stack: false
    .vgpr_count:     59
    .vgpr_spill_count: 0
    .wavefront_size: 64
  - .args:
      - .offset:         0
        .size:           3520
        .value_kind:     by_value
      - .offset:         3520
        .size:           1
        .value_kind:     by_value
      - .offset:         3521
        .size:           1
        .value_kind:     by_value
      - .offset:         3528
        .size:           4
        .value_kind:     hidden_block_count_x
      - .offset:         3532
        .size:           4
        .value_kind:     hidden_block_count_y
      - .offset:         3536
        .size:           4
        .value_kind:     hidden_block_count_z
      - .offset:         3540
        .size:           2
        .value_kind:     hidden_group_size_x
      - .offset:         3542
        .size:           2
        .value_kind:     hidden_group_size_y
      - .offset:         3544
        .size:           2
        .value_kind:     hidden_group_size_z
      - .offset:         3546
        .size:           2
        .value_kind:     hidden_remainder_x
      - .offset:         3548
        .size:           2
        .value_kind:     hidden_remainder_y
      - .offset:         3550
        .size:           2
        .value_kind:     hidden_remainder_z
      - .offset:         3568
        .size:           8
        .value_kind:     hidden_global_offset_x
      - .offset:         3576
        .size:           8
        .value_kind:     hidden_global_offset_y
      - .offset:         3584
        .size:           8
        .value_kind:     hidden_global_offset_z
      - .offset:         3592
        .size:           2
        .value_kind:     hidden_grid_dims
    .group_segment_fixed_size: 0
    .kernarg_segment_align: 8
    .kernarg_segment_size: 3784
    .language:       OpenCL C
    .language_version:
      - 2
      - 0
    .max_flat_workgroup_size: 512
    .name:           _ZN2at6native12_GLOBAL__N_125multi_tensor_apply_kernelINS1_28TensorListScalarListMetadataIlLi3EEENS1_28PointwiseOpScalarListFunctorIlLi3ELi3ELi0EEEJSt7dividesIlEEEEvT_T0_DpT1_
    .private_segment_fixed_size: 0
    .sgpr_count:     36
    .sgpr_spill_count: 0
    .symbol:         _ZN2at6native12_GLOBAL__N_125multi_tensor_apply_kernelINS1_28TensorListScalarListMetadataIlLi3EEENS1_28PointwiseOpScalarListFunctorIlLi3ELi3ELi0EEEJSt7dividesIlEEEEvT_T0_DpT1_.kd
    .uniform_work_group_size: 1
    .uses_dynamic_stack: false
    .vgpr_count:     70
    .vgpr_spill_count: 0
    .wavefront_size: 64
  - .args:
      - .offset:         0
        .size:           3232
        .value_kind:     by_value
      - .offset:         3232
        .size:           1
        .value_kind:     by_value
      - .offset:         3233
        .size:           1
        .value_kind:     by_value
      - .offset:         3240
        .size:           4
        .value_kind:     hidden_block_count_x
      - .offset:         3244
        .size:           4
        .value_kind:     hidden_block_count_y
      - .offset:         3248
        .size:           4
        .value_kind:     hidden_block_count_z
      - .offset:         3252
        .size:           2
        .value_kind:     hidden_group_size_x
      - .offset:         3254
        .size:           2
        .value_kind:     hidden_group_size_y
      - .offset:         3256
        .size:           2
        .value_kind:     hidden_group_size_z
      - .offset:         3258
        .size:           2
        .value_kind:     hidden_remainder_x
      - .offset:         3260
        .size:           2
        .value_kind:     hidden_remainder_y
      - .offset:         3262
        .size:           2
        .value_kind:     hidden_remainder_z
      - .offset:         3280
        .size:           8
        .value_kind:     hidden_global_offset_x
      - .offset:         3288
        .size:           8
        .value_kind:     hidden_global_offset_y
      - .offset:         3296
        .size:           8
        .value_kind:     hidden_global_offset_z
      - .offset:         3304
        .size:           2
        .value_kind:     hidden_grid_dims
    .group_segment_fixed_size: 0
    .kernarg_segment_align: 8
    .kernarg_segment_size: 3496
    .language:       OpenCL C
    .language_version:
      - 2
      - 0
    .max_flat_workgroup_size: 512
    .name:           _ZN2at6native12_GLOBAL__N_125multi_tensor_apply_kernelINS1_28TensorListScalarListMetadataIsLi3EEENS1_28PointwiseOpScalarListFunctorIsLi3ELi3ELi0EEEJSt7dividesIsEEEEvT_T0_DpT1_
    .private_segment_fixed_size: 0
    .sgpr_count:     39
    .sgpr_spill_count: 0
    .symbol:         _ZN2at6native12_GLOBAL__N_125multi_tensor_apply_kernelINS1_28TensorListScalarListMetadataIsLi3EEENS1_28PointwiseOpScalarListFunctorIsLi3ELi3ELi0EEEJSt7dividesIsEEEEvT_T0_DpT1_.kd
    .uniform_work_group_size: 1
    .uses_dynamic_stack: false
    .vgpr_count:     48
    .vgpr_spill_count: 0
    .wavefront_size: 64
  - .args:
      - .offset:         0
        .size:           3520
        .value_kind:     by_value
      - .offset:         3520
        .size:           1
        .value_kind:     by_value
      - .offset:         3521
        .size:           1
        .value_kind:     by_value
      - .offset:         3528
        .size:           4
        .value_kind:     hidden_block_count_x
      - .offset:         3532
        .size:           4
        .value_kind:     hidden_block_count_y
      - .offset:         3536
        .size:           4
        .value_kind:     hidden_block_count_z
      - .offset:         3540
        .size:           2
        .value_kind:     hidden_group_size_x
      - .offset:         3542
        .size:           2
        .value_kind:     hidden_group_size_y
      - .offset:         3544
        .size:           2
        .value_kind:     hidden_group_size_z
      - .offset:         3546
        .size:           2
        .value_kind:     hidden_remainder_x
      - .offset:         3548
        .size:           2
        .value_kind:     hidden_remainder_y
      - .offset:         3550
        .size:           2
        .value_kind:     hidden_remainder_z
      - .offset:         3568
        .size:           8
        .value_kind:     hidden_global_offset_x
      - .offset:         3576
        .size:           8
        .value_kind:     hidden_global_offset_y
      - .offset:         3584
        .size:           8
        .value_kind:     hidden_global_offset_z
      - .offset:         3592
        .size:           2
        .value_kind:     hidden_grid_dims
    .group_segment_fixed_size: 0
    .kernarg_segment_align: 8
    .kernarg_segment_size: 3784
    .language:       OpenCL C
    .language_version:
      - 2
      - 0
    .max_flat_workgroup_size: 512
    .name:           _ZN2at6native12_GLOBAL__N_125multi_tensor_apply_kernelINS1_28TensorListScalarListMetadataIdLi3EEENS1_28PointwiseOpScalarListFunctorIdLi3ELi3ELi0EEEJSt7dividesIdEEEEvT_T0_DpT1_
    .private_segment_fixed_size: 0
    .sgpr_count:     39
    .sgpr_spill_count: 0
    .symbol:         _ZN2at6native12_GLOBAL__N_125multi_tensor_apply_kernelINS1_28TensorListScalarListMetadataIdLi3EEENS1_28PointwiseOpScalarListFunctorIdLi3ELi3ELi0EEEJSt7dividesIdEEEEvT_T0_DpT1_.kd
    .uniform_work_group_size: 1
    .uses_dynamic_stack: false
    .vgpr_count:     63
    .vgpr_spill_count: 0
    .wavefront_size: 64
  - .args:
      - .offset:         0
        .size:           3328
        .value_kind:     by_value
      - .offset:         3328
        .size:           1
        .value_kind:     by_value
      - .offset:         3329
        .size:           1
        .value_kind:     by_value
      - .offset:         3336
        .size:           4
        .value_kind:     hidden_block_count_x
      - .offset:         3340
        .size:           4
        .value_kind:     hidden_block_count_y
      - .offset:         3344
        .size:           4
        .value_kind:     hidden_block_count_z
      - .offset:         3348
        .size:           2
        .value_kind:     hidden_group_size_x
      - .offset:         3350
        .size:           2
        .value_kind:     hidden_group_size_y
      - .offset:         3352
        .size:           2
        .value_kind:     hidden_group_size_z
      - .offset:         3354
        .size:           2
        .value_kind:     hidden_remainder_x
      - .offset:         3356
        .size:           2
        .value_kind:     hidden_remainder_y
      - .offset:         3358
        .size:           2
        .value_kind:     hidden_remainder_z
      - .offset:         3376
        .size:           8
        .value_kind:     hidden_global_offset_x
      - .offset:         3384
        .size:           8
        .value_kind:     hidden_global_offset_y
      - .offset:         3392
        .size:           8
        .value_kind:     hidden_global_offset_z
      - .offset:         3400
        .size:           2
        .value_kind:     hidden_grid_dims
    .group_segment_fixed_size: 0
    .kernarg_segment_align: 8
    .kernarg_segment_size: 3592
    .language:       OpenCL C
    .language_version:
      - 2
      - 0
    .max_flat_workgroup_size: 512
    .name:           _ZN2at6native12_GLOBAL__N_125multi_tensor_apply_kernelINS1_28TensorListScalarListMetadataIfLi3EEENS1_28PointwiseOpScalarListFunctorIfLi3ELi3ELi0EEEJSt7dividesIfEEEEvT_T0_DpT1_
    .private_segment_fixed_size: 0
    .sgpr_count:     38
    .sgpr_spill_count: 0
    .symbol:         _ZN2at6native12_GLOBAL__N_125multi_tensor_apply_kernelINS1_28TensorListScalarListMetadataIfLi3EEENS1_28PointwiseOpScalarListFunctorIfLi3ELi3ELi0EEEJSt7dividesIfEEEEvT_T0_DpT1_.kd
    .uniform_work_group_size: 1
    .uses_dynamic_stack: false
    .vgpr_count:     48
    .vgpr_spill_count: 0
    .wavefront_size: 64
  - .args:
      - .offset:         0
        .size:           3904
        .value_kind:     by_value
      - .offset:         3904
        .size:           1
        .value_kind:     by_value
      - .offset:         3905
        .size:           1
        .value_kind:     by_value
      - .offset:         3912
        .size:           4
        .value_kind:     hidden_block_count_x
      - .offset:         3916
        .size:           4
        .value_kind:     hidden_block_count_y
      - .offset:         3920
        .size:           4
        .value_kind:     hidden_block_count_z
      - .offset:         3924
        .size:           2
        .value_kind:     hidden_group_size_x
      - .offset:         3926
        .size:           2
        .value_kind:     hidden_group_size_y
      - .offset:         3928
        .size:           2
        .value_kind:     hidden_group_size_z
      - .offset:         3930
        .size:           2
        .value_kind:     hidden_remainder_x
      - .offset:         3932
        .size:           2
        .value_kind:     hidden_remainder_y
      - .offset:         3934
        .size:           2
        .value_kind:     hidden_remainder_z
      - .offset:         3952
        .size:           8
        .value_kind:     hidden_global_offset_x
      - .offset:         3960
        .size:           8
        .value_kind:     hidden_global_offset_y
      - .offset:         3968
        .size:           8
        .value_kind:     hidden_global_offset_z
      - .offset:         3976
        .size:           2
        .value_kind:     hidden_grid_dims
    .group_segment_fixed_size: 0
    .kernarg_segment_align: 16
    .kernarg_segment_size: 4168
    .language:       OpenCL C
    .language_version:
      - 2
      - 0
    .max_flat_workgroup_size: 512
    .name:           _ZN2at6native12_GLOBAL__N_125multi_tensor_apply_kernelINS1_28TensorListScalarListMetadataIN3c107complexIdEELi3EEENS1_28PointwiseOpScalarListFunctorIS6_Li3ELi3ELi0EEEJSt7dividesIS6_EEEEvT_T0_DpT1_
    .private_segment_fixed_size: 0
    .sgpr_count:     49
    .sgpr_spill_count: 0
    .symbol:         _ZN2at6native12_GLOBAL__N_125multi_tensor_apply_kernelINS1_28TensorListScalarListMetadataIN3c107complexIdEELi3EEENS1_28PointwiseOpScalarListFunctorIS6_Li3ELi3ELi0EEEJSt7dividesIS6_EEEEvT_T0_DpT1_.kd
    .uniform_work_group_size: 1
    .uses_dynamic_stack: false
    .vgpr_count:     77
    .vgpr_spill_count: 0
    .wavefront_size: 64
  - .args:
      - .offset:         0
        .size:           3520
        .value_kind:     by_value
      - .offset:         3520
        .size:           1
        .value_kind:     by_value
      - .offset:         3521
        .size:           1
        .value_kind:     by_value
      - .offset:         3528
        .size:           4
        .value_kind:     hidden_block_count_x
      - .offset:         3532
        .size:           4
        .value_kind:     hidden_block_count_y
      - .offset:         3536
        .size:           4
        .value_kind:     hidden_block_count_z
      - .offset:         3540
        .size:           2
        .value_kind:     hidden_group_size_x
      - .offset:         3542
        .size:           2
        .value_kind:     hidden_group_size_y
      - .offset:         3544
        .size:           2
        .value_kind:     hidden_group_size_z
      - .offset:         3546
        .size:           2
        .value_kind:     hidden_remainder_x
      - .offset:         3548
        .size:           2
        .value_kind:     hidden_remainder_y
      - .offset:         3550
        .size:           2
        .value_kind:     hidden_remainder_z
      - .offset:         3568
        .size:           8
        .value_kind:     hidden_global_offset_x
      - .offset:         3576
        .size:           8
        .value_kind:     hidden_global_offset_y
      - .offset:         3584
        .size:           8
        .value_kind:     hidden_global_offset_z
      - .offset:         3592
        .size:           2
        .value_kind:     hidden_grid_dims
    .group_segment_fixed_size: 0
    .kernarg_segment_align: 8
    .kernarg_segment_size: 3784
    .language:       OpenCL C
    .language_version:
      - 2
      - 0
    .max_flat_workgroup_size: 512
    .name:           _ZN2at6native12_GLOBAL__N_125multi_tensor_apply_kernelINS1_28TensorListScalarListMetadataIN3c107complexIfEELi3EEENS1_28PointwiseOpScalarListFunctorIS6_Li3ELi3ELi0EEEJSt7dividesIS6_EEEEvT_T0_DpT1_
    .private_segment_fixed_size: 0
    .sgpr_count:     47
    .sgpr_spill_count: 0
    .symbol:         _ZN2at6native12_GLOBAL__N_125multi_tensor_apply_kernelINS1_28TensorListScalarListMetadataIN3c107complexIfEELi3EEENS1_28PointwiseOpScalarListFunctorIS6_Li3ELi3ELi0EEEJSt7dividesIS6_EEEEvT_T0_DpT1_.kd
    .uniform_work_group_size: 1
    .uses_dynamic_stack: false
    .vgpr_count:     64
    .vgpr_spill_count: 0
    .wavefront_size: 64
  - .args:
      - .offset:         0
        .size:           3328
        .value_kind:     by_value
      - .offset:         3328
        .size:           1
        .value_kind:     by_value
      - .offset:         3329
        .size:           1
        .value_kind:     by_value
      - .offset:         3336
        .size:           4
        .value_kind:     hidden_block_count_x
      - .offset:         3340
        .size:           4
        .value_kind:     hidden_block_count_y
      - .offset:         3344
        .size:           4
        .value_kind:     hidden_block_count_z
      - .offset:         3348
        .size:           2
        .value_kind:     hidden_group_size_x
      - .offset:         3350
        .size:           2
        .value_kind:     hidden_group_size_y
      - .offset:         3352
        .size:           2
        .value_kind:     hidden_group_size_z
      - .offset:         3354
        .size:           2
        .value_kind:     hidden_remainder_x
      - .offset:         3356
        .size:           2
        .value_kind:     hidden_remainder_y
      - .offset:         3358
        .size:           2
        .value_kind:     hidden_remainder_z
      - .offset:         3376
        .size:           8
        .value_kind:     hidden_global_offset_x
      - .offset:         3384
        .size:           8
        .value_kind:     hidden_global_offset_y
      - .offset:         3392
        .size:           8
        .value_kind:     hidden_global_offset_z
      - .offset:         3400
        .size:           2
        .value_kind:     hidden_grid_dims
    .group_segment_fixed_size: 0
    .kernarg_segment_align: 8
    .kernarg_segment_size: 3592
    .language:       OpenCL C
    .language_version:
      - 2
      - 0
    .max_flat_workgroup_size: 512
    .name:           _ZN2at6native12_GLOBAL__N_125multi_tensor_apply_kernelINS1_28TensorListScalarListMetadataIfLi3EEENS1_28PointwiseOpScalarListFunctorIN3c104HalfELi3ELi3ELi0EEEJSt7dividesIfEEEEvT_T0_DpT1_
    .private_segment_fixed_size: 0
    .sgpr_count:     38
    .sgpr_spill_count: 0
    .symbol:         _ZN2at6native12_GLOBAL__N_125multi_tensor_apply_kernelINS1_28TensorListScalarListMetadataIfLi3EEENS1_28PointwiseOpScalarListFunctorIN3c104HalfELi3ELi3ELi0EEEJSt7dividesIfEEEEvT_T0_DpT1_.kd
    .uniform_work_group_size: 1
    .uses_dynamic_stack: false
    .vgpr_count:     48
    .vgpr_spill_count: 0
    .wavefront_size: 64
  - .args:
      - .offset:         0
        .size:           3328
        .value_kind:     by_value
      - .offset:         3328
        .size:           1
        .value_kind:     by_value
      - .offset:         3329
        .size:           1
        .value_kind:     by_value
      - .offset:         3336
        .size:           4
        .value_kind:     hidden_block_count_x
      - .offset:         3340
        .size:           4
        .value_kind:     hidden_block_count_y
      - .offset:         3344
        .size:           4
        .value_kind:     hidden_block_count_z
      - .offset:         3348
        .size:           2
        .value_kind:     hidden_group_size_x
      - .offset:         3350
        .size:           2
        .value_kind:     hidden_group_size_y
      - .offset:         3352
        .size:           2
        .value_kind:     hidden_group_size_z
      - .offset:         3354
        .size:           2
        .value_kind:     hidden_remainder_x
      - .offset:         3356
        .size:           2
        .value_kind:     hidden_remainder_y
      - .offset:         3358
        .size:           2
        .value_kind:     hidden_remainder_z
      - .offset:         3376
        .size:           8
        .value_kind:     hidden_global_offset_x
      - .offset:         3384
        .size:           8
        .value_kind:     hidden_global_offset_y
      - .offset:         3392
        .size:           8
        .value_kind:     hidden_global_offset_z
      - .offset:         3400
        .size:           2
        .value_kind:     hidden_grid_dims
    .group_segment_fixed_size: 0
    .kernarg_segment_align: 8
    .kernarg_segment_size: 3592
    .language:       OpenCL C
    .language_version:
      - 2
      - 0
    .max_flat_workgroup_size: 512
    .name:           _ZN2at6native12_GLOBAL__N_125multi_tensor_apply_kernelINS1_28TensorListScalarListMetadataIfLi3EEENS1_28PointwiseOpScalarListFunctorIN3c108BFloat16ELi3ELi3ELi0EEEJSt7dividesIfEEEEvT_T0_DpT1_
    .private_segment_fixed_size: 0
    .sgpr_count:     39
    .sgpr_spill_count: 0
    .symbol:         _ZN2at6native12_GLOBAL__N_125multi_tensor_apply_kernelINS1_28TensorListScalarListMetadataIfLi3EEENS1_28PointwiseOpScalarListFunctorIN3c108BFloat16ELi3ELi3ELi0EEEJSt7dividesIfEEEEvT_T0_DpT1_.kd
    .uniform_work_group_size: 1
    .uses_dynamic_stack: false
    .vgpr_count:     49
    .vgpr_spill_count: 0
    .wavefront_size: 64
amdhsa.target:   amdgcn-amd-amdhsa--gfx906
amdhsa.version:
  - 1
  - 2
...

	.end_amdgpu_metadata
